;; amdgpu-corpus repo=ggml-org/llama.cpp kind=compiled arch=gfx942 opt=O3
	.text
	.amdgcn_target "amdgcn-amd-amdhsa--gfx942"
	.amdhsa_code_object_version 6
	.section	.text._ZL15flash_attn_tileILi80ELi80ELi8ELi8ELb0EEvPKcS1_S1_S1_S1_PKiPfP15HIP_vector_typeIfLj2EEffffjfiS5_IjLj3EEiiiiiiiiiiiliiliiiiil,"axG",@progbits,_ZL15flash_attn_tileILi80ELi80ELi8ELi8ELb0EEvPKcS1_S1_S1_S1_PKiPfP15HIP_vector_typeIfLj2EEffffjfiS5_IjLj3EEiiiiiiiiiiiliiliiiiil,comdat
	.globl	_ZL15flash_attn_tileILi80ELi80ELi8ELi8ELb0EEvPKcS1_S1_S1_S1_PKiPfP15HIP_vector_typeIfLj2EEffffjfiS5_IjLj3EEiiiiiiiiiiiliiliiiiil ; -- Begin function _ZL15flash_attn_tileILi80ELi80ELi8ELi8ELb0EEvPKcS1_S1_S1_S1_PKiPfP15HIP_vector_typeIfLj2EEffffjfiS5_IjLj3EEiiiiiiiiiiiliiliiiiil
	.p2align	8
	.type	_ZL15flash_attn_tileILi80ELi80ELi8ELi8ELb0EEvPKcS1_S1_S1_S1_PKiPfP15HIP_vector_typeIfLj2EEffffjfiS5_IjLj3EEiiiiiiiiiiiliiliiiiil,@function
_ZL15flash_attn_tileILi80ELi80ELi8ELi8ELb0EEvPKcS1_S1_S1_S1_PKiPfP15HIP_vector_typeIfLj2EEffffjfiS5_IjLj3EEiiiiiiiiiiiliiliiiiil: ; @_ZL15flash_attn_tileILi80ELi80ELi8ELi8ELb0EEvPKcS1_S1_S1_S1_PKiPfP15HIP_vector_typeIfLj2EEffffjfiS5_IjLj3EEiiiiiiiiiiiliiliiiiil
; %bb.0:
	s_load_dwordx4 s[64:67], s[0:1], 0x5c
	s_load_dwordx2 s[68:69], s[0:1], 0x80
	s_load_dwordx16 s[48:63], s[0:1], 0x0
	s_mov_b64 s[70:71], 0
	s_waitcnt lgkmcnt(0)
	s_ashr_i32 s5, s67, 31
	s_lshr_b32 s5, s5, 29
	s_add_i32 s5, s67, s5
	s_ashr_i32 s5, s5, 3
	v_cvt_f32_u32_e32 v1, s5
	s_sub_i32 s6, 0, s5
	v_rcp_iflag_f32_e32 v1, v1
	s_nop 0
	v_mul_f32_e32 v1, 0x4f7ffffe, v1
	v_cvt_u32_f32_e32 v1, v1
	s_nop 0
	v_readfirstlane_b32 s7, v1
	s_mul_i32 s6, s6, s7
	s_mul_hi_u32 s6, s7, s6
	s_add_i32 s7, s7, s6
	s_mul_hi_u32 s6, s4, s7
	s_mul_i32 s7, s6, s5
	s_sub_i32 s7, s4, s7
	s_add_i32 s8, s6, 1
	s_sub_i32 s9, s7, s5
	s_cmp_ge_u32 s7, s5
	s_cselect_b32 s6, s8, s6
	s_cselect_b32 s7, s9, s7
	s_add_i32 s8, s6, 1
	s_cmp_ge_u32 s7, s5
	s_cselect_b32 s33, s8, s6
	s_abs_i32 s5, s69
	v_cvt_f32_u32_e32 v1, s5
	s_sub_i32 s8, 0, s5
	s_abs_i32 s7, s67
	s_xor_b32 s6, s67, s69
	v_rcp_iflag_f32_e32 v1, v1
	s_lshl_b32 s4, s4, 3
	s_ashr_i32 s6, s6, 31
	v_mul_f32_e32 v1, 0x4f7ffffe, v1
	v_cvt_u32_f32_e32 v1, v1
	s_nop 0
	v_readfirstlane_b32 s9, v1
	s_mul_i32 s8, s8, s9
	s_mul_hi_u32 s8, s9, s8
	s_add_i32 s9, s9, s8
	s_mul_hi_u32 s8, s7, s9
	s_mul_i32 s9, s8, s5
	s_sub_i32 s7, s7, s9
	s_add_i32 s10, s8, 1
	s_sub_i32 s9, s7, s5
	s_cmp_ge_u32 s7, s5
	s_cselect_b32 s8, s10, s8
	s_cselect_b32 s7, s9, s7
	s_add_i32 s9, s8, 1
	s_cmp_ge_u32 s7, s5
	s_cselect_b32 s5, s9, s8
	s_xor_b32 s5, s5, s6
	s_sub_i32 s13, s5, s6
	s_abs_i32 s12, s13
	v_cvt_f32_u32_e32 v1, s12
	s_load_dwordx2 s[8:9], s[0:1], 0xb8
	s_mul_i32 s5, s33, s67
	s_cmp_eq_u64 s[54:55], 0
	v_rcp_iflag_f32_e32 v1, v1
	s_nop 0
	v_mul_f32_e32 v1, 0x4f7ffffe, v1
	v_cvt_u32_f32_e32 v1, v1
	s_nop 0
	v_readfirstlane_b32 s14, v1
	s_cbranch_scc1 .LBB0_2
; %bb.1:
	s_waitcnt lgkmcnt(0)
	s_abs_i32 s8, s8
	v_cvt_f32_u32_e32 v1, s8
	s_sub_i32 s15, 0, s8
	s_abs_i32 s11, s33
	s_ashr_i32 s10, s33, 31
	v_rcp_iflag_f32_e32 v1, v1
	s_load_dwordx2 s[6:7], s[0:1], 0xc8
	v_mul_f32_e32 v1, 0x4f7ffffe, v1
	v_cvt_u32_f32_e32 v1, v1
	s_nop 0
	v_readfirstlane_b32 s16, v1
	s_mul_i32 s15, s15, s16
	s_mul_hi_u32 s15, s16, s15
	s_add_i32 s16, s16, s15
	s_mul_hi_u32 s15, s11, s16
	s_mul_i32 s15, s15, s8
	s_sub_i32 s11, s11, s15
	s_sub_i32 s15, s11, s8
	s_cmp_ge_u32 s11, s8
	s_cselect_b32 s11, s15, s11
	s_sub_i32 s15, s11, s8
	s_cmp_ge_u32 s11, s8
	s_cselect_b32 s8, s15, s11
	s_xor_b32 s8, s8, s10
	s_sub_i32 s8, s8, s10
	s_ashr_i32 s10, s8, 31
	s_waitcnt lgkmcnt(0)
	s_mul_i32 s7, s8, s7
	s_mul_hi_u32 s11, s8, s6
	s_add_i32 s7, s11, s7
	s_mul_i32 s10, s10, s6
	s_add_i32 s7, s7, s10
	s_mul_i32 s8, s8, s6
	s_add_u32 s70, s54, s8
	s_addc_u32 s71, s55, s7
.LBB0_2:
	v_bfe_u32 v8, v0, 10, 10
	v_lshl_add_u32 v105, s2, 3, v8
	v_and_b32_e32 v106, 0x3ff, v0
	v_mul_hi_u32 v0, s64, v105
	v_add_u32_e32 v0, v105, v0
	v_lshrrev_b32_e32 v0, s65, v0
	v_mul_lo_u32 v0, v0, s66
	s_sub_i32 s46, s4, s5
	v_cmp_gt_u32_e64 s[44:45], 20, v106
	v_sub_u32_e32 v9, v105, v0
	v_lshlrev_b32_e32 v104, 2, v106
	s_and_saveexec_b64 s[10:11], s[44:45]
	s_cbranch_execz .LBB0_4
; %bb.3:
	s_load_dwordx4 s[4:7], s[0:1], 0x70
	v_mul_u32_u24_e32 v34, 0x140, v8
	v_lshlrev_b32_e32 v34, 2, v34
	v_lshl_or_b32 v34, v106, 3, v34
	s_waitcnt lgkmcnt(0)
	s_mul_i32 s6, s33, s6
	s_ashr_i32 s8, s6, 31
	s_mul_i32 s7, s46, s5
	s_add_u32 s6, s48, s6
	s_addc_u32 s8, s49, s8
	s_ashr_i32 s15, s7, 31
	s_add_u32 s6, s6, s7
	v_mov_b32_e32 v0, s4
	s_addc_u32 s7, s8, s15
	s_ashr_i32 s4, s4, 31
	v_alignbit_b32 v0, s4, v0, 2
	v_mad_u64_u32 v[0:1], s[16:17], v0, v9, 0
	v_mov_b32_e32 v2, v1
	s_lshr_b32 s4, s4, 2
	v_mad_u64_u32 v[2:3], s[16:17], s4, v9, v[2:3]
	v_mov_b32_e32 v1, v2
	v_lshl_add_u64 v[0:1], v[0:1], 2, s[6:7]
	v_lshlrev_b32_e32 v2, 2, v104
	v_mov_b32_e32 v3, 0
	s_ashr_i32 s7, s5, 31
	v_mov_b32_e32 v14, s5
	v_lshl_add_u64 v[30:31], v[0:1], 0, v[2:3]
	s_mov_b32 s6, s5
	v_alignbit_b32 v32, s7, v14, 2
	s_lshr_b64 s[16:17], s[6:7], 2
	s_and_b32 s6, s5, -4
	v_mad_u64_u32 v[18:19], s[4:5], v32, 12, v[30:31]
	global_load_dwordx4 v[0:3], v[30:31], off
	v_lshl_add_u64 v[4:5], v[30:31], 0, s[6:7]
	s_lshr_b32 s8, s7, 2
	s_andn2_b32 s7, s7, -2.0
	v_mov_b32_e32 v20, v19
	global_load_dwordx4 v[4:7], v[4:5], off
	v_lshl_add_u64 v[10:11], s[16:17], 3, v[30:31]
	global_load_dwordx4 v[10:13], v[10:11], off
	v_lshl_add_u64 v[14:15], s[6:7], 2, v[30:31]
	v_mad_u64_u32 v[20:21], s[4:5], s8, 12, v[20:21]
	global_load_dwordx4 v[14:17], v[14:15], off
	v_mov_b32_e32 v19, v20
	global_load_dwordx4 v[18:21], v[18:19], off
	v_mad_u64_u32 v[22:23], s[4:5], v32, 20, v[30:31]
	v_mov_b32_e32 v24, v23
	v_mad_u64_u32 v[24:25], s[4:5], s8, 20, v[24:25]
	v_mov_b32_e32 v23, v24
	global_load_dwordx4 v[22:25], v[22:23], off
	v_mad_u64_u32 v[26:27], s[4:5], v32, 24, v[30:31]
	v_mov_b32_e32 v28, v27
	v_mad_u64_u32 v[28:29], s[4:5], s8, 24, v[28:29]
	v_mad_u64_u32 v[30:31], s[4:5], v32, 28, v[30:31]
	v_mov_b32_e32 v27, v28
	global_load_dwordx4 v[26:29], v[26:27], off
	v_mov_b32_e32 v32, v31
	v_mad_u64_u32 v[32:33], s[4:5], s8, 28, v[32:33]
	v_mov_b32_e32 v31, v32
	global_load_dwordx4 v[30:33], v[30:31], off
	s_load_dword s4, s[0:1], 0x40
	s_waitcnt vmcnt(7) lgkmcnt(0)
	v_pk_mul_f32 v[0:1], v[0:1], s[4:5] op_sel_hi:[1,0]
	v_pk_mul_f32 v[2:3], v[2:3], s[4:5] op_sel_hi:[1,0]
	v_cvt_f16_f32_e32 v35, v1
	v_cvt_f16_f32_e32 v36, v0
	;; [unrolled: 1-line block ×3, first 2 shown]
	s_waitcnt vmcnt(6)
	v_pk_mul_f32 v[0:1], v[4:5], s[4:5] op_sel_hi:[1,0]
	v_cvt_f16_f32_e32 v38, v2
	v_pk_mul_f32 v[2:3], v[6:7], s[4:5] op_sel_hi:[1,0]
	s_waitcnt vmcnt(5)
	v_pk_mul_f32 v[4:5], v[10:11], s[4:5] op_sel_hi:[1,0]
	v_cvt_f16_f32_e32 v10, v1
	v_cvt_f16_f32_e32 v11, v0
	s_waitcnt vmcnt(4)
	v_pk_mul_f32 v[0:1], v[14:15], s[4:5] op_sel_hi:[1,0]
	v_pk_mul_f32 v[6:7], v[12:13], s[4:5] op_sel_hi:[1,0]
	v_cvt_f16_f32_e32 v12, v3
	v_cvt_f16_f32_e32 v13, v2
	;; [unrolled: 1-line block ×4, first 2 shown]
	v_pk_mul_f32 v[2:3], v[16:17], s[4:5] op_sel_hi:[1,0]
	v_cvt_f16_f32_e32 v14, v1
	v_cvt_f16_f32_e32 v15, v0
	s_waitcnt vmcnt(3)
	v_pk_mul_f32 v[0:1], v[18:19], s[4:5] op_sel_hi:[1,0]
	v_pk_mul_f32 v[4:5], v[20:21], s[4:5] op_sel_hi:[1,0]
	v_cvt_f16_f32_e32 v41, v7
	v_cvt_f16_f32_e32 v42, v6
	v_cvt_f16_f32_e32 v16, v3
	v_cvt_f16_f32_e32 v3, v1
	v_cvt_f16_f32_e32 v17, v0
	v_cvt_f16_f32_e32 v18, v5
	v_cvt_f16_f32_e32 v19, v4
	v_pack_b32_f16 v7, v38, v37
	v_pack_b32_f16 v6, v36, v35
	;; [unrolled: 1-line block ×6, first 2 shown]
	ds_write2_b64 v34, v[6:7], v[0:1] offset1:20
	v_pack_b32_f16 v1, v19, v18
	v_pack_b32_f16 v0, v17, v3
	ds_write2_b64 v34, v[4:5], v[0:1] offset0:40 offset1:60
	v_cvt_f16_f32_e32 v4, v2
	s_waitcnt vmcnt(2)
	v_pk_mul_f32 v[0:1], v[22:23], s[4:5] op_sel_hi:[1,0]
	v_pk_mul_f32 v[2:3], v[24:25], s[4:5] op_sel_hi:[1,0]
	v_cvt_f16_f32_e32 v5, v1
	v_cvt_f16_f32_e32 v3, v3
	;; [unrolled: 1-line block ×4, first 2 shown]
	v_pack_b32_f16 v1, v4, v16
	v_pack_b32_f16 v0, v15, v14
	;; [unrolled: 1-line block ×4, first 2 shown]
	ds_write2_b64 v34, v[0:1], v[2:3] offset0:80 offset1:100
	s_waitcnt vmcnt(1)
	v_pk_mul_f32 v[0:1], v[26:27], s[4:5] op_sel_hi:[1,0]
	s_waitcnt vmcnt(0)
	v_pk_mul_f32 v[2:3], v[32:33], s[4:5] op_sel_hi:[1,0]
	v_cvt_f16_f32_e32 v4, v1
	v_cvt_f16_f32_e32 v5, v0
	v_pk_mul_f32 v[0:1], v[28:29], s[4:5] op_sel_hi:[1,0]
	v_cvt_f16_f32_e32 v3, v3
	v_cvt_f16_f32_e32 v6, v1
	;; [unrolled: 1-line block ×3, first 2 shown]
	v_pk_mul_f32 v[0:1], v[30:31], s[4:5] op_sel_hi:[1,0]
	v_cvt_f16_f32_e32 v2, v2
	v_cvt_f16_f32_e32 v10, v1
	v_cvt_f16_f32_e32 v11, v0
	v_pack_b32_f16 v1, v7, v6
	v_pack_b32_f16 v0, v5, v4
	;; [unrolled: 1-line block ×4, first 2 shown]
	ds_write2_b64 v34, v[0:1], v[2:3] offset0:120 offset1:140
.LBB0_4:
	s_or_b64 exec, exec, s[10:11]
	s_cmp_eq_u64 s[58:59], 0
	s_waitcnt lgkmcnt(0)
	s_barrier
	s_cbranch_scc1 .LBB0_6
; %bb.5:
	s_load_dword s4, s[0:1], 0xd0
	s_mov_b32 s5, 0
	s_waitcnt lgkmcnt(0)
	s_mul_i32 s4, s4, s33
	s_add_i32 s4, s4, s2
	s_lshl_b64 s[4:5], s[4:5], 2
	s_add_u32 s4, s58, s4
	s_addc_u32 s5, s59, s5
	s_load_dword s68, s[4:5], 0x0
.LBB0_6:
	s_lshl_b32 s47, s3, 5
	s_waitcnt lgkmcnt(0)
	s_cmp_lt_i32 s47, s68
	v_mbcnt_lo_u32_b32 v10, -1, 0
	s_cbranch_scc1 .LBB0_8
; %bb.7:
	v_mbcnt_hi_u32_b32 v139, -1, v10
	v_and_b32_e32 v0, 0x60, v139
	s_mov_b32 s2, 0
	v_add_u32_e32 v175, 32, v0
	v_xor_b32_e32 v179, 16, v139
	v_xor_b32_e32 v180, 8, v139
	;; [unrolled: 1-line block ×5, first 2 shown]
	s_mov_b64 s[4:5], 0
	s_mov_b32 s6, 0xfeffffff
	s_branch .LBB0_9
.LBB0_8:
	s_mov_b64 s[4:5], -1
                                        ; implicit-def: $sgpr6
                                        ; implicit-def: $sgpr2
                                        ; implicit-def: $vgpr139
                                        ; implicit-def: $vgpr175
                                        ; implicit-def: $vgpr179
                                        ; implicit-def: $vgpr180
                                        ; implicit-def: $vgpr177
                                        ; implicit-def: $vgpr178
                                        ; implicit-def: $vgpr176
.LBB0_9:
	s_andn2_b64 vcc, exec, s[4:5]
	v_mov_b32_e32 v7, s6
	v_mov_b32_e32 v123, s2
	v_mov_b32_e32 v121, s2
	v_mov_b32_e32 v137, s2
	v_mov_b32_e32 v6, s6
	v_mov_b32_e32 v5, s6
	v_mov_b32_e32 v4, s6
	v_mov_b32_e32 v3, s6
	v_mov_b32_e32 v2, s6
	v_mov_b32_e32 v1, s6
	v_mov_b32_e32 v0, s6
	v_mov_b32_e32 v122, s2
	v_mov_b32_e32 v125, s2
	v_mov_b32_e32 v124, s2
	v_mov_b32_e32 v127, s2
	v_mov_b32_e32 v126, s2
	v_mov_b32_e32 v129, s2
	v_mov_b32_e32 v128, s2
	v_mov_b32_e32 v120, s2
	v_mov_b32_e32 v119, s2
	v_mov_b32_e32 v118, s2
	v_mov_b32_e32 v117, s2
	v_mov_b32_e32 v116, s2
	v_mov_b32_e32 v115, s2
	v_mov_b32_e32 v114, s2
	v_mov_b32_e32 v113, s2
	v_mov_b32_e32 v112, s2
	v_mov_b32_e32 v111, s2
	v_mov_b32_e32 v110, s2
	v_mov_b32_e32 v107, s2
	v_mov_b32_e32 v108, s2
	v_mov_b32_e32 v109, s2
	s_cbranch_vccnz .LBB0_29
; %bb.10:
	s_load_dwordx2 s[10:11], s[0:1], 0x8c
	s_load_dwordx4 s[4:7], s[0:1], 0x98
	s_sub_i32 s2, 0, s12
	s_mul_i32 s2, s2, s14
	s_mul_hi_u32 s2, s14, s2
	s_waitcnt lgkmcnt(0)
	s_ashr_i32 s55, s10, 2
	s_ashr_i32 s54, s6, 2
	;; [unrolled: 1-line block ×4, first 2 shown]
	s_mul_i32 s5, s33, s5
	s_mul_hi_u32 s10, s33, s4
	s_add_i32 s5, s10, s5
	s_mul_i32 s10, s9, s4
	s_abs_i32 s8, s46
	s_add_i32 s14, s14, s2
	s_ashr_i32 s16, s46, 31
	s_ashr_i32 s13, s13, 31
	s_add_i32 s5, s5, s10
	s_mul_i32 s4, s33, s4
	s_mul_hi_u32 s2, s8, s14
	s_add_u32 s4, s50, s4
	s_addc_u32 s5, s51, s5
	s_xor_b32 s10, s16, s13
	s_mul_i32 s13, s2, s12
	s_sub_i32 s8, s8, s13
	s_add_i32 s13, s2, 1
	s_sub_i32 s16, s8, s12
	s_cmp_ge_u32 s8, s12
	s_cselect_b32 s2, s13, s2
	s_cselect_b32 s8, s16, s8
	s_add_i32 s13, s2, 1
	s_cmp_ge_u32 s8, s12
	s_cselect_b32 s2, s13, s2
	s_load_dwordx2 s[14:15], s[0:1], 0xa8
	s_xor_b32 s2, s2, s10
	s_sub_i32 s2, s2, s10
	s_mul_i32 s8, s2, s11
	s_ashr_i32 s10, s8, 31
	s_add_u32 s58, s4, s8
	s_addc_u32 s59, s5, s10
	s_waitcnt lgkmcnt(0)
	s_mul_i32 s4, s33, s15
	s_mul_hi_u32 s5, s33, s14
	s_add_i32 s4, s5, s4
	s_mul_i32 s9, s9, s14
	s_add_i32 s4, s4, s9
	s_mul_i32 s5, s33, s14
	s_add_u32 s5, s52, s5
	s_mul_i32 s2, s2, s7
	s_addc_u32 s4, s53, s4
	s_ashr_i32 s7, s2, 31
	s_add_u32 s64, s5, s2
	v_lshl_add_u32 v0, v8, 5, v106
	v_lshrrev_b32_e32 v1, 2, v106
	s_movk_i32 s2, 0x60
	v_mov_b32_e32 v2, 0x3840
	v_cmp_gt_u32_e32 vcc, 32, v0
	v_lshl_add_u32 v1, v8, 3, v1
	v_mad_u32_u24 v167, v0, s2, v2
	v_mul_lo_u32 v130, s55, v0
	v_and_b32_e32 v0, 12, v104
	v_mul_u32_u24_e32 v2, 0x60, v1
	v_lshlrev_b32_e32 v3, 2, v0
	s_movk_i32 s2, 0x3800
	v_add3_u32 v168, v2, v3, s2
	v_lshrrev_b32_e32 v2, 1, v106
	v_lshl_add_u32 v2, v8, 4, v2
	v_lshrrev_b32_e32 v3, 3, v106
	v_and_b32_e32 v138, 4, v104
	v_mul_u32_u24_e32 v4, 0xa0, v2
	s_addc_u32 s65, s4, s7
	v_cmp_gt_u32_e64 s[4:5], 32, v1
	v_mul_lo_u32 v134, s55, v1
	v_mad_u64_u32 v[136:137], s[6:7], v9, s6, v[106:107]
	v_mov_b32_e32 v1, 0x2800
	v_lshl_add_u32 v3, v8, 2, v3
	v_lshl_or_b32 v4, v138, 2, v4
	v_and_b32_e32 v142, 28, v104
	v_mul_u32_u24_e32 v166, 0x500, v8
	v_mov_b32_e32 v133, 0
	v_lshl_add_u32 v169, v8, 9, v1
	v_lshlrev_b32_e32 v1, 4, v106
	v_cmp_gt_u32_e64 s[6:7], 16, v2
	v_add_u32_e32 v171, 0x3880, v4
	v_mul_lo_u32 v140, s54, v2
	v_mul_u32_u24_e32 v2, 0xa0, v3
	v_lshlrev_b32_e32 v4, 2, v142
	v_mul_lo_u32 v144, s54, v3
	s_add_u32 s48, s0, 0xd0
	v_mov_b32_e32 v8, 0xfeffffff
	v_mul_u32_u24_e32 v143, 0x60, v106
	v_ashrrev_i32_e32 v131, 31, v130
	v_ashrrev_i32_e32 v135, 31, v134
	v_cmp_gt_u32_e64 s[8:9], 16, v3
	v_lshlrev_b32_e32 v170, 3, v106
	v_ashrrev_i32_e32 v141, 31, v140
	v_add3_u32 v172, v2, v4, s2
	v_ashrrev_i32_e32 v145, 31, v144
	s_addc_u32 s49, s1, 0
	v_mbcnt_hi_u32_b32 v139, -1, v10
	s_mov_b32 s2, 0x40051340
	s_mov_b32 s69, 0x3fb8aa3b
	;; [unrolled: 1-line block ×4, first 2 shown]
	v_add_u32_e32 v173, v169, v1
	v_lshlrev_b32_e32 v132, 2, v0
	v_mov_b32_e32 v174, 0x7f800000
	v_mov_b32_e32 v109, v133
	v_mov_b32_e32 v137, v133
	v_mov_b32_e32 v108, v133
	v_mov_b32_e32 v107, v133
	v_mov_b32_e32 v110, v133
	v_mov_b32_e32 v111, v133
	v_mov_b32_e32 v112, v133
	v_mov_b32_e32 v113, v133
	v_mov_b32_e32 v114, v133
	v_mov_b32_e32 v115, v133
	v_mov_b32_e32 v116, v133
	v_mov_b32_e32 v117, v133
	v_mov_b32_e32 v118, v133
	v_mov_b32_e32 v119, v133
	v_mov_b32_e32 v120, v133
	v_mov_b32_e32 v121, v133
	v_mov_b32_e32 v9, v8
	v_mov_b32_e32 v14, v8
	v_mov_b32_e32 v15, v8
	v_mov_b32_e32 v12, v8
	v_mov_b32_e32 v13, v8
	v_mov_b32_e32 v10, v8
	v_mov_b32_e32 v11, v8
	v_mov_b32_e32 v128, v133
	v_mov_b32_e32 v129, v133
	v_mov_b32_e32 v126, v133
	v_mov_b32_e32 v127, v133
	v_mov_b32_e32 v124, v133
	v_mov_b32_e32 v125, v133
	v_mov_b32_e32 v122, v133
	v_mov_b32_e32 v123, v133
.LBB0_11:                               ; =>This Inner Loop Header: Depth=1
	s_mul_hi_i32 s11, s47, s55
	s_mul_i32 s10, s47, s55
	s_lshl_b64 s[10:11], s[10:11], 2
	s_add_u32 s10, s58, s10
	s_addc_u32 s11, s59, s11
	v_lshl_add_u64 v[18:19], v[130:131], 2, s[10:11]
	s_and_saveexec_b64 s[12:13], vcc
	s_cbranch_execz .LBB0_13
; %bb.12:                               ;   in Loop: Header=BB0_11 Depth=1
	global_load_dwordx4 v[0:3], v[18:19], off offset:64
	s_waitcnt vmcnt(0)
	ds_write_b128 v167, v[0:3]
.LBB0_13:                               ;   in Loop: Header=BB0_11 Depth=1
	s_or_b64 exec, exec, s[12:13]
	v_lshl_add_u64 v[16:17], v[134:135], 2, s[10:11]
	s_and_saveexec_b64 s[10:11], s[4:5]
	s_cbranch_execz .LBB0_15
; %bb.14:                               ;   in Loop: Header=BB0_11 Depth=1
	v_lshl_add_u64 v[0:1], v[16:17], 0, v[132:133]
	global_load_dwordx4 v[0:3], v[0:1], off
	s_waitcnt vmcnt(0)
	ds_write_b128 v168, v[0:3]
.LBB0_15:                               ;   in Loop: Header=BB0_11 Depth=1
	s_or_b64 exec, exec, s[10:11]
	v_mov_b32_e32 v0, 0
	s_waitcnt lgkmcnt(0)
	s_barrier
	ds_read_b128 v[20:23], v143 offset:14336
	ds_read_b128 v[2:5], v166
	ds_read_b128 v[24:27], v166 offset:160
	ds_read_b128 v[28:31], v166 offset:320
	;; [unrolled: 1-line block ×7, first 2 shown]
	s_waitcnt lgkmcnt(7)
	;;#ASMSTART
	v_dot2_f32_f16 v0, v20, v2, v0
	;;#ASMEND
	v_mov_b32_e32 v1, 0
	;;#ASMSTART
	v_dot2_f32_f16 v0, v21, v3, v0
	;;#ASMEND
	v_mov_b32_e32 v2, 0
	;; [unrolled: 4-line block ×3, first 2 shown]
	;;#ASMSTART
	v_dot2_f32_f16 v0, v23, v5, v0
	;;#ASMEND
	s_waitcnt lgkmcnt(6)
	;;#ASMSTART
	v_dot2_f32_f16 v1, v20, v24, v1
	;;#ASMEND
	v_mov_b32_e32 v4, 0
	;;#ASMSTART
	v_dot2_f32_f16 v1, v21, v25, v1
	;;#ASMEND
	v_mov_b32_e32 v5, 0
	;; [unrolled: 4-line block ×3, first 2 shown]
	;;#ASMSTART
	v_dot2_f32_f16 v1, v23, v27, v1
	;;#ASMEND
	s_waitcnt lgkmcnt(5)
	;;#ASMSTART
	v_dot2_f32_f16 v2, v20, v28, v2
	;;#ASMEND
	v_mov_b32_e32 v7, 0
	;;#ASMSTART
	v_dot2_f32_f16 v2, v21, v29, v2
	;;#ASMEND
	s_nop 0
	;;#ASMSTART
	v_dot2_f32_f16 v2, v22, v30, v2
	;;#ASMEND
	s_nop 0
	;;#ASMSTART
	v_dot2_f32_f16 v2, v23, v31, v2
	;;#ASMEND
	s_waitcnt lgkmcnt(4)
	;;#ASMSTART
	v_dot2_f32_f16 v3, v20, v32, v3
	;;#ASMEND
	s_nop 0
	;;#ASMSTART
	v_dot2_f32_f16 v3, v21, v33, v3
	;;#ASMEND
	s_nop 0
	;;#ASMSTART
	v_dot2_f32_f16 v3, v22, v34, v3
	;;#ASMEND
	s_nop 0
	;;#ASMSTART
	v_dot2_f32_f16 v3, v23, v35, v3
	;;#ASMEND
	s_waitcnt lgkmcnt(3)
	;;#ASMSTART
	v_dot2_f32_f16 v4, v20, v36, v4
	;;#ASMEND
	s_nop 0
	;; [unrolled: 16-line block ×5, first 2 shown]
	;;#ASMSTART
	v_dot2_f32_f16 v7, v21, v49, v7
	;;#ASMEND
	s_nop 0
	;;#ASMSTART
	v_dot2_f32_f16 v7, v22, v50, v7
	;;#ASMEND
	s_nop 0
	;;#ASMSTART
	v_dot2_f32_f16 v7, v23, v51, v7
	;;#ASMEND
	ds_read_b128 v[20:23], v143 offset:14352
	ds_read_b128 v[24:27], v166 offset:16
	;; [unrolled: 1-line block ×9, first 2 shown]
	s_waitcnt lgkmcnt(7)
	;;#ASMSTART
	v_dot2_f32_f16 v0, v20, v24, v0
	;;#ASMEND
	s_nop 0
	;;#ASMSTART
	v_dot2_f32_f16 v0, v21, v25, v0
	;;#ASMEND
	s_nop 0
	;;#ASMSTART
	v_dot2_f32_f16 v0, v22, v26, v0
	;;#ASMEND
	s_nop 0
	;;#ASMSTART
	v_dot2_f32_f16 v0, v23, v27, v0
	;;#ASMEND
	s_waitcnt lgkmcnt(6)
	;;#ASMSTART
	v_dot2_f32_f16 v1, v20, v28, v1
	;;#ASMEND
	s_nop 0
	;;#ASMSTART
	v_dot2_f32_f16 v1, v21, v29, v1
	;;#ASMEND
	s_nop 0
	;;#ASMSTART
	v_dot2_f32_f16 v1, v22, v30, v1
	;;#ASMEND
	s_nop 0
	;;#ASMSTART
	v_dot2_f32_f16 v1, v23, v31, v1
	;;#ASMEND
	;; [unrolled: 16-line block ×8, first 2 shown]
	ds_read_b128 v[20:23], v143 offset:14368
	ds_read_b128 v[24:27], v166 offset:32
	;; [unrolled: 1-line block ×9, first 2 shown]
	s_waitcnt lgkmcnt(7)
	;;#ASMSTART
	v_dot2_f32_f16 v0, v20, v24, v0
	;;#ASMEND
	s_nop 0
	;;#ASMSTART
	v_dot2_f32_f16 v0, v21, v25, v0
	;;#ASMEND
	s_nop 0
	;;#ASMSTART
	v_dot2_f32_f16 v0, v22, v26, v0
	;;#ASMEND
	s_nop 0
	;;#ASMSTART
	v_dot2_f32_f16 v0, v23, v27, v0
	;;#ASMEND
	s_waitcnt lgkmcnt(6)
	;;#ASMSTART
	v_dot2_f32_f16 v1, v20, v28, v1
	;;#ASMEND
	s_nop 0
	;;#ASMSTART
	v_dot2_f32_f16 v1, v21, v29, v1
	;;#ASMEND
	s_nop 0
	;;#ASMSTART
	v_dot2_f32_f16 v1, v22, v30, v1
	;;#ASMEND
	s_nop 0
	;;#ASMSTART
	v_dot2_f32_f16 v1, v23, v31, v1
	;;#ASMEND
	;; [unrolled: 16-line block ×8, first 2 shown]
	ds_read_b128 v[20:23], v143 offset:14384
	ds_read_b128 v[24:27], v166 offset:48
	;; [unrolled: 1-line block ×9, first 2 shown]
	s_waitcnt lgkmcnt(7)
	;;#ASMSTART
	v_dot2_f32_f16 v0, v20, v24, v0
	;;#ASMEND
	s_nop 0
	;;#ASMSTART
	v_dot2_f32_f16 v0, v21, v25, v0
	;;#ASMEND
	s_nop 0
	;;#ASMSTART
	v_dot2_f32_f16 v0, v22, v26, v0
	;;#ASMEND
	s_nop 0
	;;#ASMSTART
	v_dot2_f32_f16 v0, v23, v27, v0
	;;#ASMEND
	s_waitcnt lgkmcnt(6)
	;;#ASMSTART
	v_dot2_f32_f16 v1, v20, v28, v1
	;;#ASMEND
	s_nop 0
	;;#ASMSTART
	v_dot2_f32_f16 v1, v21, v29, v1
	;;#ASMEND
	s_nop 0
	;;#ASMSTART
	v_dot2_f32_f16 v1, v22, v30, v1
	;;#ASMEND
	s_nop 0
	;;#ASMSTART
	v_dot2_f32_f16 v1, v23, v31, v1
	;;#ASMEND
	s_waitcnt lgkmcnt(5)
	;;#ASMSTART
	v_dot2_f32_f16 v2, v20, v32, v2
	;;#ASMEND
	s_nop 0
	;;#ASMSTART
	v_dot2_f32_f16 v2, v21, v33, v2
	;;#ASMEND
	s_nop 0
	;;#ASMSTART
	v_dot2_f32_f16 v2, v22, v34, v2
	;;#ASMEND
	s_nop 0
	;;#ASMSTART
	v_dot2_f32_f16 v2, v23, v35, v2
	;;#ASMEND
	s_waitcnt lgkmcnt(4)
	;;#ASMSTART
	v_dot2_f32_f16 v3, v20, v36, v3
	;;#ASMEND
	s_nop 0
	;;#ASMSTART
	v_dot2_f32_f16 v3, v21, v37, v3
	;;#ASMEND
	s_nop 0
	;;#ASMSTART
	v_dot2_f32_f16 v3, v22, v38, v3
	;;#ASMEND
	s_nop 0
	;;#ASMSTART
	v_dot2_f32_f16 v3, v23, v39, v3
	;;#ASMEND
	s_waitcnt lgkmcnt(3)
	;;#ASMSTART
	v_dot2_f32_f16 v4, v20, v40, v4
	;;#ASMEND
	s_nop 0
	;;#ASMSTART
	v_dot2_f32_f16 v4, v21, v41, v4
	;;#ASMEND
	s_nop 0
	;;#ASMSTART
	v_dot2_f32_f16 v4, v22, v42, v4
	;;#ASMEND
	s_nop 0
	;;#ASMSTART
	v_dot2_f32_f16 v4, v23, v43, v4
	;;#ASMEND
	s_waitcnt lgkmcnt(2)
	;;#ASMSTART
	v_dot2_f32_f16 v5, v20, v44, v5
	;;#ASMEND
	s_nop 0
	;;#ASMSTART
	v_dot2_f32_f16 v5, v21, v45, v5
	;;#ASMEND
	s_nop 0
	;;#ASMSTART
	v_dot2_f32_f16 v5, v22, v46, v5
	;;#ASMEND
	s_nop 0
	;;#ASMSTART
	v_dot2_f32_f16 v5, v23, v47, v5
	;;#ASMEND
	s_waitcnt lgkmcnt(1)
	;;#ASMSTART
	v_dot2_f32_f16 v6, v20, v48, v6
	;;#ASMEND
	s_nop 0
	;;#ASMSTART
	v_dot2_f32_f16 v6, v21, v49, v6
	;;#ASMEND
	s_nop 0
	;;#ASMSTART
	v_dot2_f32_f16 v6, v22, v50, v6
	;;#ASMEND
	s_nop 0
	;;#ASMSTART
	v_dot2_f32_f16 v6, v23, v51, v6
	;;#ASMEND
	s_waitcnt lgkmcnt(0)
	;;#ASMSTART
	v_dot2_f32_f16 v7, v20, v52, v7
	;;#ASMEND
	s_nop 0
	;;#ASMSTART
	v_dot2_f32_f16 v7, v21, v53, v7
	;;#ASMEND
	s_nop 0
	;;#ASMSTART
	v_dot2_f32_f16 v7, v22, v54, v7
	;;#ASMEND
	s_nop 0
	;;#ASMSTART
	v_dot2_f32_f16 v7, v23, v55, v7
	;;#ASMEND
	ds_read_b128 v[20:23], v143 offset:14400
	ds_read_b128 v[24:27], v166 offset:64
	;; [unrolled: 1-line block ×9, first 2 shown]
	s_waitcnt lgkmcnt(7)
	;;#ASMSTART
	v_dot2_f32_f16 v0, v20, v24, v0
	;;#ASMEND
	s_nop 0
	;;#ASMSTART
	v_dot2_f32_f16 v0, v21, v25, v0
	;;#ASMEND
	s_nop 0
	;;#ASMSTART
	v_dot2_f32_f16 v0, v22, v26, v0
	;;#ASMEND
	s_nop 0
	;;#ASMSTART
	v_dot2_f32_f16 v0, v23, v27, v0
	;;#ASMEND
	s_waitcnt lgkmcnt(6)
	;;#ASMSTART
	v_dot2_f32_f16 v1, v20, v28, v1
	;;#ASMEND
	s_nop 0
	;;#ASMSTART
	v_dot2_f32_f16 v1, v21, v29, v1
	;;#ASMEND
	s_nop 0
	;;#ASMSTART
	v_dot2_f32_f16 v1, v22, v30, v1
	;;#ASMEND
	s_nop 0
	;;#ASMSTART
	v_dot2_f32_f16 v1, v23, v31, v1
	;;#ASMEND
	s_waitcnt lgkmcnt(5)
	;;#ASMSTART
	v_dot2_f32_f16 v2, v20, v32, v2
	;;#ASMEND
	s_nop 0
	;;#ASMSTART
	v_dot2_f32_f16 v2, v21, v33, v2
	;;#ASMEND
	s_nop 0
	;;#ASMSTART
	v_dot2_f32_f16 v2, v22, v34, v2
	;;#ASMEND
	s_nop 0
	;;#ASMSTART
	v_dot2_f32_f16 v2, v23, v35, v2
	;;#ASMEND
	s_waitcnt lgkmcnt(4)
	;;#ASMSTART
	v_dot2_f32_f16 v3, v20, v36, v3
	;;#ASMEND
	s_nop 0
	;;#ASMSTART
	v_dot2_f32_f16 v3, v21, v37, v3
	;;#ASMEND
	s_nop 0
	;;#ASMSTART
	v_dot2_f32_f16 v3, v22, v38, v3
	;;#ASMEND
	s_nop 0
	;;#ASMSTART
	v_dot2_f32_f16 v3, v23, v39, v3
	;;#ASMEND
	s_waitcnt lgkmcnt(3)
	;;#ASMSTART
	v_dot2_f32_f16 v4, v20, v40, v4
	;;#ASMEND
	s_nop 0
	;;#ASMSTART
	v_dot2_f32_f16 v4, v21, v41, v4
	;;#ASMEND
	s_nop 0
	;;#ASMSTART
	v_dot2_f32_f16 v4, v22, v42, v4
	;;#ASMEND
	s_nop 0
	;;#ASMSTART
	v_dot2_f32_f16 v4, v23, v43, v4
	;;#ASMEND
	s_waitcnt lgkmcnt(2)
	;;#ASMSTART
	v_dot2_f32_f16 v5, v20, v44, v5
	;;#ASMEND
	s_nop 0
	;;#ASMSTART
	v_dot2_f32_f16 v5, v21, v45, v5
	;;#ASMEND
	s_nop 0
	;;#ASMSTART
	v_dot2_f32_f16 v5, v22, v46, v5
	;;#ASMEND
	s_nop 0
	;;#ASMSTART
	v_dot2_f32_f16 v5, v23, v47, v5
	;;#ASMEND
	s_waitcnt lgkmcnt(1)
	;;#ASMSTART
	v_dot2_f32_f16 v6, v20, v48, v6
	;;#ASMEND
	s_nop 0
	;;#ASMSTART
	v_dot2_f32_f16 v6, v21, v49, v6
	;;#ASMEND
	s_nop 0
	;;#ASMSTART
	v_dot2_f32_f16 v6, v22, v50, v6
	;;#ASMEND
	s_nop 0
	;;#ASMSTART
	v_dot2_f32_f16 v6, v23, v51, v6
	;;#ASMEND
	s_waitcnt lgkmcnt(0)
	;;#ASMSTART
	v_dot2_f32_f16 v7, v20, v52, v7
	;;#ASMEND
	s_nop 0
	;;#ASMSTART
	v_dot2_f32_f16 v7, v21, v53, v7
	;;#ASMEND
	s_nop 0
	;;#ASMSTART
	v_dot2_f32_f16 v7, v22, v54, v7
	;;#ASMEND
	s_nop 0
	;;#ASMSTART
	v_dot2_f32_f16 v7, v23, v55, v7
	;;#ASMEND
	s_barrier
	s_and_saveexec_b64 s[10:11], vcc
	s_cbranch_execz .LBB0_17
; %bb.16:                               ;   in Loop: Header=BB0_11 Depth=1
	global_load_dwordx4 v[18:21], v[18:19], off offset:144
	s_waitcnt vmcnt(0)
	ds_write_b128 v167, v[18:21]
.LBB0_17:                               ;   in Loop: Header=BB0_11 Depth=1
	s_or_b64 exec, exec, s[10:11]
	s_and_saveexec_b64 s[10:11], s[4:5]
	s_cbranch_execz .LBB0_19
; %bb.18:                               ;   in Loop: Header=BB0_11 Depth=1
	v_lshl_add_u64 v[16:17], v[16:17], 0, v[132:133]
	global_load_dwordx4 v[16:19], v[16:17], off offset:80
	s_waitcnt vmcnt(0)
	ds_write_b128 v168, v[16:19]
.LBB0_19:                               ;   in Loop: Header=BB0_11 Depth=1
	s_or_b64 exec, exec, s[10:11]
	s_waitcnt lgkmcnt(0)
	s_barrier
	ds_read_b128 v[16:19], v143 offset:14336
	ds_read_b128 v[20:23], v166 offset:80
	;; [unrolled: 1-line block ×9, first 2 shown]
	s_waitcnt lgkmcnt(7)
	;;#ASMSTART
	v_dot2_f32_f16 v0, v16, v20, v0
	;;#ASMEND
	v_xor_b32_e32 v179, 16, v139
	;;#ASMSTART
	v_dot2_f32_f16 v0, v17, v21, v0
	;;#ASMEND
	v_xor_b32_e32 v180, 8, v139
	;; [unrolled: 4-line block ×3, first 2 shown]
	;;#ASMSTART
	v_dot2_f32_f16 v0, v19, v23, v0
	;;#ASMEND
	s_waitcnt lgkmcnt(6)
	;;#ASMSTART
	v_dot2_f32_f16 v1, v16, v24, v1
	;;#ASMEND
	v_xor_b32_e32 v178, 2, v139
	;;#ASMSTART
	v_dot2_f32_f16 v1, v17, v25, v1
	;;#ASMEND
	v_xor_b32_e32 v176, 1, v139
	;;#ASMSTART
	v_dot2_f32_f16 v1, v18, v26, v1
	;;#ASMEND
	v_lshlrev_b32_e32 v162, 2, v138
	;;#ASMSTART
	v_dot2_f32_f16 v1, v19, v27, v1
	;;#ASMEND
	s_waitcnt lgkmcnt(5)
	;;#ASMSTART
	v_dot2_f32_f16 v2, v16, v28, v2
	;;#ASMEND
	s_nop 0
	;;#ASMSTART
	v_dot2_f32_f16 v2, v17, v29, v2
	;;#ASMEND
	s_nop 0
	;;#ASMSTART
	v_dot2_f32_f16 v2, v18, v30, v2
	;;#ASMEND
	s_nop 0
	;;#ASMSTART
	v_dot2_f32_f16 v2, v19, v31, v2
	;;#ASMEND
	s_waitcnt lgkmcnt(4)
	;;#ASMSTART
	v_dot2_f32_f16 v3, v16, v32, v3
	;;#ASMEND
	s_nop 0
	;;#ASMSTART
	v_dot2_f32_f16 v3, v17, v33, v3
	;;#ASMEND
	s_nop 0
	;;#ASMSTART
	v_dot2_f32_f16 v3, v18, v34, v3
	;;#ASMEND
	s_nop 0
	;; [unrolled: 16-line block ×6, first 2 shown]
	;;#ASMSTART
	v_dot2_f32_f16 v7, v19, v51, v7
	;;#ASMEND
	ds_read_b128 v[16:19], v143 offset:14352
	ds_read_b128 v[20:23], v166 offset:96
	;; [unrolled: 1-line block ×9, first 2 shown]
	s_waitcnt lgkmcnt(7)
	;;#ASMSTART
	v_dot2_f32_f16 v0, v16, v20, v0
	;;#ASMEND
	s_nop 0
	;;#ASMSTART
	v_dot2_f32_f16 v0, v17, v21, v0
	;;#ASMEND
	s_nop 0
	;;#ASMSTART
	v_dot2_f32_f16 v0, v18, v22, v0
	;;#ASMEND
	s_nop 0
	;;#ASMSTART
	v_dot2_f32_f16 v0, v19, v23, v0
	;;#ASMEND
	s_waitcnt lgkmcnt(6)
	;;#ASMSTART
	v_dot2_f32_f16 v1, v16, v24, v1
	;;#ASMEND
	s_nop 0
	;;#ASMSTART
	v_dot2_f32_f16 v1, v17, v25, v1
	;;#ASMEND
	s_nop 0
	;;#ASMSTART
	v_dot2_f32_f16 v1, v18, v26, v1
	;;#ASMEND
	s_nop 0
	;;#ASMSTART
	v_dot2_f32_f16 v1, v19, v27, v1
	;;#ASMEND
	;; [unrolled: 16-line block ×8, first 2 shown]
	ds_read_b128 v[16:19], v143 offset:14368
	ds_read_b128 v[20:23], v166 offset:112
	;; [unrolled: 1-line block ×9, first 2 shown]
	s_waitcnt lgkmcnt(7)
	;;#ASMSTART
	v_dot2_f32_f16 v0, v16, v20, v0
	;;#ASMEND
	s_nop 0
	;;#ASMSTART
	v_dot2_f32_f16 v0, v17, v21, v0
	;;#ASMEND
	s_nop 0
	;;#ASMSTART
	v_dot2_f32_f16 v0, v18, v22, v0
	;;#ASMEND
	s_nop 0
	;;#ASMSTART
	v_dot2_f32_f16 v0, v19, v23, v0
	;;#ASMEND
	s_waitcnt lgkmcnt(6)
	;;#ASMSTART
	v_dot2_f32_f16 v1, v16, v24, v1
	;;#ASMEND
	s_nop 0
	;;#ASMSTART
	v_dot2_f32_f16 v1, v17, v25, v1
	;;#ASMEND
	s_nop 0
	;;#ASMSTART
	v_dot2_f32_f16 v1, v18, v26, v1
	;;#ASMEND
	s_nop 0
	;;#ASMSTART
	v_dot2_f32_f16 v1, v19, v27, v1
	;;#ASMEND
	;; [unrolled: 16-line block ×8, first 2 shown]
	ds_read_b128 v[16:19], v143 offset:14384
	ds_read_b128 v[20:23], v166 offset:128
	;; [unrolled: 1-line block ×9, first 2 shown]
	s_waitcnt lgkmcnt(7)
	;;#ASMSTART
	v_dot2_f32_f16 v0, v16, v20, v0
	;;#ASMEND
	s_nop 0
	;;#ASMSTART
	v_dot2_f32_f16 v0, v17, v21, v0
	;;#ASMEND
	s_nop 0
	;;#ASMSTART
	v_dot2_f32_f16 v0, v18, v22, v0
	;;#ASMEND
	s_nop 0
	;;#ASMSTART
	v_dot2_f32_f16 v0, v19, v23, v0
	;;#ASMEND
	s_waitcnt lgkmcnt(6)
	;;#ASMSTART
	v_dot2_f32_f16 v1, v16, v24, v1
	;;#ASMEND
	s_nop 0
	;;#ASMSTART
	v_dot2_f32_f16 v1, v17, v25, v1
	;;#ASMEND
	s_nop 0
	;;#ASMSTART
	v_dot2_f32_f16 v1, v18, v26, v1
	;;#ASMEND
	s_nop 0
	;;#ASMSTART
	v_dot2_f32_f16 v1, v19, v27, v1
	;;#ASMEND
	s_waitcnt lgkmcnt(5)
	;;#ASMSTART
	v_dot2_f32_f16 v2, v16, v28, v2
	;;#ASMEND
	s_nop 0
	;;#ASMSTART
	v_dot2_f32_f16 v2, v17, v29, v2
	;;#ASMEND
	s_nop 0
	;;#ASMSTART
	v_dot2_f32_f16 v2, v18, v30, v2
	;;#ASMEND
	s_nop 0
	;;#ASMSTART
	v_dot2_f32_f16 v2, v19, v31, v2
	;;#ASMEND
	s_waitcnt lgkmcnt(4)
	;;#ASMSTART
	v_dot2_f32_f16 v3, v16, v32, v3
	;;#ASMEND
	s_nop 0
	;;#ASMSTART
	v_dot2_f32_f16 v3, v17, v33, v3
	;;#ASMEND
	s_nop 0
	;;#ASMSTART
	v_dot2_f32_f16 v3, v18, v34, v3
	;;#ASMEND
	s_nop 0
	;;#ASMSTART
	v_dot2_f32_f16 v3, v19, v35, v3
	;;#ASMEND
	s_waitcnt lgkmcnt(3)
	;;#ASMSTART
	v_dot2_f32_f16 v4, v16, v36, v4
	;;#ASMEND
	s_nop 0
	;;#ASMSTART
	v_dot2_f32_f16 v4, v17, v37, v4
	;;#ASMEND
	s_nop 0
	;;#ASMSTART
	v_dot2_f32_f16 v4, v18, v38, v4
	;;#ASMEND
	s_nop 0
	;;#ASMSTART
	v_dot2_f32_f16 v4, v19, v39, v4
	;;#ASMEND
	s_waitcnt lgkmcnt(2)
	;;#ASMSTART
	v_dot2_f32_f16 v5, v16, v40, v5
	;;#ASMEND
	s_nop 0
	;;#ASMSTART
	v_dot2_f32_f16 v5, v17, v41, v5
	;;#ASMEND
	s_nop 0
	;;#ASMSTART
	v_dot2_f32_f16 v5, v18, v42, v5
	;;#ASMEND
	s_nop 0
	;;#ASMSTART
	v_dot2_f32_f16 v5, v19, v43, v5
	;;#ASMEND
	s_waitcnt lgkmcnt(1)
	;;#ASMSTART
	v_dot2_f32_f16 v6, v16, v44, v6
	;;#ASMEND
	s_nop 0
	;;#ASMSTART
	v_dot2_f32_f16 v6, v17, v45, v6
	;;#ASMEND
	s_nop 0
	;;#ASMSTART
	v_dot2_f32_f16 v6, v18, v46, v6
	;;#ASMEND
	s_nop 0
	;;#ASMSTART
	v_dot2_f32_f16 v6, v19, v47, v6
	;;#ASMEND
	s_waitcnt lgkmcnt(0)
	;;#ASMSTART
	v_dot2_f32_f16 v7, v16, v48, v7
	;;#ASMEND
	s_nop 0
	;;#ASMSTART
	v_dot2_f32_f16 v7, v17, v49, v7
	;;#ASMEND
	s_nop 0
	;;#ASMSTART
	v_dot2_f32_f16 v7, v18, v50, v7
	;;#ASMEND
	s_nop 0
	;;#ASMSTART
	v_dot2_f32_f16 v7, v19, v51, v7
	;;#ASMEND
	ds_read_b128 v[16:19], v143 offset:14400
	ds_read_b128 v[20:23], v166 offset:144
	;; [unrolled: 1-line block ×9, first 2 shown]
	s_waitcnt lgkmcnt(7)
	;;#ASMSTART
	v_dot2_f32_f16 v0, v16, v20, v0
	;;#ASMEND
	s_nop 0
	;;#ASMSTART
	v_dot2_f32_f16 v0, v17, v21, v0
	;;#ASMEND
	s_nop 0
	;;#ASMSTART
	v_dot2_f32_f16 v0, v18, v22, v0
	;;#ASMEND
	s_nop 0
	;;#ASMSTART
	v_dot2_f32_f16 v0, v19, v23, v0
	;;#ASMEND
	s_waitcnt lgkmcnt(6)
	;;#ASMSTART
	v_dot2_f32_f16 v1, v16, v24, v1
	;;#ASMEND
	s_nop 0
	;;#ASMSTART
	v_dot2_f32_f16 v1, v17, v25, v1
	;;#ASMEND
	s_nop 0
	;;#ASMSTART
	v_dot2_f32_f16 v1, v18, v26, v1
	;;#ASMEND
	s_nop 0
	;;#ASMSTART
	v_dot2_f32_f16 v1, v19, v27, v1
	;;#ASMEND
	;; [unrolled: 16-line block ×7, first 2 shown]
	s_waitcnt lgkmcnt(0)
	;;#ASMSTART
	v_dot2_f32_f16 v7, v16, v48, v7
	;;#ASMEND
	v_add_u32_e32 v16, s47, v136
	;;#ASMSTART
	v_dot2_f32_f16 v7, v17, v49, v7
	;;#ASMEND
	v_ashrrev_i32_e32 v17, 31, v16
	;;#ASMSTART
	v_dot2_f32_f16 v7, v18, v50, v7
	;;#ASMEND
	v_lshl_add_u64 v[16:17], v[16:17], 1, s[70:71]
	;;#ASMSTART
	v_dot2_f32_f16 v7, v19, v51, v7
	;;#ASMEND
	flat_load_ushort v16, v[16:17]
	v_and_b32_e32 v17, 0x60, v139
	v_add_u32_e32 v175, 32, v17
	v_cmp_lt_i32_e64 s[10:11], v179, v175
	s_waitcnt lgkmcnt(0)
	s_barrier
	v_cndmask_b32_e64 v17, v139, v179, s[10:11]
	v_cmp_lt_i32_e64 s[10:11], v180, v175
	v_lshlrev_b32_e32 v22, 2, v17
	s_nop 0
	v_cndmask_b32_e64 v18, v139, v180, s[10:11]
	v_cmp_lt_i32_e64 s[10:11], v177, v175
	v_lshlrev_b32_e32 v23, 2, v18
	s_waitcnt vmcnt(0)
	v_cvt_f32_f16_e32 v16, v16
	v_cndmask_b32_e64 v19, v139, v177, s[10:11]
	v_cmp_lt_i32_e64 s[10:11], v178, v175
	v_lshlrev_b32_e32 v24, 2, v19
	s_nop 0
	v_cndmask_b32_e64 v17, v139, v178, s[10:11]
	v_cmp_lt_i32_e64 s[10:11], v176, v175
	v_lshlrev_b32_e32 v25, 2, v17
	s_nop 0
	v_cndmask_b32_e64 v17, v139, v176, s[10:11]
	v_pk_add_f32 v[18:19], v[2:3], v[16:17] op_sel_hi:[1,0]
	v_lshlrev_b32_e32 v26, 2, v17
	v_pk_add_f32 v[20:21], v[0:1], v[16:17] op_sel_hi:[1,0]
	v_pk_add_f32 v[2:3], v[18:19], s[2:3] op_sel_hi:[1,0]
	v_max_f32_e32 v17, v15, v15
	v_max_f32_e32 v3, v17, v3
	;; [unrolled: 1-line block ×3, first 2 shown]
	v_pk_add_f32 v[0:1], v[20:21], s[2:3] op_sel_hi:[1,0]
	v_max_f32_e32 v2, v17, v2
	v_max_f32_e32 v17, v9, v9
	;; [unrolled: 1-line block ×5, first 2 shown]
	ds_bpermute_b32 v17, v22, v2
	ds_bpermute_b32 v29, v22, v1
	;; [unrolled: 1-line block ×4, first 2 shown]
	s_waitcnt lgkmcnt(3)
	v_max_f32_e32 v17, v17, v17
	v_max_f32_e32 v2, v2, v17
	s_waitcnt lgkmcnt(2)
	v_max_f32_e32 v17, v29, v29
	v_max_f32_e32 v1, v1, v17
	;; [unrolled: 3-line block ×3, first 2 shown]
	ds_bpermute_b32 v17, v23, v2
	ds_bpermute_b32 v29, v23, v1
	s_waitcnt lgkmcnt(2)
	v_max_f32_e32 v27, v27, v27
	ds_bpermute_b32 v28, v23, v0
	v_max_f32_e32 v3, v3, v27
	ds_bpermute_b32 v27, v23, v3
	s_waitcnt lgkmcnt(3)
	v_max_f32_e32 v17, v17, v17
	v_max_f32_e32 v2, v2, v17
	s_waitcnt lgkmcnt(2)
	v_max_f32_e32 v17, v29, v29
	v_max_f32_e32 v1, v1, v17
	;; [unrolled: 3-line block ×3, first 2 shown]
	ds_bpermute_b32 v17, v24, v2
	s_waitcnt lgkmcnt(1)
	v_max_f32_e32 v27, v27, v27
	ds_bpermute_b32 v29, v24, v1
	v_max_f32_e32 v3, v3, v27
	ds_bpermute_b32 v28, v24, v0
	ds_bpermute_b32 v27, v24, v3
	s_waitcnt lgkmcnt(3)
	v_max_f32_e32 v17, v17, v17
	v_max_f32_e32 v2, v2, v17
	s_waitcnt lgkmcnt(2)
	v_max_f32_e32 v17, v29, v29
	v_max_f32_e32 v1, v1, v17
	s_waitcnt lgkmcnt(1)
	v_max_f32_e32 v17, v28, v28
	s_waitcnt lgkmcnt(0)
	v_max_f32_e32 v27, v27, v27
	v_max_f32_e32 v0, v0, v17
	ds_bpermute_b32 v17, v25, v2
	v_max_f32_e32 v3, v3, v27
	ds_bpermute_b32 v29, v25, v1
	ds_bpermute_b32 v27, v25, v3
	;; [unrolled: 1-line block ×3, first 2 shown]
	s_waitcnt lgkmcnt(3)
	v_max_f32_e32 v17, v17, v17
	v_max_f32_e32 v2, v2, v17
	s_waitcnt lgkmcnt(2)
	v_max_f32_e32 v17, v29, v29
	s_waitcnt lgkmcnt(1)
	v_max_f32_e32 v27, v27, v27
	v_max_f32_e32 v1, v1, v17
	s_waitcnt lgkmcnt(0)
	v_max_f32_e32 v17, v28, v28
	v_max_f32_e32 v3, v3, v27
	;; [unrolled: 1-line block ×3, first 2 shown]
	ds_bpermute_b32 v17, v26, v2
	ds_bpermute_b32 v27, v26, v3
	;; [unrolled: 1-line block ×4, first 2 shown]
	s_waitcnt lgkmcnt(3)
	v_max_f32_e32 v17, v17, v17
	s_waitcnt lgkmcnt(2)
	v_max_f32_e32 v27, v27, v27
	v_max_f32_e32 v2, v2, v17
	s_waitcnt lgkmcnt(1)
	v_max_f32_e32 v17, v29, v29
	v_max_f32_e32 v3, v3, v27
	v_max_f32_e32 v1, v1, v17
	s_waitcnt lgkmcnt(0)
	v_max_f32_e32 v17, v28, v28
	v_max_f32_e32 v0, v0, v17
	v_sub_f32_e32 v17, v19, v3
	v_mul_f32_e32 v19, 0x3fb8aa3b, v17
	v_fma_f32 v27, v17, s69, -v19
	v_rndne_f32_e32 v28, v19
	v_fmac_f32_e32 v27, 0x32a5705f, v17
	v_sub_f32_e32 v19, v19, v28
	v_add_f32_e32 v19, v19, v27
	v_exp_f32_e32 v19, v19
	v_cvt_i32_f32_e32 v27, v28
	v_sub_f32_e32 v18, v18, v2
	v_cmp_ngt_f32_e64 s[10:11], s72, v17
	v_sub_f32_e32 v21, v21, v1
	v_ldexp_f32 v19, v19, v27
	v_mul_f32_e32 v27, 0x3fb8aa3b, v18
	v_fma_f32 v28, v18, s69, -v27
	v_rndne_f32_e32 v29, v27
	v_fmac_f32_e32 v28, 0x32a5705f, v18
	v_sub_f32_e32 v27, v27, v29
	v_add_f32_e32 v27, v27, v28
	v_exp_f32_e32 v27, v27
	v_cvt_i32_f32_e32 v28, v29
	v_cndmask_b32_e64 v19, 0, v19, s[10:11]
	v_cmp_nlt_f32_e64 s[10:11], s73, v17
	v_sub_f32_e32 v20, v20, v0
	v_ldexp_f32 v17, v27, v28
	v_cndmask_b32_e64 v147, v174, v19, s[10:11]
	v_mul_f32_e32 v19, 0x3fb8aa3b, v21
	v_fma_f32 v27, v21, s69, -v19
	v_rndne_f32_e32 v28, v19
	v_fmac_f32_e32 v27, 0x32a5705f, v21
	v_sub_f32_e32 v19, v19, v28
	v_add_f32_e32 v19, v19, v27
	v_exp_f32_e32 v19, v19
	v_cvt_i32_f32_e32 v27, v28
	v_cmp_ngt_f32_e64 s[10:11], s72, v18
	s_nop 1
	v_cndmask_b32_e64 v17, 0, v17, s[10:11]
	v_cmp_nlt_f32_e64 s[10:11], s73, v18
	v_mul_f32_e32 v18, 0x3fb8aa3b, v20
	s_nop 0
	v_cndmask_b32_e64 v146, v174, v17, s[10:11]
	v_ldexp_f32 v17, v19, v27
	v_fma_f32 v19, v20, s69, -v18
	v_rndne_f32_e32 v27, v18
	v_fmac_f32_e32 v19, 0x32a5705f, v20
	v_sub_f32_e32 v18, v18, v27
	v_add_f32_e32 v18, v18, v19
	v_exp_f32_e32 v18, v18
	v_cvt_i32_f32_e32 v19, v27
	v_cmp_ngt_f32_e64 s[10:11], s72, v21
	v_max_f32_e32 v27, v11, v11
	s_nop 0
	v_cndmask_b32_e64 v17, 0, v17, s[10:11]
	v_cmp_nlt_f32_e64 s[10:11], s73, v21
	v_cvt_f16_f32_e32 v21, v147
	s_nop 0
	v_cndmask_b32_e64 v149, v174, v17, s[10:11]
	v_ldexp_f32 v17, v18, v19
	v_cmp_ngt_f32_e64 s[10:11], s72, v20
	s_nop 1
	v_cndmask_b32_e64 v17, 0, v17, s[10:11]
	v_pk_add_f32 v[18:19], v[6:7], v[16:17] op_sel_hi:[1,0]
	v_cmp_nlt_f32_e64 s[10:11], s73, v20
	v_pk_add_f32 v[6:7], v[18:19], s[2:3] op_sel_hi:[1,0]
	v_cvt_f16_f32_e32 v20, v149
	v_cndmask_b32_e64 v148, v174, v17, s[10:11]
	v_pk_add_f32 v[16:17], v[4:5], v[16:17] op_sel_hi:[1,0]
	v_max_f32_e32 v7, v27, v7
	v_max_f32_e32 v27, v10, v10
	v_pk_add_f32 v[4:5], v[16:17], s[2:3] op_sel_hi:[1,0]
	v_max_f32_e32 v6, v27, v6
	v_max_f32_e32 v27, v13, v13
	;; [unrolled: 1-line block ×5, first 2 shown]
	ds_bpermute_b32 v28, v22, v7
	ds_bpermute_b32 v27, v22, v6
	;; [unrolled: 1-line block ×4, first 2 shown]
	s_waitcnt lgkmcnt(3)
	v_max_f32_e32 v28, v28, v28
	s_waitcnt lgkmcnt(2)
	v_max_f32_e32 v27, v27, v27
	v_max_f32_e32 v6, v6, v27
	s_waitcnt lgkmcnt(0)
	v_max_f32_e32 v22, v22, v22
	v_max_f32_e32 v5, v5, v22
	;; [unrolled: 1-line block ×5, first 2 shown]
	ds_bpermute_b32 v22, v23, v6
	ds_bpermute_b32 v27, v23, v7
	ds_bpermute_b32 v28, v23, v4
	ds_bpermute_b32 v23, v23, v5
	s_waitcnt lgkmcnt(3)
	v_max_f32_e32 v22, v22, v22
	v_max_f32_e32 v6, v6, v22
	s_waitcnt lgkmcnt(2)
	v_max_f32_e32 v27, v27, v27
	s_waitcnt lgkmcnt(0)
	v_max_f32_e32 v22, v23, v23
	v_max_f32_e32 v5, v5, v22
	;; [unrolled: 1-line block ×5, first 2 shown]
	ds_bpermute_b32 v22, v24, v6
	ds_bpermute_b32 v23, v24, v7
	;; [unrolled: 1-line block ×4, first 2 shown]
	s_waitcnt lgkmcnt(3)
	v_max_f32_e32 v22, v22, v22
	v_max_f32_e32 v6, v6, v22
	s_waitcnt lgkmcnt(2)
	v_max_f32_e32 v23, v23, v23
	s_waitcnt lgkmcnt(0)
	v_max_f32_e32 v22, v24, v24
	v_max_f32_e32 v5, v5, v22
	;; [unrolled: 1-line block ×5, first 2 shown]
	ds_bpermute_b32 v22, v25, v6
	ds_bpermute_b32 v23, v25, v7
	;; [unrolled: 1-line block ×4, first 2 shown]
	s_waitcnt lgkmcnt(3)
	v_max_f32_e32 v22, v22, v22
	s_waitcnt lgkmcnt(2)
	v_max_f32_e32 v23, v23, v23
	v_max_f32_e32 v6, v6, v22
	s_waitcnt lgkmcnt(0)
	v_max_f32_e32 v22, v25, v25
	v_max_f32_e32 v7, v7, v23
	;; [unrolled: 1-line block ×4, first 2 shown]
	ds_bpermute_b32 v23, v26, v7
	v_max_f32_e32 v4, v4, v22
	ds_bpermute_b32 v22, v26, v6
	ds_bpermute_b32 v25, v26, v5
	ds_bpermute_b32 v24, v26, v4
	s_waitcnt lgkmcnt(3)
	v_max_f32_e32 v23, v23, v23
	v_max_f32_e32 v7, v7, v23
	s_waitcnt lgkmcnt(2)
	v_max_f32_e32 v22, v22, v22
	v_max_f32_e32 v6, v6, v22
	;; [unrolled: 3-line block ×3, first 2 shown]
	s_waitcnt lgkmcnt(0)
	v_max_f32_e32 v22, v24, v24
	v_sub_f32_e32 v19, v19, v7
	v_max_f32_e32 v4, v4, v22
	v_mul_f32_e32 v22, 0x3fb8aa3b, v19
	v_fma_f32 v23, v19, s69, -v22
	v_rndne_f32_e32 v24, v22
	v_fmac_f32_e32 v23, 0x32a5705f, v19
	v_sub_f32_e32 v22, v22, v24
	v_add_f32_e32 v22, v22, v23
	v_exp_f32_e32 v22, v22
	v_cvt_i32_f32_e32 v23, v24
	v_sub_f32_e32 v18, v18, v6
	v_cmp_ngt_f32_e64 s[10:11], s72, v19
	v_sub_f32_e32 v17, v17, v5
	v_ldexp_f32 v22, v22, v23
	v_mul_f32_e32 v23, 0x3fb8aa3b, v18
	v_fma_f32 v24, v18, s69, -v23
	v_rndne_f32_e32 v25, v23
	v_fmac_f32_e32 v24, 0x32a5705f, v18
	v_sub_f32_e32 v23, v23, v25
	v_add_f32_e32 v23, v23, v24
	v_exp_f32_e32 v23, v23
	v_cvt_i32_f32_e32 v24, v25
	v_cndmask_b32_e64 v22, 0, v22, s[10:11]
	v_cmp_nlt_f32_e64 s[10:11], s73, v19
	v_sub_f32_e32 v16, v16, v4
	v_ldexp_f32 v19, v23, v24
	v_cndmask_b32_e64 v151, v174, v22, s[10:11]
	v_mul_f32_e32 v22, 0x3fb8aa3b, v17
	v_fma_f32 v23, v17, s69, -v22
	v_rndne_f32_e32 v24, v22
	v_fmac_f32_e32 v23, 0x32a5705f, v17
	v_sub_f32_e32 v22, v22, v24
	v_add_f32_e32 v22, v22, v23
	v_exp_f32_e32 v22, v22
	v_cvt_i32_f32_e32 v23, v24
	v_cmp_ngt_f32_e64 s[10:11], s72, v18
	v_cvt_f16_f32_e32 v24, v148
	s_nop 0
	v_cndmask_b32_e64 v19, 0, v19, s[10:11]
	v_cmp_nlt_f32_e64 s[10:11], s73, v18
	v_ldexp_f32 v18, v22, v23
	s_nop 0
	v_cndmask_b32_e64 v150, v174, v19, s[10:11]
	v_mul_f32_e32 v19, 0x3fb8aa3b, v16
	v_fma_f32 v22, v16, s69, -v19
	v_rndne_f32_e32 v23, v19
	v_fmac_f32_e32 v22, 0x32a5705f, v16
	v_sub_f32_e32 v19, v19, v23
	v_add_f32_e32 v19, v19, v22
	v_exp_f32_e32 v19, v19
	v_cvt_i32_f32_e32 v22, v23
	v_cmp_ngt_f32_e64 s[10:11], s72, v17
	v_cvt_f16_f32_e32 v23, v146
	s_nop 0
	v_cndmask_b32_e64 v18, 0, v18, s[10:11]
	v_cmp_nlt_f32_e64 s[10:11], s73, v17
	v_ldexp_f32 v17, v19, v22
	s_nop 0
	v_cndmask_b32_e64 v153, v174, v18, s[10:11]
	v_cmp_ngt_f32_e64 s[10:11], s72, v16
	v_cvt_f16_f32_e32 v18, v150
	s_nop 0
	v_cndmask_b32_e64 v17, 0, v17, s[10:11]
	v_cmp_nlt_f32_e64 s[10:11], s73, v16
	v_cvt_f16_f32_e32 v16, v153
	s_nop 0
	v_cndmask_b32_e64 v152, v174, v17, s[10:11]
	v_cvt_f16_f32_e32 v17, v151
	v_cvt_f16_f32_e32 v22, v152
	s_mul_hi_i32 s11, s47, s54
	s_mul_i32 s10, s47, s54
	s_lshl_b64 s[10:11], s[10:11], 2
	s_add_u32 s10, s64, s10
	v_pack_b32_f16 v19, v18, v17
	v_pack_b32_f16 v18, v22, v16
	;; [unrolled: 1-line block ×4, first 2 shown]
	s_addc_u32 s11, s65, s11
	ds_write_b128 v173, v[16:19]
	s_and_saveexec_b64 s[12:13], s[6:7]
	s_cbranch_execz .LBB0_21
; %bb.20:                               ;   in Loop: Header=BB0_11 Depth=1
	v_lshl_add_u64 v[16:17], v[140:141], 2, s[10:11]
	v_mov_b32_e32 v163, v133
	v_lshl_add_u64 v[16:17], v[16:17], 0, v[162:163]
	global_load_dwordx4 v[16:19], v[16:17], off offset:128
	s_waitcnt vmcnt(0)
	ds_write_b128 v171, v[16:19]
.LBB0_21:                               ;   in Loop: Header=BB0_11 Depth=1
	s_or_b64 exec, exec, s[12:13]
	v_lshlrev_b32_e32 v164, 2, v142
	s_and_saveexec_b64 s[12:13], s[8:9]
	s_cbranch_execz .LBB0_23
; %bb.22:                               ;   in Loop: Header=BB0_11 Depth=1
	v_lshl_add_u64 v[16:17], v[144:145], 2, s[10:11]
	v_mov_b32_e32 v165, v133
	v_lshl_add_u64 v[16:17], v[16:17], 0, v[164:165]
	global_load_dwordx4 v[16:19], v[16:17], off
	s_waitcnt vmcnt(0)
	ds_write_b128 v172, v[16:19]
.LBB0_23:                               ;   in Loop: Header=BB0_11 Depth=1
	s_or_b64 exec, exec, s[12:13]
	v_add_u32_e32 v183, 0x3800, v170
	s_waitcnt lgkmcnt(0)
	s_barrier
	ds_read2_b64 v[92:95], v183 offset1:20
	ds_read_b128 v[100:103], v169
	ds_read_b128 v[96:99], v169 offset:16
	ds_read_b128 v[88:91], v169 offset:32
	;; [unrolled: 1-line block ×3, first 2 shown]
	ds_read2_b64 v[84:87], v183 offset0:40 offset1:60
	ds_read2_b64 v[68:71], v183 offset0:80 offset1:100
	ds_read_b128 v[76:79], v169 offset:64
	ds_read_b128 v[72:75], v169 offset:80
	ds_read2_b64 v[56:59], v183 offset0:120 offset1:140
	ds_read_b128 v[64:67], v169 offset:96
	ds_read_b128 v[60:63], v169 offset:112
	;; [unrolled: 3-line block ×4, first 2 shown]
	v_add_u32_e32 v182, 0x3c00, v170
	v_add_u32_e32 v181, 0x4000, v170
	v_pk_add_f32 v[154:155], v[8:9], v[0:1] neg_lo:[0,1] neg_hi:[0,1]
	v_pk_add_f32 v[156:157], v[14:15], v[2:3] neg_lo:[0,1] neg_hi:[0,1]
	;; [unrolled: 1-line block ×4, first 2 shown]
	ds_read2_b64 v[20:23], v182 offset0:112 offset1:132
	ds_read_b128 v[28:31], v169 offset:192
	ds_read_b128 v[24:27], v169 offset:208
	ds_read2_b64 v[8:11], v181 offset0:24 offset1:44
	ds_read_b128 v[16:19], v169 offset:224
	ds_read_b128 v[12:15], v169 offset:240
	s_or_b32 s50, s47, 16
	s_mul_hi_i32 s51, s50, s54
	s_mul_i32 s50, s50, s54
	s_lshl_b64 s[50:51], s[50:51], 2
	s_add_u32 s50, s64, s50
	v_cmp_ngt_f32_e64 s[40:41], s72, v155
	v_cmp_nlt_f32_e64 s[42:43], s73, v155
	v_cmp_ngt_f32_e64 s[36:37], s72, v154
	v_cmp_nlt_f32_e64 s[38:39], s73, v154
	v_cmp_ngt_f32_e64 s[30:31], s72, v157
	v_cmp_nlt_f32_e64 s[34:35], s73, v157
	v_cmp_ngt_f32_e64 s[26:27], s72, v156
	v_cmp_nlt_f32_e64 s[28:29], s73, v156
	v_cmp_ngt_f32_e64 s[22:23], s72, v159
	v_cmp_nlt_f32_e64 s[24:25], s73, v159
	v_cmp_ngt_f32_e64 s[18:19], s72, v158
	v_cmp_nlt_f32_e64 s[20:21], s73, v158
	v_cmp_ngt_f32_e64 s[14:15], s72, v161
	v_cmp_nlt_f32_e64 s[16:17], s73, v161
	v_cmp_ngt_f32_e64 s[10:11], s72, v160
	v_cmp_nlt_f32_e64 s[12:13], s73, v160
	s_addc_u32 s51, s65, s51
	s_waitcnt lgkmcnt(0)
	s_barrier
	s_and_saveexec_b64 s[52:53], s[6:7]
	s_cbranch_execz .LBB0_25
; %bb.24:                               ;   in Loop: Header=BB0_11 Depth=1
	v_lshl_add_u64 v[184:185], v[140:141], 2, s[50:51]
	v_mov_b32_e32 v163, v133
	v_lshl_add_u64 v[162:163], v[184:185], 0, v[162:163]
	global_load_dwordx4 v[184:187], v[162:163], off offset:128
	s_waitcnt vmcnt(0)
	ds_write_b128 v171, v[184:187]
.LBB0_25:                               ;   in Loop: Header=BB0_11 Depth=1
	s_or_b64 exec, exec, s[52:53]
	s_and_saveexec_b64 s[52:53], s[8:9]
	s_cbranch_execz .LBB0_27
; %bb.26:                               ;   in Loop: Header=BB0_11 Depth=1
	v_lshl_add_u64 v[162:163], v[144:145], 2, s[50:51]
	v_mov_b32_e32 v165, v133
	v_lshl_add_u64 v[162:163], v[162:163], 0, v[164:165]
	global_load_dwordx4 v[162:165], v[162:163], off
	s_waitcnt vmcnt(0)
	ds_write_b128 v172, v[162:165]
.LBB0_27:                               ;   in Loop: Header=BB0_11 Depth=1
	s_or_b64 exec, exec, s[52:53]
	v_mul_f32_e32 v162, 0x3fb8aa3b, v155
	v_fma_f32 v163, v155, s69, -v162
	v_fmac_f32_e32 v163, 0x32a5705f, v155
	v_rndne_f32_e32 v155, v162
	v_sub_f32_e32 v162, v162, v155
	v_add_f32_e32 v162, v162, v163
	v_mul_f32_e32 v163, 0x3fb8aa3b, v154
	v_fma_f32 v164, v154, s69, -v163
	v_fmac_f32_e32 v164, 0x32a5705f, v154
	v_rndne_f32_e32 v154, v163
	v_sub_f32_e32 v163, v163, v154
	v_exp_f32_e32 v162, v162
	v_cvt_i32_f32_e32 v155, v155
	v_add_f32_e32 v163, v163, v164
	v_exp_f32_e32 v163, v163
	v_cvt_i32_f32_e32 v154, v154
	v_ldexp_f32 v155, v162, v155
	v_mul_f32_e32 v162, 0x3fb8aa3b, v157
	v_cndmask_b32_e64 v155, 0, v155, s[40:41]
	v_ldexp_f32 v154, v163, v154
	v_fma_f32 v163, v157, s69, -v162
	v_fmac_f32_e32 v163, 0x32a5705f, v157
	v_rndne_f32_e32 v157, v162
	v_sub_f32_e32 v162, v162, v157
	v_add_f32_e32 v162, v162, v163
	v_mul_f32_e32 v163, 0x3fb8aa3b, v156
	v_fma_f32 v164, v156, s69, -v163
	v_fmac_f32_e32 v164, 0x32a5705f, v156
	v_rndne_f32_e32 v156, v163
	v_sub_f32_e32 v163, v163, v156
	v_exp_f32_e32 v162, v162
	v_cvt_i32_f32_e32 v157, v157
	v_add_f32_e32 v163, v163, v164
	v_exp_f32_e32 v163, v163
	v_cvt_i32_f32_e32 v156, v156
	v_ldexp_f32 v157, v162, v157
	v_mul_f32_e32 v162, 0x3fb8aa3b, v159
	v_cndmask_b32_e64 v154, 0, v154, s[36:37]
	v_ldexp_f32 v156, v163, v156
	;; [unrolled: 19-line block ×3, first 2 shown]
	v_fma_f32 v163, v161, s69, -v162
	v_fmac_f32_e32 v163, 0x32a5705f, v161
	v_rndne_f32_e32 v161, v162
	v_sub_f32_e32 v162, v162, v161
	v_add_f32_e32 v162, v162, v163
	v_mul_f32_e32 v163, 0x3fb8aa3b, v160
	v_exp_f32_e32 v162, v162
	v_cvt_i32_f32_e32 v161, v161
	v_fma_f32 v164, v160, s69, -v163
	v_fmac_f32_e32 v164, 0x32a5705f, v160
	v_rndne_f32_e32 v160, v163
	v_sub_f32_e32 v163, v163, v160
	v_add_f32_e32 v163, v163, v164
	v_exp_f32_e32 v163, v163
	v_cvt_i32_f32_e32 v160, v160
	v_ldexp_f32 v161, v162, v161
	v_cvt_f16_f32_e32 v162, v154
	v_cndmask_b32_e64 v156, 0, v156, s[26:27]
	v_cndmask_b32_e64 v155, v174, v155, s[42:43]
	;; [unrolled: 1-line block ×3, first 2 shown]
	v_ldexp_f32 v160, v163, v160
	v_cvt_f16_f32_e32 v163, v155
	v_pk_mul_f16 v137, v162, v137 op_sel_hi:[0,1]
	v_pk_mul_f16 v120, v162, v120 op_sel_hi:[0,1]
	v_cvt_f16_f32_e32 v162, v156
	v_cndmask_b32_e64 v157, 0, v157, s[30:31]
	v_cndmask_b32_e64 v158, 0, v158, s[18:19]
	;; [unrolled: 1-line block ×4, first 2 shown]
	v_pk_mul_f16 v121, v163, v121 op_sel_hi:[0,1]
	v_pk_mul_f16 v118, v163, v118 op_sel_hi:[0,1]
	v_cvt_f16_f32_e32 v163, v157
	v_pk_mul_f16 v119, v162, v119 op_sel_hi:[0,1]
	v_pk_mul_f16 v116, v162, v116 op_sel_hi:[0,1]
	v_cvt_f16_f32_e32 v162, v158
	v_cndmask_b32_e64 v159, 0, v159, s[22:23]
	v_cndmask_b32_e64 v161, 0, v161, s[14:15]
	;; [unrolled: 1-line block ×6, first 2 shown]
	v_pk_mul_f16 v117, v163, v117 op_sel_hi:[0,1]
	v_pk_mul_f16 v114, v163, v114 op_sel_hi:[0,1]
	v_cvt_f16_f32_e32 v163, v159
	v_pk_mul_f16 v115, v162, v115 op_sel_hi:[0,1]
	v_pk_mul_f16 v112, v162, v112 op_sel_hi:[0,1]
	v_cvt_f16_f32_e32 v162, v160
	v_cvt_f16_f32_e32 v164, v161
	v_pk_mul_f16 v113, v163, v113 op_sel_hi:[0,1]
	v_pk_mul_f16 v110, v163, v110 op_sel_hi:[0,1]
	;; [unrolled: 1-line block ×6, first 2 shown]
	v_pk_fma_f16 v137, v92, v100, v137 op_sel_hi:[1,0,1]
	v_pk_fma_f16 v121, v92, v100, v121 op_sel:[0,1,0]
	v_pk_fma_f16 v119, v92, v101, v119 op_sel_hi:[1,0,1]
	v_pk_fma_f16 v117, v92, v101, v117 op_sel:[0,1,0]
	;; [unrolled: 2-line block ×128, first 2 shown]
	s_waitcnt lgkmcnt(0)
	s_barrier
	ds_read2_b64 v[8:11], v183 offset1:20
	ds_read_b128 v[12:15], v169 offset:256
	ds_read_b128 v[16:19], v169 offset:272
	;; [unrolled: 1-line block ×4, first 2 shown]
	v_pk_fma_f32 v[128:129], v[128:129], v[154:155], v[148:149]
	v_pk_fma_f32 v[126:127], v[126:127], v[156:157], v[146:147]
	v_pk_fma_f32 v[124:125], v[124:125], v[158:159], v[152:153]
	s_waitcnt lgkmcnt(3)
	v_pk_fma_f16 v28, v8, v12, v28 op_sel_hi:[1,0,1]
	v_pk_fma_f16 v29, v8, v12, v29 op_sel:[0,1,0]
	v_pk_fma_f16 v30, v8, v13, v30 op_sel_hi:[1,0,1]
	v_pk_fma_f16 v31, v8, v13, v31 op_sel:[0,1,0]
	;; [unrolled: 2-line block ×8, first 2 shown]
	s_waitcnt lgkmcnt(2)
	v_pk_fma_f16 v28, v10, v16, v28 op_sel_hi:[1,0,1]
	v_pk_fma_f16 v29, v10, v16, v29 op_sel:[0,1,0]
	v_pk_fma_f16 v30, v10, v17, v30 op_sel_hi:[1,0,1]
	v_pk_fma_f16 v31, v10, v17, v31 op_sel:[0,1,0]
	;; [unrolled: 2-line block ×6, first 2 shown]
	ds_read2_b64 v[12:15], v183 offset0:40 offset1:60
	v_pk_fma_f16 v36, v11, v18, v37 op_sel_hi:[1,0,1]
	v_pk_fma_f16 v18, v11, v18, v38 op_sel:[0,1,0]
	v_pk_fma_f16 v37, v11, v19, v39 op_sel_hi:[1,0,1]
	v_pk_fma_f16 v9, v11, v19, v9 op_sel:[0,1,0]
	s_waitcnt lgkmcnt(0)
	v_pk_fma_f16 v11, v12, v20, v28 op_sel_hi:[1,0,1]
	v_pk_fma_f16 v19, v12, v20, v29 op_sel:[0,1,0]
	v_pk_fma_f16 v28, v12, v21, v30 op_sel_hi:[1,0,1]
	v_pk_fma_f16 v29, v12, v21, v31 op_sel:[0,1,0]
	;; [unrolled: 2-line block ×10, first 2 shown]
	v_pk_fma_f16 v34, v14, v27, v8 op_sel:[0,1,0]
	v_pk_fma_f16 v35, v15, v24, v10 op_sel_hi:[1,0,1]
	v_pk_fma_f16 v36, v15, v25, v16 op_sel_hi:[1,0,1]
	v_pk_fma_f16 v25, v15, v25, v17 op_sel:[0,1,0]
	ds_read2_b64 v[8:11], v183 offset0:80 offset1:100
	ds_read_b128 v[16:19], v169 offset:320
	v_pk_fma_f16 v30, v14, v26, v30 op_sel_hi:[1,0,1]
	v_pk_fma_f16 v31, v14, v26, v31 op_sel:[0,1,0]
	v_pk_fma_f16 v32, v14, v27, v32 op_sel_hi:[1,0,1]
	v_pk_fma_f16 v24, v15, v24, v12 op_sel:[0,1,0]
	;; [unrolled: 2-line block ×4, first 2 shown]
	ds_read_b128 v[12:15], v169 offset:336
	s_waitcnt lgkmcnt(1)
	v_pk_fma_f16 v23, v8, v16, v23 op_sel_hi:[1,0,1]
	v_pk_fma_f16 v27, v8, v16, v33 op_sel:[0,1,0]
	v_pk_fma_f16 v28, v8, v17, v28 op_sel_hi:[1,0,1]
	v_pk_fma_f16 v29, v8, v17, v29 op_sel:[0,1,0]
	v_pk_fma_f16 v33, v9, v16, v35 op_sel_hi:[1,0,1]
	v_pk_fma_f16 v16, v9, v16, v24 op_sel:[0,1,0]
	v_pk_fma_f16 v24, v9, v17, v36 op_sel_hi:[1,0,1]
	v_pk_fma_f16 v17, v9, v17, v25 op_sel:[0,1,0]
	v_pk_fma_f16 v20, v9, v18, v20 op_sel_hi:[1,0,1]
	v_pk_fma_f16 v30, v8, v18, v30 op_sel_hi:[1,0,1]
	v_pk_fma_f16 v31, v8, v18, v31 op_sel:[0,1,0]
	v_pk_fma_f16 v32, v8, v19, v32 op_sel_hi:[1,0,1]
	v_pk_fma_f16 v8, v8, v19, v34 op_sel:[0,1,0]
	v_pk_fma_f16 v25, v9, v18, v21 op_sel:[0,1,0]
	v_pk_fma_f16 v34, v9, v19, v22 op_sel_hi:[1,0,1]
	v_pk_fma_f16 v9, v9, v19, v26 op_sel:[0,1,0]
	s_waitcnt lgkmcnt(0)
	v_pk_fma_f16 v26, v10, v12, v23 op_sel_hi:[1,0,1]
	v_pk_fma_f16 v27, v10, v12, v27 op_sel:[0,1,0]
	v_pk_fma_f16 v28, v10, v13, v28 op_sel_hi:[1,0,1]
	v_pk_fma_f16 v29, v10, v13, v29 op_sel:[0,1,0]
	;; [unrolled: 2-line block ×4, first 2 shown]
	v_pk_fma_f16 v36, v11, v14, v20 op_sel_hi:[1,0,1]
	ds_read2_b64 v[16:19], v183 offset0:120 offset1:140
	ds_read_b128 v[20:23], v169 offset:352
	v_pk_fma_f16 v30, v10, v14, v30 op_sel_hi:[1,0,1]
	v_pk_fma_f16 v31, v10, v14, v31 op_sel:[0,1,0]
	v_pk_fma_f16 v32, v10, v15, v32 op_sel_hi:[1,0,1]
	v_pk_fma_f16 v35, v10, v15, v8 op_sel:[0,1,0]
	v_pk_fma_f16 v14, v11, v14, v25 op_sel:[0,1,0]
	v_pk_fma_f16 v25, v11, v15, v34 op_sel_hi:[1,0,1]
	v_pk_fma_f16 v15, v11, v15, v9 op_sel:[0,1,0]
	ds_read_b128 v[8:11], v169 offset:368
	s_waitcnt lgkmcnt(1)
	v_pk_fma_f16 v26, v16, v20, v26 op_sel_hi:[1,0,1]
	v_pk_fma_f16 v27, v16, v20, v27 op_sel:[0,1,0]
	v_pk_fma_f16 v28, v16, v21, v28 op_sel_hi:[1,0,1]
	v_pk_fma_f16 v29, v16, v21, v29 op_sel:[0,1,0]
	v_pk_fma_f16 v30, v16, v22, v30 op_sel_hi:[1,0,1]
	v_pk_fma_f16 v31, v16, v22, v31 op_sel:[0,1,0]
	v_pk_fma_f16 v32, v16, v23, v32 op_sel_hi:[1,0,1]
	v_pk_fma_f16 v16, v16, v23, v35 op_sel:[0,1,0]
	v_pk_fma_f16 v33, v17, v20, v33 op_sel_hi:[1,0,1]
	v_pk_fma_f16 v12, v17, v20, v12 op_sel:[0,1,0]
	v_pk_fma_f16 v20, v17, v21, v24 op_sel_hi:[1,0,1]
	v_pk_fma_f16 v13, v17, v21, v13 op_sel:[0,1,0]
	v_pk_fma_f16 v21, v17, v22, v36 op_sel_hi:[1,0,1]
	v_pk_fma_f16 v24, v17, v22, v14 op_sel:[0,1,0]
	v_pk_fma_f16 v25, v17, v23, v25 op_sel_hi:[1,0,1]
	v_pk_fma_f16 v17, v17, v23, v15 op_sel:[0,1,0]
	s_waitcnt lgkmcnt(0)
	v_pk_fma_f16 v26, v18, v8, v26 op_sel_hi:[1,0,1]
	v_pk_fma_f16 v27, v18, v8, v27 op_sel:[0,1,0]
	v_pk_fma_f16 v28, v18, v9, v28 op_sel_hi:[1,0,1]
	v_pk_fma_f16 v29, v18, v9, v29 op_sel:[0,1,0]
	;; [unrolled: 2-line block ×6, first 2 shown]
	v_pk_fma_f16 v36, v19, v10, v21 op_sel_hi:[1,0,1]
	ds_read2_b64 v[12:15], v183 offset0:160 offset1:180
	ds_read_b128 v[20:23], v169 offset:384
	v_pk_fma_f16 v24, v19, v10, v24 op_sel:[0,1,0]
	v_pk_fma_f16 v25, v19, v11, v25 op_sel_hi:[1,0,1]
	v_pk_fma_f16 v17, v19, v11, v17 op_sel:[0,1,0]
	ds_read_b128 v[8:11], v169 offset:400
	s_waitcnt lgkmcnt(1)
	v_pk_fma_f16 v19, v12, v20, v26 op_sel_hi:[1,0,1]
	v_pk_fma_f16 v26, v12, v20, v27 op_sel:[0,1,0]
	v_pk_fma_f16 v27, v12, v21, v28 op_sel_hi:[1,0,1]
	v_pk_fma_f16 v28, v12, v21, v29 op_sel:[0,1,0]
	v_pk_fma_f16 v29, v12, v22, v30 op_sel_hi:[1,0,1]
	v_pk_fma_f16 v30, v12, v22, v31 op_sel:[0,1,0]
	v_pk_fma_f16 v31, v12, v23, v32 op_sel_hi:[1,0,1]
	v_pk_fma_f16 v12, v12, v23, v16 op_sel:[0,1,0]
	v_pk_fma_f16 v16, v13, v20, v18 op_sel_hi:[1,0,1]
	v_pk_fma_f16 v18, v13, v20, v33 op_sel:[0,1,0]
	v_pk_fma_f16 v20, v13, v21, v34 op_sel_hi:[1,0,1]
	v_pk_fma_f16 v21, v13, v21, v35 op_sel:[0,1,0]
	v_pk_fma_f16 v32, v13, v22, v36 op_sel_hi:[1,0,1]
	v_pk_fma_f16 v24, v13, v22, v24 op_sel:[0,1,0]
	v_pk_fma_f16 v25, v13, v23, v25 op_sel_hi:[1,0,1]
	v_pk_fma_f16 v13, v13, v23, v17 op_sel:[0,1,0]
	s_waitcnt lgkmcnt(0)
	v_pk_fma_f16 v33, v14, v8, v19 op_sel_hi:[1,0,1]
	v_pk_fma_f16 v26, v14, v8, v26 op_sel:[0,1,0]
	v_pk_fma_f16 v27, v14, v9, v27 op_sel_hi:[1,0,1]
	v_pk_fma_f16 v28, v14, v9, v28 op_sel:[0,1,0]
	;; [unrolled: 2-line block ×6, first 2 shown]
	ds_read2_b64 v[16:19], v183 offset0:200 offset1:220
	ds_read_b128 v[20:23], v169 offset:416
	v_pk_fma_f16 v32, v15, v10, v32 op_sel_hi:[1,0,1]
	v_pk_fma_f16 v24, v15, v10, v24 op_sel:[0,1,0]
	v_pk_fma_f16 v25, v15, v11, v25 op_sel_hi:[1,0,1]
	v_pk_fma_f16 v13, v15, v11, v13 op_sel:[0,1,0]
	ds_read_b128 v[8:11], v169 offset:432
	s_waitcnt lgkmcnt(1)
	v_pk_fma_f16 v15, v16, v20, v33 op_sel_hi:[1,0,1]
	v_pk_fma_f16 v26, v16, v20, v26 op_sel:[0,1,0]
	v_pk_fma_f16 v27, v16, v21, v27 op_sel_hi:[1,0,1]
	v_pk_fma_f16 v28, v16, v21, v28 op_sel:[0,1,0]
	;; [unrolled: 2-line block ×8, first 2 shown]
	s_waitcnt lgkmcnt(0)
	v_pk_fma_f16 v33, v18, v8, v15 op_sel_hi:[1,0,1]
	v_pk_fma_f16 v26, v18, v8, v26 op_sel:[0,1,0]
	v_pk_fma_f16 v27, v18, v9, v27 op_sel_hi:[1,0,1]
	v_pk_fma_f16 v28, v18, v9, v28 op_sel:[0,1,0]
	;; [unrolled: 2-line block ×4, first 2 shown]
	v_pk_fma_f16 v34, v19, v8, v14 op_sel_hi:[1,0,1]
	v_pk_fma_f16 v35, v19, v9, v20 op_sel_hi:[1,0,1]
	v_pk_fma_f16 v36, v19, v9, v21 op_sel:[0,1,0]
	ds_read2_b64 v[12:15], v182 offset0:112 offset1:132
	ds_read_b128 v[20:23], v169 offset:448
	v_pk_fma_f16 v16, v19, v8, v16 op_sel:[0,1,0]
	v_pk_fma_f16 v32, v19, v10, v32 op_sel_hi:[1,0,1]
	v_pk_fma_f16 v24, v19, v10, v24 op_sel:[0,1,0]
	v_pk_fma_f16 v25, v19, v11, v25 op_sel_hi:[1,0,1]
	v_pk_fma_f16 v17, v19, v11, v17 op_sel:[0,1,0]
	ds_read_b128 v[8:11], v169 offset:464
	s_waitcnt lgkmcnt(1)
	v_pk_fma_f16 v19, v12, v20, v33 op_sel_hi:[1,0,1]
	v_pk_fma_f16 v26, v12, v20, v26 op_sel:[0,1,0]
	v_pk_fma_f16 v27, v12, v21, v27 op_sel_hi:[1,0,1]
	v_pk_fma_f16 v28, v12, v21, v28 op_sel:[0,1,0]
	;; [unrolled: 2-line block ×8, first 2 shown]
	s_waitcnt lgkmcnt(0)
	v_pk_fma_f16 v33, v14, v8, v19 op_sel_hi:[1,0,1]
	v_pk_fma_f16 v26, v14, v8, v26 op_sel:[0,1,0]
	v_pk_fma_f16 v27, v14, v9, v27 op_sel_hi:[1,0,1]
	v_pk_fma_f16 v28, v14, v9, v28 op_sel:[0,1,0]
	v_pk_fma_f16 v29, v14, v10, v29 op_sel_hi:[1,0,1]
	v_pk_fma_f16 v30, v14, v10, v30 op_sel:[0,1,0]
	v_pk_fma_f16 v31, v14, v11, v31 op_sel_hi:[1,0,1]
	v_pk_fma_f16 v12, v14, v11, v12 op_sel:[0,1,0]
	v_pk_fma_f16 v14, v15, v8, v18 op_sel_hi:[1,0,1]
	v_pk_fma_f16 v34, v15, v8, v16 op_sel:[0,1,0]
	v_pk_fma_f16 v35, v15, v9, v20 op_sel_hi:[1,0,1]
	v_pk_fma_f16 v36, v15, v9, v21 op_sel:[0,1,0]
	v_pk_fma_f16 v32, v15, v10, v32 op_sel_hi:[1,0,1]
	ds_read2_b64 v[16:19], v181 offset0:24 offset1:44
	ds_read_b128 v[20:23], v169 offset:480
	v_pk_fma_f16 v24, v15, v10, v24 op_sel:[0,1,0]
	v_pk_fma_f16 v25, v15, v11, v25 op_sel_hi:[1,0,1]
	v_pk_fma_f16 v13, v15, v11, v13 op_sel:[0,1,0]
	ds_read_b128 v[8:11], v169 offset:496
	s_waitcnt lgkmcnt(0)
	s_barrier
	s_load_dword s10, s[48:49], 0x4
	v_pk_fma_f16 v15, v16, v20, v33 op_sel_hi:[1,0,1]
	v_pk_fma_f16 v26, v16, v20, v26 op_sel:[0,1,0]
	v_pk_fma_f16 v27, v16, v21, v27 op_sel_hi:[1,0,1]
	v_pk_fma_f16 v28, v16, v21, v28 op_sel:[0,1,0]
	s_waitcnt lgkmcnt(0)
	s_lshl_b32 s10, s10, 5
	v_pk_fma_f16 v29, v16, v22, v29 op_sel_hi:[1,0,1]
	v_pk_fma_f16 v30, v16, v22, v30 op_sel:[0,1,0]
	v_pk_fma_f16 v31, v16, v23, v31 op_sel_hi:[1,0,1]
	v_pk_fma_f16 v12, v16, v23, v12 op_sel:[0,1,0]
	;; [unrolled: 2-line block ×6, first 2 shown]
	s_add_i32 s47, s10, s47
	v_pk_fma_f32 v[122:123], v[122:123], v[160:161], v[150:151]
	v_pk_fma_f16 v137, v18, v8, v15 op_sel_hi:[1,0,1]
	v_pk_fma_f16 v121, v18, v8, v26 op_sel:[0,1,0]
	v_pk_fma_f16 v119, v18, v9, v27 op_sel_hi:[1,0,1]
	v_pk_fma_f16 v117, v18, v9, v28 op_sel:[0,1,0]
	;; [unrolled: 2-line block ×7, first 2 shown]
	v_pk_fma_f16 v108, v19, v11, v24 op_sel_hi:[1,0,1]
	s_cmp_ge_i32 s47, s68
	v_pk_fma_f16 v109, v19, v11, v13 op_sel:[0,1,0]
	s_cbranch_scc1 .LBB0_29
; %bb.28:                               ;   in Loop: Header=BB0_11 Depth=1
	v_mov_b32_e32 v8, v0
	v_mov_b32_e32 v9, v1
	v_mov_b32_e32 v14, v2
	v_mov_b32_e32 v15, v3
	v_mov_b32_e32 v12, v4
	v_mov_b32_e32 v13, v5
	v_mov_b32_e32 v10, v6
	v_mov_b32_e32 v11, v7
	s_branch .LBB0_11
.LBB0_29:
	v_cmp_lt_i32_e32 vcc, v179, v175
	s_cmp_lg_u64 s[56:57], 0
	s_cselect_b64 s[4:5], -1, 0
	v_cndmask_b32_e32 v8, v139, v179, vcc
	v_lshlrev_b32_e32 v17, 2, v8
	ds_bpermute_b32 v12, v17, v126
	ds_bpermute_b32 v13, v17, v127
	v_cmp_lt_i32_e32 vcc, v180, v175
	ds_bpermute_b32 v8, v17, v128
	ds_bpermute_b32 v9, v17, v129
	v_cndmask_b32_e32 v10, v139, v180, vcc
	v_cmp_lt_i32_e32 vcc, v177, v175
	v_lshlrev_b32_e32 v23, 2, v10
	s_waitcnt lgkmcnt(2)
	v_pk_add_f32 v[12:13], v[126:127], v[12:13]
	v_cndmask_b32_e32 v10, v139, v177, vcc
	v_cmp_lt_i32_e32 vcc, v178, v175
	ds_bpermute_b32 v15, v23, v13
	v_lshlrev_b32_e32 v24, 2, v10
	v_cndmask_b32_e32 v14, v139, v178, vcc
	v_lshlrev_b32_e32 v25, 2, v14
	ds_bpermute_b32 v14, v23, v12
	ds_bpermute_b32 v18, v17, v122
	;; [unrolled: 1-line block ×3, first 2 shown]
	s_waitcnt lgkmcnt(4)
	v_pk_add_f32 v[8:9], v[128:129], v[8:9]
	v_cmp_lt_i32_e32 vcc, v176, v175
	s_waitcnt lgkmcnt(2)
	v_pk_add_f32 v[12:13], v[12:13], v[14:15]
	ds_bpermute_b32 v14, v24, v12
	ds_bpermute_b32 v15, v24, v13
	s_waitcnt lgkmcnt(2)
	v_pk_add_f32 v[18:19], v[122:123], v[18:19]
	ds_bpermute_b32 v10, v23, v8
	ds_bpermute_b32 v11, v23, v9
	v_cndmask_b32_e32 v16, v139, v176, vcc
	s_waitcnt lgkmcnt(2)
	v_pk_add_f32 v[12:13], v[12:13], v[14:15]
	ds_bpermute_b32 v14, v17, v124
	ds_bpermute_b32 v15, v17, v125
	;; [unrolled: 1-line block ×3, first 2 shown]
	v_lshlrev_b32_e32 v27, 2, v16
	ds_bpermute_b32 v16, v25, v12
	ds_bpermute_b32 v17, v25, v13
	s_waitcnt lgkmcnt(3)
	v_pk_add_f32 v[14:15], v[124:125], v[14:15]
	ds_bpermute_b32 v20, v23, v14
	ds_bpermute_b32 v21, v23, v15
	ds_bpermute_b32 v23, v23, v19
	v_pk_add_f32 v[8:9], v[8:9], v[10:11]
	ds_bpermute_b32 v10, v24, v8
	ds_bpermute_b32 v11, v24, v9
	s_waitcnt lgkmcnt(3)
	v_pk_add_f32 v[14:15], v[14:15], v[20:21]
	s_waitcnt lgkmcnt(2)
	v_pk_add_f32 v[18:19], v[18:19], v[22:23]
	v_pk_add_f32 v[12:13], v[12:13], v[16:17]
	ds_bpermute_b32 v16, v24, v14
	ds_bpermute_b32 v17, v24, v15
	;; [unrolled: 1-line block ×4, first 2 shown]
	s_waitcnt lgkmcnt(4)
	v_pk_add_f32 v[8:9], v[8:9], v[10:11]
	ds_bpermute_b32 v10, v25, v8
	s_waitcnt lgkmcnt(3)
	v_pk_add_f32 v[14:15], v[14:15], v[16:17]
	ds_bpermute_b32 v11, v25, v9
	s_waitcnt lgkmcnt(2)
	v_pk_add_f32 v[18:19], v[18:19], v[20:21]
	ds_bpermute_b32 v16, v25, v14
	ds_bpermute_b32 v17, v25, v15
	ds_bpermute_b32 v20, v25, v18
	;; [unrolled: 1-line block ×3, first 2 shown]
	s_waitcnt lgkmcnt(4)
	v_pk_add_f32 v[8:9], v[8:9], v[10:11]
	ds_bpermute_b32 v10, v27, v8
	s_waitcnt lgkmcnt(3)
	v_pk_add_f32 v[14:15], v[14:15], v[16:17]
	ds_bpermute_b32 v11, v27, v9
	;; [unrolled: 3-line block ×3, first 2 shown]
	ds_bpermute_b32 v23, v27, v13
	ds_bpermute_b32 v16, v27, v14
	;; [unrolled: 1-line block ×5, first 2 shown]
	s_cmp_eq_u32 s3, 0
	s_cselect_b64 s[6:7], -1, 0
	s_and_b64 s[4:5], s[6:7], s[4:5]
	s_waitcnt lgkmcnt(6)
	v_pk_add_f32 v[24:25], v[8:9], v[10:11]
	s_waitcnt lgkmcnt(4)
	v_pk_add_f32 v[22:23], v[12:13], v[22:23]
	;; [unrolled: 2-line block ×4, first 2 shown]
	s_and_b64 vcc, exec, s[4:5]
	s_cbranch_vccz .LBB0_31
; %bb.30:
	s_ashr_i32 s47, s46, 31
	s_lshl_b64 s[4:5], s[46:47], 2
	s_add_u32 s4, s56, s4
	s_addc_u32 s5, s57, s5
	v_mov_b32_e32 v8, 0
	global_load_dwordx4 v[26:29], v8, s[4:5]
	global_load_dwordx4 v[14:17], v8, s[4:5] offset:16
	v_max_f32_e32 v8, v1, v1
	v_max_f32_e32 v10, v0, v0
	;; [unrolled: 1-line block ×3, first 2 shown]
	s_mov_b32 s5, 0x3fb8aa3b
	v_max_f32_e32 v11, v3, v3
	s_mov_b32 s4, 0xc2ce8ed0
	s_mov_b32 s2, 0x42b17218
	v_mov_b32_e32 v30, 0x7f800000
	s_waitcnt vmcnt(1)
	v_max_f32_e32 v9, v27, v27
	v_max_f32_e32 v13, v26, v26
	;; [unrolled: 1-line block ×5, first 2 shown]
	v_pk_add_f32 v[0:1], v[0:1], v[8:9] neg_lo:[0,1] neg_hi:[0,1]
	v_max_f32_e32 v10, v12, v32
	v_pk_add_f32 v[12:13], v[26:27], v[8:9] neg_lo:[0,1] neg_hi:[0,1]
	v_mul_f32_e32 v26, 0x3fb8aa3b, v1
	v_max_f32_e32 v31, v29, v29
	v_mul_f32_e32 v27, 0x3fb8aa3b, v0
	v_fma_f32 v35, v1, s5, -v26
	v_rndne_f32_e32 v36, v26
	v_max_f32_e32 v11, v11, v31
	v_mul_f32_e32 v31, 0x3fb8aa3b, v13
	v_fma_f32 v37, v0, s5, -v27
	v_rndne_f32_e32 v38, v27
	v_fmac_f32_e32 v35, 0x32a5705f, v1
	v_sub_f32_e32 v26, v26, v36
	v_mul_f32_e32 v32, 0x3fb8aa3b, v12
	v_fma_f32 v39, v13, s5, -v31
	v_rndne_f32_e32 v40, v31
	v_fmac_f32_e32 v37, 0x32a5705f, v0
	v_sub_f32_e32 v27, v27, v38
	v_add_f32_e32 v26, v26, v35
	v_fma_f32 v41, v12, s5, -v32
	v_rndne_f32_e32 v42, v32
	v_cvt_i32_f32_e32 v36, v36
	v_fmac_f32_e32 v39, 0x32a5705f, v13
	v_sub_f32_e32 v31, v31, v40
	v_add_f32_e32 v27, v27, v37
	v_exp_f32_e32 v26, v26
	v_cvt_i32_f32_e32 v38, v38
	v_fmac_f32_e32 v41, 0x32a5705f, v12
	v_sub_f32_e32 v32, v32, v42
	v_add_f32_e32 v31, v31, v39
	v_exp_f32_e32 v27, v27
	v_cvt_i32_f32_e32 v40, v40
	v_add_f32_e32 v32, v32, v41
	v_exp_f32_e32 v31, v31
	v_cvt_i32_f32_e32 v42, v42
	v_exp_f32_e32 v32, v32
	v_ldexp_f32 v26, v26, v36
	v_cmp_ngt_f32_e32 vcc, s4, v1
	v_ldexp_f32 v27, v27, v38
	v_pk_add_f32 v[2:3], v[2:3], v[10:11] neg_lo:[0,1] neg_hi:[0,1]
	v_cndmask_b32_e32 v26, 0, v26, vcc
	v_cmp_ngt_f32_e32 vcc, s4, v0
	v_ldexp_f32 v31, v31, v40
	v_mul_f32_e32 v33, 0x3fb8aa3b, v3
	v_cndmask_b32_e32 v27, 0, v27, vcc
	v_cmp_ngt_f32_e32 vcc, s4, v13
	v_ldexp_f32 v32, v32, v42
	v_mul_f32_e32 v34, 0x3fb8aa3b, v2
	v_cndmask_b32_e32 v31, 0, v31, vcc
	v_cmp_ngt_f32_e32 vcc, s4, v12
	v_fma_f32 v43, v3, s5, -v33
	v_rndne_f32_e32 v44, v33
	v_cndmask_b32_e32 v32, 0, v32, vcc
	v_cmp_nlt_f32_e32 vcc, s2, v1
	v_fma_f32 v45, v2, s5, -v34
	v_rndne_f32_e32 v46, v34
	v_fmac_f32_e32 v43, 0x32a5705f, v3
	v_sub_f32_e32 v33, v33, v44
	v_cndmask_b32_e32 v1, v30, v26, vcc
	v_cmp_nlt_f32_e32 vcc, s2, v0
	v_fmac_f32_e32 v45, 0x32a5705f, v2
	v_sub_f32_e32 v34, v34, v46
	v_add_f32_e32 v33, v33, v43
	v_cndmask_b32_e32 v0, v30, v27, vcc
	v_cvt_i32_f32_e32 v44, v44
	v_add_f32_e32 v34, v34, v45
	v_exp_f32_e32 v33, v33
	v_cmp_nlt_f32_e32 vcc, s2, v13
	v_cvt_f16_f32_e32 v26, v0
	v_cvt_i32_f32_e32 v46, v46
	v_exp_f32_e32 v34, v34
	v_cndmask_b32_e32 v13, v30, v31, vcc
	v_cmp_nlt_f32_e32 vcc, s2, v12
	v_cvt_f16_f32_e32 v27, v1
	v_ldexp_f32 v33, v33, v44
	v_cndmask_b32_e32 v12, v30, v32, vcc
	v_pk_fma_f32 v[24:25], v[24:25], v[0:1], v[12:13]
	v_pk_add_f32 v[12:13], v[28:29], v[10:11] neg_lo:[0,1] neg_hi:[0,1]
	v_pk_mul_f16 v137, v26, v137 op_sel_hi:[0,1]
	v_pk_mul_f16 v120, v26, v120 op_sel_hi:[0,1]
	v_cmp_ngt_f32_e32 vcc, s4, v3
	v_mul_f32_e32 v26, 0x3fb8aa3b, v13
	v_pk_mul_f16 v121, v27, v121 op_sel_hi:[0,1]
	v_pk_mul_f16 v118, v27, v118 op_sel_hi:[0,1]
	v_cndmask_b32_e32 v1, 0, v33, vcc
	v_ldexp_f32 v0, v34, v46
	v_cmp_ngt_f32_e32 vcc, s4, v2
	v_fma_f32 v27, v13, s5, -v26
	v_rndne_f32_e32 v28, v26
	v_cndmask_b32_e32 v0, 0, v0, vcc
	v_cmp_nlt_f32_e32 vcc, s2, v2
	v_fmac_f32_e32 v27, 0x32a5705f, v13
	v_sub_f32_e32 v26, v26, v28
	v_cndmask_b32_e32 v0, v30, v0, vcc
	v_add_f32_e32 v26, v26, v27
	v_cvt_f16_f32_e32 v2, v0
	v_exp_f32_e32 v26, v26
	v_cvt_i32_f32_e32 v27, v28
	v_cmp_nlt_f32_e32 vcc, s2, v3
	v_mul_f32_e32 v3, 0x3fb8aa3b, v12
	v_pk_mul_f16 v119, v2, v119 op_sel_hi:[0,1]
	v_pk_mul_f16 v116, v2, v116 op_sel_hi:[0,1]
	v_ldexp_f32 v2, v26, v27
	v_fma_f32 v26, v12, s5, -v3
	v_rndne_f32_e32 v27, v3
	v_fmac_f32_e32 v26, 0x32a5705f, v12
	v_sub_f32_e32 v3, v3, v27
	v_add_f32_e32 v3, v3, v26
	v_exp_f32_e32 v26, v3
	v_cvt_i32_f32_e32 v27, v27
	v_cndmask_b32_e32 v1, v30, v1, vcc
	v_cmp_ngt_f32_e32 vcc, s4, v13
	s_nop 1
	v_cndmask_b32_e32 v2, 0, v2, vcc
	v_cmp_nlt_f32_e32 vcc, s2, v13
	v_cvt_f16_f32_e32 v13, v1
	v_pk_mul_f16 v117, v13, v117 op_sel_hi:[0,1]
	v_cndmask_b32_e32 v3, v30, v2, vcc
	v_ldexp_f32 v2, v26, v27
	v_cmp_ngt_f32_e32 vcc, s4, v12
	v_pk_mul_f16 v114, v13, v114 op_sel_hi:[0,1]
	s_nop 0
	v_cndmask_b32_e32 v2, 0, v2, vcc
	v_cmp_nlt_f32_e32 vcc, s2, v12
	s_nop 1
	v_cndmask_b32_e32 v2, v30, v2, vcc
	v_pk_fma_f32 v[22:23], v[22:23], v[0:1], v[2:3]
	s_waitcnt vmcnt(0)
	v_max_f32_e32 v0, v15, v15
	v_max_f32_e32 v1, v5, v5
	v_max_f32_e32 v13, v1, v0
	v_max_f32_e32 v0, v14, v14
	v_max_f32_e32 v1, v4, v4
	v_max_f32_e32 v12, v1, v0
	v_pk_add_f32 v[0:1], v[4:5], v[12:13] neg_lo:[0,1] neg_hi:[0,1]
	s_nop 0
	v_mul_f32_e32 v2, 0x3fb8aa3b, v1
	v_fma_f32 v3, v1, s5, -v2
	v_rndne_f32_e32 v4, v2
	v_fmac_f32_e32 v3, 0x32a5705f, v1
	v_sub_f32_e32 v2, v2, v4
	v_add_f32_e32 v2, v2, v3
	v_cvt_i32_f32_e32 v3, v4
	v_mul_f32_e32 v4, 0x3fb8aa3b, v0
	v_fma_f32 v5, v0, s5, -v4
	v_rndne_f32_e32 v26, v4
	v_fmac_f32_e32 v5, 0x32a5705f, v0
	v_sub_f32_e32 v4, v4, v26
	v_exp_f32_e32 v2, v2
	v_add_f32_e32 v4, v4, v5
	v_exp_f32_e32 v4, v4
	v_cvt_i32_f32_e32 v5, v26
	v_ldexp_f32 v2, v2, v3
	v_cmp_ngt_f32_e32 vcc, s4, v1
	s_nop 1
	v_cndmask_b32_e32 v26, 0, v2, vcc
	v_ldexp_f32 v2, v4, v5
	v_cmp_ngt_f32_e32 vcc, s4, v0
	s_nop 1
	v_cndmask_b32_e32 v2, 0, v2, vcc
	v_cmp_nlt_f32_e32 vcc, s2, v0
	s_nop 1
	v_cndmask_b32_e32 v0, v30, v2, vcc
	v_pk_add_f32 v[2:3], v[14:15], v[12:13] neg_lo:[0,1] neg_hi:[0,1]
	v_cvt_f16_f32_e32 v4, v0
	v_mul_f32_e32 v5, 0x3fb8aa3b, v3
	v_fma_f32 v14, v3, s5, -v5
	v_rndne_f32_e32 v15, v5
	v_fmac_f32_e32 v14, 0x32a5705f, v3
	v_sub_f32_e32 v5, v5, v15
	v_add_f32_e32 v5, v5, v14
	v_exp_f32_e32 v5, v5
	v_cvt_i32_f32_e32 v14, v15
	v_pk_mul_f16 v115, v4, v115 op_sel_hi:[0,1]
	v_pk_mul_f16 v112, v4, v112 op_sel_hi:[0,1]
	v_cmp_nlt_f32_e32 vcc, s2, v1
	v_ldexp_f32 v4, v5, v14
	v_mul_f32_e32 v5, 0x3fb8aa3b, v2
	v_fma_f32 v14, v2, s5, -v5
	v_rndne_f32_e32 v15, v5
	v_fmac_f32_e32 v14, 0x32a5705f, v2
	v_sub_f32_e32 v5, v5, v15
	v_add_f32_e32 v5, v5, v14
	v_exp_f32_e32 v5, v5
	v_cvt_i32_f32_e32 v14, v15
	v_cndmask_b32_e32 v1, v30, v26, vcc
	v_cmp_ngt_f32_e32 vcc, s4, v3
	s_nop 1
	v_cndmask_b32_e32 v4, 0, v4, vcc
	v_cmp_nlt_f32_e32 vcc, s2, v3
	s_nop 1
	v_cndmask_b32_e32 v3, v30, v4, vcc
	v_ldexp_f32 v4, v5, v14
	v_cmp_ngt_f32_e32 vcc, s4, v2
	v_cvt_f16_f32_e32 v5, v1
	v_pk_mul_f16 v113, v5, v113 op_sel_hi:[0,1]
	v_cndmask_b32_e32 v4, 0, v4, vcc
	v_cmp_nlt_f32_e32 vcc, s2, v2
	v_pk_mul_f16 v110, v5, v110 op_sel_hi:[0,1]
	s_nop 0
	v_cndmask_b32_e32 v2, v30, v4, vcc
	v_pk_fma_f32 v[20:21], v[20:21], v[0:1], v[2:3]
	v_max_f32_e32 v0, v17, v17
	v_max_f32_e32 v1, v7, v7
	;; [unrolled: 1-line block ×6, first 2 shown]
	v_pk_add_f32 v[0:1], v[6:7], v[14:15] neg_lo:[0,1] neg_hi:[0,1]
	s_nop 0
	v_mul_f32_e32 v2, 0x3fb8aa3b, v1
	v_fma_f32 v3, v1, s5, -v2
	v_rndne_f32_e32 v4, v2
	v_fmac_f32_e32 v3, 0x32a5705f, v1
	v_sub_f32_e32 v2, v2, v4
	v_add_f32_e32 v2, v2, v3
	v_cvt_i32_f32_e32 v3, v4
	v_mul_f32_e32 v4, 0x3fb8aa3b, v0
	v_fma_f32 v5, v0, s5, -v4
	v_rndne_f32_e32 v6, v4
	v_fmac_f32_e32 v5, 0x32a5705f, v0
	v_sub_f32_e32 v4, v4, v6
	v_exp_f32_e32 v2, v2
	v_add_f32_e32 v4, v4, v5
	v_exp_f32_e32 v4, v4
	v_cvt_i32_f32_e32 v5, v6
	v_ldexp_f32 v2, v2, v3
	v_cmp_ngt_f32_e32 vcc, s4, v1
	s_nop 1
	v_cndmask_b32_e32 v6, 0, v2, vcc
	v_ldexp_f32 v2, v4, v5
	v_cmp_ngt_f32_e32 vcc, s4, v0
	s_nop 1
	v_cndmask_b32_e32 v2, 0, v2, vcc
	v_cmp_nlt_f32_e32 vcc, s2, v0
	s_nop 1
	v_cndmask_b32_e32 v0, v30, v2, vcc
	v_pk_add_f32 v[2:3], v[16:17], v[14:15] neg_lo:[0,1] neg_hi:[0,1]
	v_cvt_f16_f32_e32 v4, v0
	v_mul_f32_e32 v5, 0x3fb8aa3b, v3
	v_fma_f32 v7, v3, s5, -v5
	v_rndne_f32_e32 v16, v5
	v_fmac_f32_e32 v7, 0x32a5705f, v3
	v_sub_f32_e32 v5, v5, v16
	v_add_f32_e32 v5, v5, v7
	v_exp_f32_e32 v5, v5
	v_cvt_i32_f32_e32 v7, v16
	v_cmp_nlt_f32_e32 vcc, s2, v1
	v_pk_mul_f16 v111, v4, v111 op_sel_hi:[0,1]
	v_pk_mul_f16 v108, v4, v108 op_sel_hi:[0,1]
	v_ldexp_f32 v4, v5, v7
	v_mul_f32_e32 v5, 0x3fb8aa3b, v2
	v_cndmask_b32_e32 v1, v30, v6, vcc
	v_fma_f32 v6, v2, s5, -v5
	v_rndne_f32_e32 v7, v5
	v_fmac_f32_e32 v6, 0x32a5705f, v2
	v_sub_f32_e32 v5, v5, v7
	v_add_f32_e32 v5, v5, v6
	v_exp_f32_e32 v5, v5
	v_cvt_i32_f32_e32 v6, v7
	v_cmp_ngt_f32_e32 vcc, s4, v3
	s_nop 1
	v_cndmask_b32_e32 v4, 0, v4, vcc
	v_cmp_nlt_f32_e32 vcc, s2, v3
	s_nop 1
	v_cndmask_b32_e32 v3, v30, v4, vcc
	v_ldexp_f32 v4, v5, v6
	v_cvt_f16_f32_e32 v5, v1
	v_cmp_ngt_f32_e32 vcc, s4, v2
	v_pk_mul_f16 v107, v5, v107 op_sel_hi:[0,1]
	s_nop 0
	v_cndmask_b32_e32 v4, 0, v4, vcc
	v_cmp_nlt_f32_e32 vcc, s2, v2
	v_pk_mul_f16 v109, v5, v109 op_sel_hi:[0,1]
	s_nop 0
	v_cndmask_b32_e32 v2, v30, v4, vcc
	v_pk_fma_f32 v[18:19], v[18:19], v[0:1], v[2:3]
	v_mov_b64_e32 v[0:1], v[8:9]
	v_mov_b64_e32 v[2:3], v[10:11]
	;; [unrolled: 1-line block ×4, first 2 shown]
.LBB0_31:
	v_cmp_gt_i32_e32 vcc, s66, v105
	s_and_saveexec_b64 s[4:5], vcc
	s_cbranch_execz .LBB0_60
; %bb.32:
	s_load_dword s2, s[0:1], 0xd4
	v_mov_b32_e32 v10, 1.0
	s_waitcnt lgkmcnt(0)
	s_cmp_lg_u32 s2, 1
	s_cselect_b64 s[0:1], -1, 0
	s_cmp_eq_u32 s2, 1
	s_cselect_b64 s[6:7], -1, 0
	s_and_b64 vcc, exec, s[0:1]
	s_cbranch_vccnz .LBB0_34
; %bb.33:
	v_div_scale_f32 v8, s[4:5], v24, v24, 1.0
	v_rcp_f32_e32 v9, v8
	v_div_scale_f32 v10, vcc, 1.0, v24, 1.0
	v_fma_f32 v11, -v8, v9, 1.0
	v_fmac_f32_e32 v9, v11, v9
	v_mul_f32_e32 v11, v10, v9
	v_fma_f32 v12, -v8, v11, v10
	v_fmac_f32_e32 v11, v12, v9
	v_fma_f32 v8, -v8, v11, v10
	v_div_fmas_f32 v8, v8, v9, v11
	v_div_fixup_f32 v10, v8, v24, 1.0
.LBB0_34:
	s_mul_i32 s33, s33, s66
	v_add_u32_e32 v8, s33, v105
	v_mul_lo_u32 v8, v8, s67
	v_add_u32_e32 v8, s46, v8
	v_mul_lo_u32 v11, s2, v8
	v_add_u32_e32 v8, s3, v11
	s_and_saveexec_b64 s[4:5], s[44:45]
	s_cbranch_execz .LBB0_36
; %bb.35:
	v_cvt_f32_f16_sdwa v15, v137 dst_sel:DWORD dst_unused:UNUSED_PAD src0_sel:WORD_1
	v_cvt_f32_f16_e32 v14, v137
	v_cvt_f32_f16_sdwa v17, v120 dst_sel:DWORD dst_unused:UNUSED_PAD src0_sel:WORD_1
	v_cvt_f32_f16_e32 v16, v120
	s_movk_i32 s8, 0x50
	v_mad_u64_u32 v[12:13], s[8:9], v8, s8, v[104:105]
	v_mov_b32_e32 v13, 0
	v_lshl_add_u64 v[26:27], v[12:13], 2, s[60:61]
	v_pk_mul_f32 v[12:13], v[10:11], v[14:15] op_sel_hi:[0,1]
	v_pk_mul_f32 v[14:15], v[10:11], v[16:17] op_sel_hi:[0,1]
	global_store_dwordx4 v[26:27], v[12:15], off
.LBB0_36:
	s_or_b64 exec, exec, s[4:5]
	v_cmp_eq_u32_e32 vcc, 0, v106
	s_and_b64 s[4:5], vcc, s[0:1]
	s_and_saveexec_b64 s[0:1], s[4:5]
	s_cbranch_execz .LBB0_38
; %bb.37:
	v_ashrrev_i32_e32 v9, 31, v8
	v_lshl_add_u64 v[8:9], v[8:9], 3, s[62:63]
	v_mov_b32_e32 v12, v0
	v_mov_b32_e32 v13, v24
	global_store_dwordx2 v[8:9], v[12:13], off
.LBB0_38:
	s_or_b64 exec, exec, s[0:1]
	v_cndmask_b32_e64 v0, 0, 1, s[6:7]
	v_cmp_ne_u32_e64 s[0:1], 1, v0
	s_andn2_b64 vcc, exec, s[6:7]
	v_mov_b32_e32 v0, 1.0
	s_cbranch_vccz .LBB0_61
; %bb.39:
	v_add_u32_e32 v10, s2, v11
	v_add_u32_e32 v8, s3, v10
	s_and_saveexec_b64 s[6:7], s[44:45]
	s_cbranch_execnz .LBB0_62
.LBB0_40:
	s_or_b64 exec, exec, s[6:7]
	s_and_saveexec_b64 s[6:7], s[4:5]
	s_cbranch_execnz .LBB0_63
.LBB0_41:
	s_or_b64 exec, exec, s[6:7]
	s_and_b64 vcc, exec, s[0:1]
	v_mov_b32_e32 v8, 1.0
	s_cbranch_vccz .LBB0_64
.LBB0_42:
	v_add_u32_e32 v9, s2, v10
	v_add_u32_e32 v0, s3, v9
	s_and_saveexec_b64 s[6:7], s[44:45]
	s_cbranch_execnz .LBB0_65
.LBB0_43:
	s_or_b64 exec, exec, s[6:7]
	s_and_saveexec_b64 s[6:7], s[4:5]
	s_cbranch_execnz .LBB0_66
.LBB0_44:
	s_or_b64 exec, exec, s[6:7]
	s_and_b64 vcc, exec, s[0:1]
	v_mov_b32_e32 v2, 1.0
	s_cbranch_vccz .LBB0_67
.LBB0_45:
	v_add_u32_e32 v8, s2, v9
	v_add_u32_e32 v0, s3, v8
	s_and_saveexec_b64 s[6:7], s[44:45]
	s_cbranch_execnz .LBB0_68
.LBB0_46:
	s_or_b64 exec, exec, s[6:7]
	s_and_saveexec_b64 s[6:7], s[4:5]
	s_cbranch_execnz .LBB0_69
.LBB0_47:
	s_or_b64 exec, exec, s[6:7]
	s_and_b64 vcc, exec, s[0:1]
	v_mov_b32_e32 v2, 1.0
	s_cbranch_vccz .LBB0_70
.LBB0_48:
	v_add_u32_e32 v3, s2, v8
	v_add_u32_e32 v0, s3, v3
	s_and_saveexec_b64 s[6:7], s[44:45]
	s_cbranch_execnz .LBB0_71
.LBB0_49:
	s_or_b64 exec, exec, s[6:7]
	s_and_saveexec_b64 s[6:7], s[4:5]
	s_cbranch_execnz .LBB0_72
.LBB0_50:
	s_or_b64 exec, exec, s[6:7]
	s_and_b64 vcc, exec, s[0:1]
	v_mov_b32_e32 v2, 1.0
	s_cbranch_vccz .LBB0_73
.LBB0_51:
	v_add_u32_e32 v3, s2, v3
	v_add_u32_e32 v0, s3, v3
	s_and_saveexec_b64 s[6:7], s[44:45]
	s_cbranch_execnz .LBB0_74
.LBB0_52:
	s_or_b64 exec, exec, s[6:7]
	s_and_saveexec_b64 s[6:7], s[4:5]
	s_cbranch_execnz .LBB0_75
.LBB0_53:
	s_or_b64 exec, exec, s[6:7]
	s_and_b64 vcc, exec, s[0:1]
	v_mov_b32_e32 v2, 1.0
	s_cbranch_vccz .LBB0_76
.LBB0_54:
	v_add_u32_e32 v3, s2, v3
	v_add_u32_e32 v0, s3, v3
	s_and_saveexec_b64 s[6:7], s[44:45]
	s_cbranch_execnz .LBB0_77
.LBB0_55:
	s_or_b64 exec, exec, s[6:7]
	s_and_saveexec_b64 s[6:7], s[4:5]
	s_cbranch_execnz .LBB0_78
.LBB0_56:
	s_or_b64 exec, exec, s[6:7]
	s_and_b64 vcc, exec, s[0:1]
	v_mov_b32_e32 v2, 1.0
	s_cbranch_vccz .LBB0_79
.LBB0_57:
	s_add_i32 s3, s3, s2
	v_add_u32_e32 v0, s3, v3
	s_and_saveexec_b64 s[0:1], s[44:45]
	s_cbranch_execnz .LBB0_80
.LBB0_58:
	s_or_b64 exec, exec, s[0:1]
	s_and_b64 exec, exec, s[4:5]
	s_cbranch_execz .LBB0_60
.LBB0_59:
	v_ashrrev_i32_e32 v1, 31, v0
	v_lshl_add_u64 v[0:1], v[0:1], 3, s[62:63]
	v_mov_b32_e32 v18, v7
	global_store_dwordx2 v[0:1], v[18:19], off
.LBB0_60:
	s_endpgm
.LBB0_61:
	v_div_scale_f32 v0, s[6:7], v25, v25, 1.0
	v_rcp_f32_e32 v8, v0
	v_div_scale_f32 v9, vcc, 1.0, v25, 1.0
	v_fma_f32 v10, -v0, v8, 1.0
	v_fmac_f32_e32 v8, v10, v8
	v_mul_f32_e32 v10, v9, v8
	v_fma_f32 v12, -v0, v10, v9
	v_fmac_f32_e32 v10, v12, v8
	v_fma_f32 v0, -v0, v10, v9
	v_div_fmas_f32 v0, v0, v8, v10
	v_div_fixup_f32 v0, v0, v25, 1.0
	v_add_u32_e32 v10, s2, v11
	v_add_u32_e32 v8, s3, v10
	s_and_saveexec_b64 s[6:7], s[44:45]
	s_cbranch_execz .LBB0_40
.LBB0_62:
	v_cvt_f32_f16_sdwa v15, v121 dst_sel:DWORD dst_unused:UNUSED_PAD src0_sel:WORD_1
	v_cvt_f32_f16_e32 v14, v121
	v_cvt_f32_f16_sdwa v17, v118 dst_sel:DWORD dst_unused:UNUSED_PAD src0_sel:WORD_1
	v_cvt_f32_f16_e32 v16, v118
	s_movk_i32 s8, 0x50
	v_mad_u64_u32 v[12:13], s[8:9], v8, s8, v[104:105]
	v_mov_b32_e32 v13, 0
	v_lshl_add_u64 v[26:27], v[12:13], 2, s[60:61]
	v_pk_mul_f32 v[12:13], v[0:1], v[14:15] op_sel_hi:[0,1]
	v_pk_mul_f32 v[14:15], v[0:1], v[16:17] op_sel_hi:[0,1]
	global_store_dwordx4 v[26:27], v[12:15], off
	s_or_b64 exec, exec, s[6:7]
	s_and_saveexec_b64 s[6:7], s[4:5]
	s_cbranch_execz .LBB0_41
.LBB0_63:
	v_ashrrev_i32_e32 v9, 31, v8
	v_lshl_add_u64 v[8:9], v[8:9], 3, s[62:63]
	v_mov_b32_e32 v24, v1
	global_store_dwordx2 v[8:9], v[24:25], off
	s_or_b64 exec, exec, s[6:7]
	s_and_b64 vcc, exec, s[0:1]
	v_mov_b32_e32 v8, 1.0
	s_cbranch_vccnz .LBB0_42
.LBB0_64:
	v_div_scale_f32 v0, s[6:7], v22, v22, 1.0
	v_rcp_f32_e32 v1, v0
	v_div_scale_f32 v8, vcc, 1.0, v22, 1.0
	v_fma_f32 v9, -v0, v1, 1.0
	v_fmac_f32_e32 v1, v9, v1
	v_mul_f32_e32 v9, v8, v1
	v_fma_f32 v11, -v0, v9, v8
	v_fmac_f32_e32 v9, v11, v1
	v_fma_f32 v0, -v0, v9, v8
	v_div_fmas_f32 v0, v0, v1, v9
	v_div_fixup_f32 v8, v0, v22, 1.0
	v_add_u32_e32 v9, s2, v10
	v_add_u32_e32 v0, s3, v9
	s_and_saveexec_b64 s[6:7], s[44:45]
	s_cbranch_execz .LBB0_43
.LBB0_65:
	v_cvt_f32_f16_sdwa v13, v119 dst_sel:DWORD dst_unused:UNUSED_PAD src0_sel:WORD_1
	v_cvt_f32_f16_e32 v12, v119
	v_cvt_f32_f16_sdwa v15, v116 dst_sel:DWORD dst_unused:UNUSED_PAD src0_sel:WORD_1
	v_cvt_f32_f16_e32 v14, v116
	s_movk_i32 s8, 0x50
	v_mad_u64_u32 v[10:11], s[8:9], v0, s8, v[104:105]
	v_mov_b32_e32 v11, 0
	v_lshl_add_u64 v[16:17], v[10:11], 2, s[60:61]
	v_pk_mul_f32 v[10:11], v[8:9], v[12:13] op_sel_hi:[0,1]
	v_pk_mul_f32 v[12:13], v[8:9], v[14:15] op_sel_hi:[0,1]
	global_store_dwordx4 v[16:17], v[10:13], off
	s_or_b64 exec, exec, s[6:7]
	s_and_saveexec_b64 s[6:7], s[4:5]
	s_cbranch_execz .LBB0_44
.LBB0_66:
	v_ashrrev_i32_e32 v1, 31, v0
	v_lshl_add_u64 v[0:1], v[0:1], 3, s[62:63]
	v_mov_b32_e32 v10, v2
	v_mov_b32_e32 v11, v22
	global_store_dwordx2 v[0:1], v[10:11], off
	s_or_b64 exec, exec, s[6:7]
	s_and_b64 vcc, exec, s[0:1]
	v_mov_b32_e32 v2, 1.0
	s_cbranch_vccnz .LBB0_45
.LBB0_67:
	v_div_scale_f32 v0, s[6:7], v23, v23, 1.0
	v_rcp_f32_e32 v1, v0
	v_div_scale_f32 v2, vcc, 1.0, v23, 1.0
	v_fma_f32 v8, -v0, v1, 1.0
	v_fmac_f32_e32 v1, v8, v1
	v_mul_f32_e32 v8, v2, v1
	v_fma_f32 v10, -v0, v8, v2
	v_fmac_f32_e32 v8, v10, v1
	v_fma_f32 v0, -v0, v8, v2
	v_div_fmas_f32 v0, v0, v1, v8
	v_div_fixup_f32 v2, v0, v23, 1.0
	v_add_u32_e32 v8, s2, v9
	v_add_u32_e32 v0, s3, v8
	s_and_saveexec_b64 s[6:7], s[44:45]
	s_cbranch_execz .LBB0_46
.LBB0_68:
	v_cvt_f32_f16_sdwa v13, v117 dst_sel:DWORD dst_unused:UNUSED_PAD src0_sel:WORD_1
	v_cvt_f32_f16_e32 v12, v117
	v_cvt_f32_f16_sdwa v15, v114 dst_sel:DWORD dst_unused:UNUSED_PAD src0_sel:WORD_1
	v_cvt_f32_f16_e32 v14, v114
	s_movk_i32 s8, 0x50
	v_mad_u64_u32 v[10:11], s[8:9], v0, s8, v[104:105]
	v_mov_b32_e32 v11, 0
	v_lshl_add_u64 v[16:17], v[10:11], 2, s[60:61]
	v_pk_mul_f32 v[10:11], v[2:3], v[12:13] op_sel_hi:[0,1]
	v_pk_mul_f32 v[12:13], v[2:3], v[14:15] op_sel_hi:[0,1]
	global_store_dwordx4 v[16:17], v[10:13], off
	s_or_b64 exec, exec, s[6:7]
	s_and_saveexec_b64 s[6:7], s[4:5]
	s_cbranch_execz .LBB0_47
.LBB0_69:
	v_ashrrev_i32_e32 v1, 31, v0
	v_lshl_add_u64 v[0:1], v[0:1], 3, s[62:63]
	v_mov_b32_e32 v22, v3
	global_store_dwordx2 v[0:1], v[22:23], off
	s_or_b64 exec, exec, s[6:7]
	s_and_b64 vcc, exec, s[0:1]
	v_mov_b32_e32 v2, 1.0
	s_cbranch_vccnz .LBB0_48
.LBB0_70:
	v_div_scale_f32 v0, s[6:7], v20, v20, 1.0
	v_rcp_f32_e32 v1, v0
	v_div_scale_f32 v2, vcc, 1.0, v20, 1.0
	v_fma_f32 v3, -v0, v1, 1.0
	v_fmac_f32_e32 v1, v3, v1
	v_mul_f32_e32 v3, v2, v1
	v_fma_f32 v9, -v0, v3, v2
	v_fmac_f32_e32 v3, v9, v1
	v_fma_f32 v0, -v0, v3, v2
	v_div_fmas_f32 v0, v0, v1, v3
	v_div_fixup_f32 v2, v0, v20, 1.0
	v_add_u32_e32 v3, s2, v8
	v_add_u32_e32 v0, s3, v3
	s_and_saveexec_b64 s[6:7], s[44:45]
	s_cbranch_execz .LBB0_49
.LBB0_71:
	v_cvt_f32_f16_sdwa v11, v115 dst_sel:DWORD dst_unused:UNUSED_PAD src0_sel:WORD_1
	v_cvt_f32_f16_e32 v10, v115
	v_cvt_f32_f16_sdwa v13, v112 dst_sel:DWORD dst_unused:UNUSED_PAD src0_sel:WORD_1
	v_cvt_f32_f16_e32 v12, v112
	s_movk_i32 s8, 0x50
	v_mad_u64_u32 v[8:9], s[8:9], v0, s8, v[104:105]
	v_mov_b32_e32 v9, 0
	v_lshl_add_u64 v[14:15], v[8:9], 2, s[60:61]
	v_pk_mul_f32 v[8:9], v[2:3], v[10:11] op_sel_hi:[0,1]
	v_pk_mul_f32 v[10:11], v[2:3], v[12:13] op_sel_hi:[0,1]
	global_store_dwordx4 v[14:15], v[8:11], off
	s_or_b64 exec, exec, s[6:7]
	s_and_saveexec_b64 s[6:7], s[4:5]
	s_cbranch_execz .LBB0_50
.LBB0_72:
	v_ashrrev_i32_e32 v1, 31, v0
	v_lshl_add_u64 v[0:1], v[0:1], 3, s[62:63]
	v_mov_b32_e32 v8, v4
	v_mov_b32_e32 v9, v20
	global_store_dwordx2 v[0:1], v[8:9], off
	s_or_b64 exec, exec, s[6:7]
	s_and_b64 vcc, exec, s[0:1]
	v_mov_b32_e32 v2, 1.0
	s_cbranch_vccnz .LBB0_51
.LBB0_73:
	v_div_scale_f32 v0, s[6:7], v21, v21, 1.0
	v_rcp_f32_e32 v1, v0
	v_div_scale_f32 v2, vcc, 1.0, v21, 1.0
	v_fma_f32 v4, -v0, v1, 1.0
	v_fmac_f32_e32 v1, v4, v1
	v_mul_f32_e32 v4, v2, v1
	v_fma_f32 v8, -v0, v4, v2
	v_fmac_f32_e32 v4, v8, v1
	v_fma_f32 v0, -v0, v4, v2
	v_div_fmas_f32 v0, v0, v1, v4
	v_div_fixup_f32 v2, v0, v21, 1.0
	v_add_u32_e32 v3, s2, v3
	v_add_u32_e32 v0, s3, v3
	s_and_saveexec_b64 s[6:7], s[44:45]
	s_cbranch_execz .LBB0_52
.LBB0_74:
	v_cvt_f32_f16_sdwa v11, v113 dst_sel:DWORD dst_unused:UNUSED_PAD src0_sel:WORD_1
	v_cvt_f32_f16_e32 v10, v113
	v_cvt_f32_f16_sdwa v13, v110 dst_sel:DWORD dst_unused:UNUSED_PAD src0_sel:WORD_1
	v_cvt_f32_f16_e32 v12, v110
	s_movk_i32 s8, 0x50
	v_mad_u64_u32 v[8:9], s[8:9], v0, s8, v[104:105]
	v_mov_b32_e32 v9, 0
	v_lshl_add_u64 v[14:15], v[8:9], 2, s[60:61]
	v_pk_mul_f32 v[8:9], v[2:3], v[10:11] op_sel_hi:[0,1]
	v_pk_mul_f32 v[10:11], v[2:3], v[12:13] op_sel_hi:[0,1]
	global_store_dwordx4 v[14:15], v[8:11], off
	s_or_b64 exec, exec, s[6:7]
	s_and_saveexec_b64 s[6:7], s[4:5]
	s_cbranch_execz .LBB0_53
.LBB0_75:
	v_ashrrev_i32_e32 v1, 31, v0
	v_lshl_add_u64 v[0:1], v[0:1], 3, s[62:63]
	v_mov_b32_e32 v20, v5
	global_store_dwordx2 v[0:1], v[20:21], off
	s_or_b64 exec, exec, s[6:7]
	s_and_b64 vcc, exec, s[0:1]
	v_mov_b32_e32 v2, 1.0
	s_cbranch_vccnz .LBB0_54
.LBB0_76:
	v_div_scale_f32 v0, s[6:7], v18, v18, 1.0
	v_rcp_f32_e32 v1, v0
	v_div_scale_f32 v2, vcc, 1.0, v18, 1.0
	v_fma_f32 v4, -v0, v1, 1.0
	v_fmac_f32_e32 v1, v4, v1
	v_mul_f32_e32 v4, v2, v1
	v_fma_f32 v5, -v0, v4, v2
	v_fmac_f32_e32 v4, v5, v1
	v_fma_f32 v0, -v0, v4, v2
	v_div_fmas_f32 v0, v0, v1, v4
	v_div_fixup_f32 v2, v0, v18, 1.0
	v_add_u32_e32 v3, s2, v3
	v_add_u32_e32 v0, s3, v3
	s_and_saveexec_b64 s[6:7], s[44:45]
	s_cbranch_execz .LBB0_55
.LBB0_77:
	v_cvt_f32_f16_sdwa v9, v111 dst_sel:DWORD dst_unused:UNUSED_PAD src0_sel:WORD_1
	v_cvt_f32_f16_e32 v8, v111
	v_cvt_f32_f16_sdwa v11, v108 dst_sel:DWORD dst_unused:UNUSED_PAD src0_sel:WORD_1
	v_cvt_f32_f16_e32 v10, v108
	s_movk_i32 s8, 0x50
	v_mad_u64_u32 v[4:5], s[8:9], v0, s8, v[104:105]
	v_mov_b32_e32 v5, 0
	v_lshl_add_u64 v[4:5], v[4:5], 2, s[60:61]
	v_pk_mul_f32 v[8:9], v[2:3], v[8:9] op_sel_hi:[0,1]
	v_pk_mul_f32 v[10:11], v[2:3], v[10:11] op_sel_hi:[0,1]
	global_store_dwordx4 v[4:5], v[8:11], off
	s_or_b64 exec, exec, s[6:7]
	s_and_saveexec_b64 s[6:7], s[4:5]
	s_cbranch_execz .LBB0_56
.LBB0_78:
	v_ashrrev_i32_e32 v1, 31, v0
	v_lshl_add_u64 v[0:1], v[0:1], 3, s[62:63]
	v_mov_b32_e32 v4, v6
	v_mov_b32_e32 v5, v18
	global_store_dwordx2 v[0:1], v[4:5], off
	s_or_b64 exec, exec, s[6:7]
	s_and_b64 vcc, exec, s[0:1]
	v_mov_b32_e32 v2, 1.0
	s_cbranch_vccnz .LBB0_57
.LBB0_79:
	v_div_scale_f32 v0, s[0:1], v19, v19, 1.0
	v_rcp_f32_e32 v1, v0
	v_div_scale_f32 v2, vcc, 1.0, v19, 1.0
	v_fma_f32 v4, -v0, v1, 1.0
	v_fmac_f32_e32 v1, v4, v1
	v_mul_f32_e32 v4, v2, v1
	v_fma_f32 v5, -v0, v4, v2
	v_fmac_f32_e32 v4, v5, v1
	v_fma_f32 v0, -v0, v4, v2
	v_div_fmas_f32 v0, v0, v1, v4
	v_div_fixup_f32 v2, v0, v19, 1.0
	s_add_i32 s3, s3, s2
	v_add_u32_e32 v0, s3, v3
	s_and_saveexec_b64 s[0:1], s[44:45]
	s_cbranch_execz .LBB0_58
.LBB0_80:
	v_cvt_f32_f16_sdwa v9, v107 dst_sel:DWORD dst_unused:UNUSED_PAD src0_sel:WORD_1
	v_cvt_f32_f16_e32 v8, v107
	v_cvt_f32_f16_sdwa v11, v109 dst_sel:DWORD dst_unused:UNUSED_PAD src0_sel:WORD_1
	v_cvt_f32_f16_e32 v10, v109
	s_movk_i32 s2, 0x50
	v_mad_u64_u32 v[4:5], s[2:3], v0, s2, v[104:105]
	v_mov_b32_e32 v5, 0
	v_lshl_add_u64 v[4:5], v[4:5], 2, s[60:61]
	v_pk_mul_f32 v[8:9], v[2:3], v[8:9] op_sel_hi:[0,1]
	v_pk_mul_f32 v[10:11], v[2:3], v[10:11] op_sel_hi:[0,1]
	global_store_dwordx4 v[4:5], v[8:11], off
	s_or_b64 exec, exec, s[0:1]
	s_and_b64 exec, exec, s[4:5]
	s_cbranch_execnz .LBB0_59
	s_branch .LBB0_60
	.section	.rodata,"a",@progbits
	.p2align	6, 0x0
	.amdhsa_kernel _ZL15flash_attn_tileILi80ELi80ELi8ELi8ELb0EEvPKcS1_S1_S1_S1_PKiPfP15HIP_vector_typeIfLj2EEffffjfiS5_IjLj3EEiiiiiiiiiiiliiliiiiil
		.amdhsa_group_segment_fixed_size 17600
		.amdhsa_private_segment_fixed_size 0
		.amdhsa_kernarg_size 464
		.amdhsa_user_sgpr_count 2
		.amdhsa_user_sgpr_dispatch_ptr 0
		.amdhsa_user_sgpr_queue_ptr 0
		.amdhsa_user_sgpr_kernarg_segment_ptr 1
		.amdhsa_user_sgpr_dispatch_id 0
		.amdhsa_user_sgpr_kernarg_preload_length 0
		.amdhsa_user_sgpr_kernarg_preload_offset 0
		.amdhsa_user_sgpr_private_segment_size 0
		.amdhsa_uses_dynamic_stack 0
		.amdhsa_enable_private_segment 0
		.amdhsa_system_sgpr_workgroup_id_x 1
		.amdhsa_system_sgpr_workgroup_id_y 1
		.amdhsa_system_sgpr_workgroup_id_z 1
		.amdhsa_system_sgpr_workgroup_info 0
		.amdhsa_system_vgpr_workitem_id 1
		.amdhsa_next_free_vgpr 188
		.amdhsa_next_free_sgpr 74
		.amdhsa_accum_offset 188
		.amdhsa_reserve_vcc 1
		.amdhsa_float_round_mode_32 0
		.amdhsa_float_round_mode_16_64 0
		.amdhsa_float_denorm_mode_32 3
		.amdhsa_float_denorm_mode_16_64 3
		.amdhsa_dx10_clamp 1
		.amdhsa_ieee_mode 1
		.amdhsa_fp16_overflow 0
		.amdhsa_tg_split 0
		.amdhsa_exception_fp_ieee_invalid_op 0
		.amdhsa_exception_fp_denorm_src 0
		.amdhsa_exception_fp_ieee_div_zero 0
		.amdhsa_exception_fp_ieee_overflow 0
		.amdhsa_exception_fp_ieee_underflow 0
		.amdhsa_exception_fp_ieee_inexact 0
		.amdhsa_exception_int_div_zero 0
	.end_amdhsa_kernel
	.section	.text._ZL15flash_attn_tileILi80ELi80ELi8ELi8ELb0EEvPKcS1_S1_S1_S1_PKiPfP15HIP_vector_typeIfLj2EEffffjfiS5_IjLj3EEiiiiiiiiiiiliiliiiiil,"axG",@progbits,_ZL15flash_attn_tileILi80ELi80ELi8ELi8ELb0EEvPKcS1_S1_S1_S1_PKiPfP15HIP_vector_typeIfLj2EEffffjfiS5_IjLj3EEiiiiiiiiiiiliiliiiiil,comdat
.Lfunc_end0:
	.size	_ZL15flash_attn_tileILi80ELi80ELi8ELi8ELb0EEvPKcS1_S1_S1_S1_PKiPfP15HIP_vector_typeIfLj2EEffffjfiS5_IjLj3EEiiiiiiiiiiiliiliiiiil, .Lfunc_end0-_ZL15flash_attn_tileILi80ELi80ELi8ELi8ELb0EEvPKcS1_S1_S1_S1_PKiPfP15HIP_vector_typeIfLj2EEffffjfiS5_IjLj3EEiiiiiiiiiiiliiliiiiil
                                        ; -- End function
	.section	.AMDGPU.csdata,"",@progbits
; Kernel info:
; codeLenInByte = 19128
; NumSgprs: 80
; NumVgprs: 188
; NumAgprs: 0
; TotalNumVgprs: 188
; ScratchSize: 0
; MemoryBound: 0
; FloatMode: 240
; IeeeMode: 1
; LDSByteSize: 17600 bytes/workgroup (compile time only)
; SGPRBlocks: 9
; VGPRBlocks: 23
; NumSGPRsForWavesPerEU: 80
; NumVGPRsForWavesPerEU: 188
; AccumOffset: 188
; Occupancy: 2
; WaveLimiterHint : 1
; COMPUTE_PGM_RSRC2:SCRATCH_EN: 0
; COMPUTE_PGM_RSRC2:USER_SGPR: 2
; COMPUTE_PGM_RSRC2:TRAP_HANDLER: 0
; COMPUTE_PGM_RSRC2:TGID_X_EN: 1
; COMPUTE_PGM_RSRC2:TGID_Y_EN: 1
; COMPUTE_PGM_RSRC2:TGID_Z_EN: 1
; COMPUTE_PGM_RSRC2:TIDIG_COMP_CNT: 1
; COMPUTE_PGM_RSRC3_GFX90A:ACCUM_OFFSET: 46
; COMPUTE_PGM_RSRC3_GFX90A:TG_SPLIT: 0
	.section	.text._ZL25flash_attn_mask_to_KV_maxILi8EEvPK7__half2Piiii,"axG",@progbits,_ZL25flash_attn_mask_to_KV_maxILi8EEvPK7__half2Piiii,comdat
	.globl	_ZL25flash_attn_mask_to_KV_maxILi8EEvPK7__half2Piiii ; -- Begin function _ZL25flash_attn_mask_to_KV_maxILi8EEvPK7__half2Piiii
	.p2align	8
	.type	_ZL25flash_attn_mask_to_KV_maxILi8EEvPK7__half2Piiii,@function
_ZL25flash_attn_mask_to_KV_maxILi8EEvPK7__half2Piiii: ; @_ZL25flash_attn_mask_to_KV_maxILi8EEvPK7__half2Piiii
; %bb.0:
	s_load_dwordx4 s[4:7], s[0:1], 0x0
	v_cmp_gt_u32_e32 vcc, 32, v0
	s_and_saveexec_b64 s[8:9], vcc
	s_cbranch_execz .LBB1_2
; %bb.1:
	v_lshlrev_b32_e32 v1, 2, v0
	v_mov_b32_e32 v2, 1
	ds_write_b32 v1, v2
.LBB1_2:
	s_or_b64 exec, exec, s[8:9]
	s_load_dwordx4 s[8:11], s[0:1], 0x10
	s_load_dword s33, s[0:1], 0x20
	v_and_b32_e32 v2, 31, v0
	v_lshlrev_b32_e32 v6, 2, v2
	v_lshrrev_b32_e32 v1, 3, v0
	s_waitcnt lgkmcnt(0)
	s_mul_i32 s1, s2, s9
	s_mul_i32 s0, s3, s10
	s_lshl_b32 s1, s1, 3
	s_add_i32 s0, s0, s1
	s_ashr_i32 s1, s0, 31
	s_lshl_b64 s[0:1], s[0:1], 2
	s_add_u32 s10, s4, s0
	s_addc_u32 s11, s5, s1
	v_cmp_eq_u32_e64 s[0:1], 0, v2
	v_mbcnt_lo_u32_b32 v2, -1, 0
	v_mbcnt_hi_u32_b32 v7, -1, v2
	v_and_b32_e32 v2, 0x60, v7
	s_lshl_b32 s8, s8, 8
	s_mov_b64 s[12:13], 0
	v_mov_b32_e32 v3, 0
	s_movk_i32 s44, 0x204
	s_movk_i32 s45, 0x7fff
	;; [unrolled: 1-line block ×3, first 2 shown]
	v_add_u32_e32 v8, 32, v2
	v_xor_b32_e32 v9, 16, v7
	v_xor_b32_e32 v10, 8, v7
	;; [unrolled: 1-line block ×5, first 2 shown]
	s_barrier
	s_waitcnt lgkmcnt(0)
                                        ; implicit-def: $sgpr4_sgpr5
	s_branch .LBB1_5
.LBB1_3:                                ;   in Loop: Header=BB1_5 Depth=1
	s_or_b64 exec, exec, s[14:15]
	s_waitcnt lgkmcnt(0)
	s_barrier
	ds_read_b32 v16, v6
	s_waitcnt lgkmcnt(0)
	s_barrier
	ds_bpermute_b32 v2, v2, v16
	v_cmp_ne_u32_e32 vcc, 0, v16
	s_waitcnt lgkmcnt(0)
	v_cmp_ne_u32_e64 s[4:5], 0, v2
	s_and_b64 s[4:5], vcc, s[4:5]
	s_nop 0
	v_cndmask_b32_e64 v2, 0, 1, s[4:5]
	ds_bpermute_b32 v2, v4, v2
	s_waitcnt lgkmcnt(0)
	v_cmp_ne_u32_e32 vcc, 0, v2
	s_and_b64 s[4:5], vcc, s[4:5]
	v_cndmask_b32_e64 v2, 0, 1, s[4:5]
	ds_bpermute_b32 v2, v5, v2
	s_waitcnt lgkmcnt(0)
	v_cmp_ne_u32_e32 vcc, 0, v2
	s_and_b64 s[4:5], vcc, s[4:5]
	;; [unrolled: 5-line block ×3, first 2 shown]
	v_cndmask_b32_e64 v2, 0, 1, s[4:5]
	ds_bpermute_b32 v2, v15, v2
	s_xor_b64 s[4:5], s[4:5], -1
	s_waitcnt lgkmcnt(0)
	v_cmp_eq_u32_e32 vcc, 0, v2
	s_or_b64 s[4:5], vcc, s[4:5]
.LBB1_4:                                ;   in Loop: Header=BB1_5 Depth=1
	s_and_b64 s[14:15], exec, s[4:5]
	s_or_b64 s[12:13], s[14:15], s[12:13]
	v_mov_b32_e32 v2, s8
	s_mov_b32 s8, s47
	s_andn2_b64 exec, exec, s[12:13]
	s_cbranch_execz .LBB1_36
.LBB1_5:                                ; =>This Inner Loop Header: Depth=1
	s_add_i32 s47, s8, 0xffffff00
	s_or_b64 s[4:5], s[4:5], exec
	s_cmp_lt_i32 s47, 0
	s_cbranch_scc1 .LBB1_4
; %bb.6:                                ;   in Loop: Header=BB1_5 Depth=1
	s_lshr_b32 s4, s47, 1
	v_add_u32_e32 v2, s4, v0
	v_lshl_add_u64 v[4:5], v[2:3], 2, s[10:11]
	global_load_dword v4, v[4:5], off
	s_mov_b64 s[14:15], 0
	s_waitcnt vmcnt(0)
	v_cmp_class_f16_e64 s[4:5], v4, s44
	v_and_b32_sdwa v4, s45, v4 dst_sel:DWORD dst_unused:UNUSED_PAD src0_sel:DWORD src1_sel:WORD_1
	v_cmp_eq_f16_e32 vcc, s46, v4
	s_and_b64 s[16:17], s[4:5], vcc
	s_and_saveexec_b64 s[4:5], s[16:17]
	s_cbranch_execz .LBB1_34
; %bb.7:                                ;   in Loop: Header=BB1_5 Depth=1
	v_add_u32_e32 v4, s9, v2
	v_ashrrev_i32_e32 v5, 31, v4
	v_lshl_add_u64 v[14:15], v[4:5], 2, s[10:11]
	global_load_dword v2, v[14:15], off
	s_mov_b64 s[16:17], 0
	s_waitcnt vmcnt(0)
	v_cmp_class_f16_e64 s[18:19], v2, s44
	s_and_saveexec_b64 s[14:15], s[18:19]
	s_cbranch_execz .LBB1_33
; %bb.8:                                ;   in Loop: Header=BB1_5 Depth=1
	v_cmp_class_f16_sdwa s[20:21], v2, s44 src0_sel:WORD_1 src1_sel:DWORD
	s_mov_b64 s[18:19], 0
	s_and_saveexec_b64 s[16:17], s[20:21]
	s_cbranch_execz .LBB1_32
; %bb.9:                                ;   in Loop: Header=BB1_5 Depth=1
	v_add_u32_e32 v4, s9, v4
	v_ashrrev_i32_e32 v5, 31, v4
	v_lshl_add_u64 v[14:15], v[4:5], 2, s[10:11]
	global_load_dword v2, v[14:15], off
	s_mov_b64 s[20:21], 0
	s_waitcnt vmcnt(0)
	v_cmp_class_f16_e64 s[22:23], v2, s44
	s_and_saveexec_b64 s[18:19], s[22:23]
	s_cbranch_execz .LBB1_31
; %bb.10:                               ;   in Loop: Header=BB1_5 Depth=1
	v_cmp_class_f16_sdwa s[24:25], v2, s44 src0_sel:WORD_1 src1_sel:DWORD
	s_mov_b64 s[22:23], 0
	s_and_saveexec_b64 s[20:21], s[24:25]
	s_cbranch_execz .LBB1_30
; %bb.11:                               ;   in Loop: Header=BB1_5 Depth=1
	v_add_u32_e32 v4, s9, v4
	v_ashrrev_i32_e32 v5, 31, v4
	v_lshl_add_u64 v[14:15], v[4:5], 2, s[10:11]
	global_load_dword v2, v[14:15], off
	s_mov_b64 s[24:25], 0
	s_waitcnt vmcnt(0)
	v_cmp_class_f16_e64 s[26:27], v2, s44
	s_and_saveexec_b64 s[22:23], s[26:27]
	s_cbranch_execz .LBB1_29
; %bb.12:                               ;   in Loop: Header=BB1_5 Depth=1
	v_cmp_class_f16_sdwa s[28:29], v2, s44 src0_sel:WORD_1 src1_sel:DWORD
	s_mov_b64 s[26:27], 0
	s_and_saveexec_b64 s[24:25], s[28:29]
	s_cbranch_execz .LBB1_28
; %bb.13:                               ;   in Loop: Header=BB1_5 Depth=1
	;; [unrolled: 15-line block ×5, first 2 shown]
	v_add_u32_e32 v4, s9, v4
	v_ashrrev_i32_e32 v5, 31, v4
	v_lshl_add_u64 v[4:5], v[4:5], 2, s[10:11]
	global_load_dword v2, v[4:5], off
	s_waitcnt vmcnt(0)
	v_cmp_class_f16_e64 s[48:49], v2, s44
	s_and_saveexec_b64 s[42:43], s[48:49]
; %bb.20:                               ;   in Loop: Header=BB1_5 Depth=1
	v_cmp_class_f16_sdwa s[40:41], v2, s44 src0_sel:WORD_1 src1_sel:DWORD
	s_and_b64 s[40:41], s[40:41], exec
; %bb.21:                               ;   in Loop: Header=BB1_5 Depth=1
	s_or_b64 exec, exec, s[42:43]
	s_and_b64 s[40:41], s[40:41], exec
.LBB1_22:                               ;   in Loop: Header=BB1_5 Depth=1
	s_or_b64 exec, exec, s[38:39]
	s_and_b64 s[38:39], s[40:41], exec
.LBB1_23:                               ;   in Loop: Header=BB1_5 Depth=1
	s_or_b64 exec, exec, s[36:37]
	s_and_b64 s[36:37], s[38:39], exec
.LBB1_24:                               ;   in Loop: Header=BB1_5 Depth=1
	s_or_b64 exec, exec, s[34:35]
	s_and_b64 s[34:35], s[36:37], exec
.LBB1_25:                               ;   in Loop: Header=BB1_5 Depth=1
	s_or_b64 exec, exec, s[30:31]
	s_and_b64 s[30:31], s[34:35], exec
.LBB1_26:                               ;   in Loop: Header=BB1_5 Depth=1
	s_or_b64 exec, exec, s[28:29]
	s_and_b64 s[28:29], s[30:31], exec
.LBB1_27:                               ;   in Loop: Header=BB1_5 Depth=1
	s_or_b64 exec, exec, s[26:27]
	s_and_b64 s[26:27], s[28:29], exec
.LBB1_28:                               ;   in Loop: Header=BB1_5 Depth=1
	s_or_b64 exec, exec, s[24:25]
	s_and_b64 s[24:25], s[26:27], exec
.LBB1_29:                               ;   in Loop: Header=BB1_5 Depth=1
	s_or_b64 exec, exec, s[22:23]
	s_and_b64 s[22:23], s[24:25], exec
.LBB1_30:                               ;   in Loop: Header=BB1_5 Depth=1
	s_or_b64 exec, exec, s[20:21]
	s_and_b64 s[20:21], s[22:23], exec
.LBB1_31:                               ;   in Loop: Header=BB1_5 Depth=1
	s_or_b64 exec, exec, s[18:19]
	s_and_b64 s[18:19], s[20:21], exec
.LBB1_32:                               ;   in Loop: Header=BB1_5 Depth=1
	s_or_b64 exec, exec, s[16:17]
	s_and_b64 s[16:17], s[18:19], exec
.LBB1_33:                               ;   in Loop: Header=BB1_5 Depth=1
	s_or_b64 exec, exec, s[14:15]
	s_and_b64 s[14:15], s[16:17], exec
.LBB1_34:                               ;   in Loop: Header=BB1_5 Depth=1
	s_or_b64 exec, exec, s[4:5]
	v_cmp_lt_i32_e32 vcc, v9, v8
	v_cndmask_b32_e64 v4, 0, 1, s[14:15]
	s_nop 0
	v_cndmask_b32_e32 v2, v7, v9, vcc
	v_lshlrev_b32_e32 v2, 2, v2
	ds_bpermute_b32 v4, v2, v4
	s_waitcnt lgkmcnt(0)
	v_cmp_ne_u32_e32 vcc, 0, v4
	s_and_b64 s[4:5], s[14:15], vcc
	v_cmp_lt_i32_e32 vcc, v10, v8
	v_cndmask_b32_e64 v5, 0, 1, s[4:5]
	s_nop 0
	v_cndmask_b32_e32 v4, v7, v10, vcc
	v_lshlrev_b32_e32 v4, 2, v4
	ds_bpermute_b32 v5, v4, v5
	s_waitcnt lgkmcnt(0)
	v_cmp_ne_u32_e32 vcc, 0, v5
	s_and_b64 s[4:5], vcc, s[4:5]
	v_cmp_lt_i32_e32 vcc, v11, v8
	v_cndmask_b32_e64 v14, 0, 1, s[4:5]
	s_nop 0
	v_cndmask_b32_e32 v5, v7, v11, vcc
	v_lshlrev_b32_e32 v5, 2, v5
	ds_bpermute_b32 v14, v5, v14
	s_waitcnt lgkmcnt(0)
	v_cmp_ne_u32_e32 vcc, 0, v14
	s_and_b64 s[4:5], vcc, s[4:5]
	;; [unrolled: 9-line block ×3, first 2 shown]
	v_cmp_lt_i32_e32 vcc, v13, v8
	v_cndmask_b32_e64 v16, 0, 1, s[4:5]
	s_nop 0
	v_cndmask_b32_e32 v15, v7, v13, vcc
	v_lshlrev_b32_e32 v15, 2, v15
	ds_bpermute_b32 v16, v15, v16
	s_and_saveexec_b64 s[14:15], s[0:1]
	s_cbranch_execz .LBB1_3
; %bb.35:                               ;   in Loop: Header=BB1_5 Depth=1
	s_waitcnt lgkmcnt(0)
	v_cmp_ne_u32_e32 vcc, 0, v16
	s_and_b64 s[4:5], vcc, s[4:5]
	v_cndmask_b32_e64 v16, 0, 1, s[4:5]
	ds_write_b32 v1, v16
	s_branch .LBB1_3
.LBB1_36:
	s_or_b64 exec, exec, s[12:13]
	v_cmp_eq_u32_e32 vcc, 0, v0
	s_and_saveexec_b64 s[0:1], vcc
	s_cbranch_execz .LBB1_38
; %bb.37:
	s_mul_i32 s0, s33, s3
	s_add_i32 s0, s0, s2
	s_ashr_i32 s1, s0, 31
	s_lshl_b64 s[0:1], s[0:1], 2
	s_add_u32 s0, s6, s0
	s_addc_u32 s1, s7, s1
	v_mov_b32_e32 v0, 0
	global_store_dword v0, v2, s[0:1]
.LBB1_38:
	s_endpgm
	.section	.rodata,"a",@progbits
	.p2align	6, 0x0
	.amdhsa_kernel _ZL25flash_attn_mask_to_KV_maxILi8EEvPK7__half2Piiii
		.amdhsa_group_segment_fixed_size 128
		.amdhsa_private_segment_fixed_size 0
		.amdhsa_kernarg_size 288
		.amdhsa_user_sgpr_count 2
		.amdhsa_user_sgpr_dispatch_ptr 0
		.amdhsa_user_sgpr_queue_ptr 0
		.amdhsa_user_sgpr_kernarg_segment_ptr 1
		.amdhsa_user_sgpr_dispatch_id 0
		.amdhsa_user_sgpr_kernarg_preload_length 0
		.amdhsa_user_sgpr_kernarg_preload_offset 0
		.amdhsa_user_sgpr_private_segment_size 0
		.amdhsa_uses_dynamic_stack 0
		.amdhsa_enable_private_segment 0
		.amdhsa_system_sgpr_workgroup_id_x 1
		.amdhsa_system_sgpr_workgroup_id_y 1
		.amdhsa_system_sgpr_workgroup_id_z 0
		.amdhsa_system_sgpr_workgroup_info 0
		.amdhsa_system_vgpr_workitem_id 0
		.amdhsa_next_free_vgpr 17
		.amdhsa_next_free_sgpr 50
		.amdhsa_accum_offset 20
		.amdhsa_reserve_vcc 1
		.amdhsa_float_round_mode_32 0
		.amdhsa_float_round_mode_16_64 0
		.amdhsa_float_denorm_mode_32 3
		.amdhsa_float_denorm_mode_16_64 3
		.amdhsa_dx10_clamp 1
		.amdhsa_ieee_mode 1
		.amdhsa_fp16_overflow 0
		.amdhsa_tg_split 0
		.amdhsa_exception_fp_ieee_invalid_op 0
		.amdhsa_exception_fp_denorm_src 0
		.amdhsa_exception_fp_ieee_div_zero 0
		.amdhsa_exception_fp_ieee_overflow 0
		.amdhsa_exception_fp_ieee_underflow 0
		.amdhsa_exception_fp_ieee_inexact 0
		.amdhsa_exception_int_div_zero 0
	.end_amdhsa_kernel
	.section	.text._ZL25flash_attn_mask_to_KV_maxILi8EEvPK7__half2Piiii,"axG",@progbits,_ZL25flash_attn_mask_to_KV_maxILi8EEvPK7__half2Piiii,comdat
.Lfunc_end1:
	.size	_ZL25flash_attn_mask_to_KV_maxILi8EEvPK7__half2Piiii, .Lfunc_end1-_ZL25flash_attn_mask_to_KV_maxILi8EEvPK7__half2Piiii
                                        ; -- End function
	.section	.AMDGPU.csdata,"",@progbits
; Kernel info:
; codeLenInByte = 1352
; NumSgprs: 56
; NumVgprs: 17
; NumAgprs: 0
; TotalNumVgprs: 17
; ScratchSize: 0
; MemoryBound: 0
; FloatMode: 240
; IeeeMode: 1
; LDSByteSize: 128 bytes/workgroup (compile time only)
; SGPRBlocks: 6
; VGPRBlocks: 2
; NumSGPRsForWavesPerEU: 56
; NumVGPRsForWavesPerEU: 17
; AccumOffset: 20
; Occupancy: 8
; WaveLimiterHint : 0
; COMPUTE_PGM_RSRC2:SCRATCH_EN: 0
; COMPUTE_PGM_RSRC2:USER_SGPR: 2
; COMPUTE_PGM_RSRC2:TRAP_HANDLER: 0
; COMPUTE_PGM_RSRC2:TGID_X_EN: 1
; COMPUTE_PGM_RSRC2:TGID_Y_EN: 1
; COMPUTE_PGM_RSRC2:TGID_Z_EN: 0
; COMPUTE_PGM_RSRC2:TIDIG_COMP_CNT: 0
; COMPUTE_PGM_RSRC3_GFX90A:ACCUM_OFFSET: 4
; COMPUTE_PGM_RSRC3_GFX90A:TG_SPLIT: 0
	.section	.text._ZL33flash_attn_stream_k_fixup_uniformILi80ELi8ELi8EEvPfPK15HIP_vector_typeIfLj2EEiiiiiiS1_IjLj3EES5_S5_,"axG",@progbits,_ZL33flash_attn_stream_k_fixup_uniformILi80ELi8ELi8EEvPfPK15HIP_vector_typeIfLj2EEiiiiiiS1_IjLj3EES5_S5_,comdat
	.globl	_ZL33flash_attn_stream_k_fixup_uniformILi80ELi8ELi8EEvPfPK15HIP_vector_typeIfLj2EEiiiiiiS1_IjLj3EES5_S5_ ; -- Begin function _ZL33flash_attn_stream_k_fixup_uniformILi80ELi8ELi8EEvPfPK15HIP_vector_typeIfLj2EEiiiiiiS1_IjLj3EES5_S5_
	.p2align	8
	.type	_ZL33flash_attn_stream_k_fixup_uniformILi80ELi8ELi8EEvPfPK15HIP_vector_typeIfLj2EEiiiiiiS1_IjLj3EES5_S5_,@function
_ZL33flash_attn_stream_k_fixup_uniformILi80ELi8ELi8EEvPfPK15HIP_vector_typeIfLj2EEiiiiiiS1_IjLj3EES5_S5_: ; @_ZL33flash_attn_stream_k_fixup_uniformILi80ELi8ELi8EEvPfPK15HIP_vector_typeIfLj2EEiiiiiiS1_IjLj3EES5_S5_
; %bb.0:
	s_load_dwordx8 s[8:15], s[0:1], 0x1c
	s_load_dwordx2 s[6:7], s[0:1], 0x10
	s_load_dwordx4 s[16:19], s[0:1], 0x3c
	s_waitcnt lgkmcnt(0)
	s_mul_hi_u32 s5, s11, s2
	s_add_i32 s5, s2, s5
	s_lshr_b32 s5, s5, s12
	s_mul_i32 s11, s5, s13
	s_sub_i32 s12, s2, s11
	s_mul_hi_u32 s11, s12, s14
	s_add_i32 s11, s12, s11
	s_lshr_b32 s11, s11, s15
	s_mul_i32 s13, s11, s16
	s_sub_i32 s12, s12, s13
	;; [unrolled: 5-line block ×3, first 2 shown]
	s_lshl_b32 s12, s16, 3
	s_lshl_b32 s17, s13, 3
	s_add_i32 s12, s12, s3
	s_cmp_lt_i32 s12, s6
	s_cselect_b64 s[12:13], -1, 0
	s_add_i32 s17, s17, s4
	s_cmp_lt_i32 s17, s9
	s_cselect_b64 s[14:15], -1, 0
	s_and_b64 s[12:13], s[12:13], s[14:15]
	s_andn2_b64 vcc, exec, s[12:13]
	s_cbranch_vccnz .LBB2_6
; %bb.1:
	s_load_dwordx4 s[12:15], s[0:1], 0x0
	s_mul_i32 s0, s5, s6
	s_mul_i32 s11, s11, s9
	s_add_i32 s0, s0, s3
	s_mul_i32 s0, s0, s7
	s_add_i32 s5, s17, s11
	s_mul_i32 s1, s7, s16
	s_add_i32 s0, s5, s0
	s_mulk_i32 s1, 0x280
	s_mulk_i32 s0, 0x50
	s_add_i32 s0, s0, s1
	v_add_u32_e32 v4, s0, v0
	s_waitcnt lgkmcnt(0)
	v_mov_b32_e32 v2, s12
	v_mov_b32_e32 v3, s13
	v_ashrrev_i32_e32 v5, 31, v4
	v_lshl_add_u64 v[2:3], v[4:5], 2, v[2:3]
	global_load_dword v7, v[2:3], off
	s_mul_i32 s5, s2, s10
	s_lshl_b32 s11, s3, 3
	s_add_i32 s9, s5, s10
	s_add_i32 s0, s11, s4
	s_lshl_b32 s1, s9, 6
	s_add_i32 s0, s0, s1
	s_sub_i32 s0, s0, 64
	s_ashr_i32 s1, s0, 31
	s_lshl_b64 s[0:1], s[0:1], 3
	s_add_u32 s0, s14, s0
	s_addc_u32 s1, s15, s1
	s_load_dword s12, s[0:1], 0x4
	s_add_i32 s6, s9, -2
	s_cmp_lt_i32 s6, s5
	s_cbranch_scc1 .LBB2_4
; %bb.2:
	s_lshl_b32 s6, s8, 8
	s_ashr_i32 s7, s6, 31
	s_lshl_b64 s[6:7], s[6:7], 2
	s_add_u32 s6, s14, s6
	s_addc_u32 s7, s15, s7
	s_add_i32 s2, s2, 1
	s_load_dword s0, s[0:1], 0x0
	s_mul_i32 s1, s10, s2
	s_lshl_b32 s2, s1, 6
	s_add_i32 s2, s4, s2
	s_mulk_i32 s3, 0x280
	s_mulk_i32 s4, 0x50
	s_lshl_b32 s8, s8, 6
	s_mulk_i32 s1, 0x1400
	s_add_i32 s3, s4, s3
	s_add_i32 s2, s2, s8
	;; [unrolled: 1-line block ×4, first 2 shown]
	v_add_u32_e32 v0, s3, v0
	s_add_i32 s9, s9, -1
	s_addk_i32 s2, 0xff80
	v_add_u32_e32 v0, 0xffffd800, v0
	s_waitcnt lgkmcnt(0)
	v_mov_b32_e32 v6, s12
	v_mov_b32_e32 v5, s0
	s_mov_b32 s4, 0x3fb8aa3b
	s_mov_b32 s8, 0xc2ce8ed0
	;; [unrolled: 1-line block ×3, first 2 shown]
	v_mov_b32_e32 v4, 0x7f800000
	s_mov_b32 s11, 0xc1a00000
.LBB2_3:                                ; =>This Inner Loop Header: Depth=1
	v_ashrrev_i32_e32 v1, 31, v0
	v_lshl_add_u64 v[8:9], v[0:1], 2, s[6:7]
	global_load_dword v1, v[8:9], off
	s_ashr_i32 s3, s2, 31
	s_lshl_b64 s[0:1], s[2:3], 3
	s_add_u32 s0, s14, s0
	s_addc_u32 s1, s15, s1
	s_load_dwordx2 s[12:13], s[0:1], 0x0
	s_waitcnt vmcnt(1)
	v_mov_b32_e32 v8, v7
	v_max_f32_e32 v7, v5, v5
	v_mov_b32_e32 v9, v6
	s_add_i32 s9, s9, -1
	s_waitcnt lgkmcnt(0)
	v_max_f32_e64 v6, s12, s12
	v_max_f32_e32 v6, v7, v6
	v_sub_f32_e32 v10, s12, v6
	v_sub_f32_e32 v7, v5, v6
	v_mul_f32_e32 v11, 0x3fb8aa3b, v10
	v_mov_b32_e32 v5, v6
	v_mul_f32_e32 v6, 0x3fb8aa3b, v7
	v_fma_f32 v14, v10, s4, -v11
	v_rndne_f32_e32 v15, v11
	v_fma_f32 v12, v7, s4, -v6
	v_rndne_f32_e32 v13, v6
	v_fmac_f32_e32 v14, 0x32a5705f, v10
	v_sub_f32_e32 v11, v11, v15
	v_fmac_f32_e32 v12, 0x32a5705f, v7
	v_sub_f32_e32 v6, v6, v13
	v_add_f32_e32 v11, v11, v14
	v_cvt_i32_f32_e32 v15, v15
	v_add_f32_e32 v6, v6, v12
	v_exp_f32_e32 v11, v11
	v_cvt_i32_f32_e32 v13, v13
	v_exp_f32_e32 v6, v6
	v_cmp_ngt_f32_e32 vcc, s8, v10
	v_ldexp_f32 v11, v11, v15
	v_cmp_ngt_f32_e64 s[0:1], s8, v7
	v_ldexp_f32 v6, v6, v13
	v_cndmask_b32_e32 v11, 0, v11, vcc
	v_cmp_nlt_f32_e32 vcc, s10, v10
	v_cndmask_b32_e64 v6, 0, v6, s[0:1]
	v_cmp_nlt_f32_e64 s[0:1], s10, v7
	v_cndmask_b32_e32 v11, v4, v11, vcc
	v_cmp_le_f32_e32 vcc, s11, v10
	v_cndmask_b32_e64 v6, v4, v6, s[0:1]
	v_cmp_le_f32_e64 s[0:1], s11, v7
	v_cndmask_b32_e32 v7, 0, v11, vcc
	s_sub_i32 s2, s2, 64
	v_cndmask_b32_e64 v10, 0, v6, s[0:1]
	v_mul_f32_e32 v6, s13, v7
	v_add_u32_e32 v0, 0xffffec00, v0
	s_cmp_le_i32 s9, s5
	v_fmac_f32_e32 v6, v9, v10
	s_waitcnt vmcnt(0)
	v_mul_f32_e32 v7, v1, v7
	v_fmac_f32_e32 v7, v8, v10
	s_cbranch_scc0 .LBB2_3
	s_branch .LBB2_5
.LBB2_4:
	s_waitcnt lgkmcnt(0)
	v_mov_b32_e32 v6, s12
.LBB2_5:
	s_waitcnt vmcnt(0)
	v_div_scale_f32 v0, s[0:1], v6, v6, v7
	v_rcp_f32_e32 v1, v0
	v_div_scale_f32 v4, vcc, v7, v6, v7
	v_fma_f32 v5, -v0, v1, 1.0
	v_fmac_f32_e32 v1, v5, v1
	v_mul_f32_e32 v5, v4, v1
	v_fma_f32 v8, -v0, v5, v4
	v_fmac_f32_e32 v5, v8, v1
	v_fma_f32 v0, -v0, v5, v4
	v_div_fmas_f32 v0, v0, v1, v5
	v_div_fixup_f32 v0, v0, v6, v7
	global_store_dword v[2:3], v0, off
.LBB2_6:
	s_endpgm
	.section	.rodata,"a",@progbits
	.p2align	6, 0x0
	.amdhsa_kernel _ZL33flash_attn_stream_k_fixup_uniformILi80ELi8ELi8EEvPfPK15HIP_vector_typeIfLj2EEiiiiiiS1_IjLj3EES5_S5_
		.amdhsa_group_segment_fixed_size 0
		.amdhsa_private_segment_fixed_size 0
		.amdhsa_kernarg_size 76
		.amdhsa_user_sgpr_count 2
		.amdhsa_user_sgpr_dispatch_ptr 0
		.amdhsa_user_sgpr_queue_ptr 0
		.amdhsa_user_sgpr_kernarg_segment_ptr 1
		.amdhsa_user_sgpr_dispatch_id 0
		.amdhsa_user_sgpr_kernarg_preload_length 0
		.amdhsa_user_sgpr_kernarg_preload_offset 0
		.amdhsa_user_sgpr_private_segment_size 0
		.amdhsa_uses_dynamic_stack 0
		.amdhsa_enable_private_segment 0
		.amdhsa_system_sgpr_workgroup_id_x 1
		.amdhsa_system_sgpr_workgroup_id_y 1
		.amdhsa_system_sgpr_workgroup_id_z 1
		.amdhsa_system_sgpr_workgroup_info 0
		.amdhsa_system_vgpr_workitem_id 0
		.amdhsa_next_free_vgpr 16
		.amdhsa_next_free_sgpr 20
		.amdhsa_accum_offset 16
		.amdhsa_reserve_vcc 1
		.amdhsa_float_round_mode_32 0
		.amdhsa_float_round_mode_16_64 0
		.amdhsa_float_denorm_mode_32 3
		.amdhsa_float_denorm_mode_16_64 3
		.amdhsa_dx10_clamp 1
		.amdhsa_ieee_mode 1
		.amdhsa_fp16_overflow 0
		.amdhsa_tg_split 0
		.amdhsa_exception_fp_ieee_invalid_op 0
		.amdhsa_exception_fp_denorm_src 0
		.amdhsa_exception_fp_ieee_div_zero 0
		.amdhsa_exception_fp_ieee_overflow 0
		.amdhsa_exception_fp_ieee_underflow 0
		.amdhsa_exception_fp_ieee_inexact 0
		.amdhsa_exception_int_div_zero 0
	.end_amdhsa_kernel
	.section	.text._ZL33flash_attn_stream_k_fixup_uniformILi80ELi8ELi8EEvPfPK15HIP_vector_typeIfLj2EEiiiiiiS1_IjLj3EES5_S5_,"axG",@progbits,_ZL33flash_attn_stream_k_fixup_uniformILi80ELi8ELi8EEvPfPK15HIP_vector_typeIfLj2EEiiiiiiS1_IjLj3EES5_S5_,comdat
.Lfunc_end2:
	.size	_ZL33flash_attn_stream_k_fixup_uniformILi80ELi8ELi8EEvPfPK15HIP_vector_typeIfLj2EEiiiiiiS1_IjLj3EES5_S5_, .Lfunc_end2-_ZL33flash_attn_stream_k_fixup_uniformILi80ELi8ELi8EEvPfPK15HIP_vector_typeIfLj2EEiiiiiiS1_IjLj3EES5_S5_
                                        ; -- End function
	.section	.AMDGPU.csdata,"",@progbits
; Kernel info:
; codeLenInByte = 836
; NumSgprs: 26
; NumVgprs: 16
; NumAgprs: 0
; TotalNumVgprs: 16
; ScratchSize: 0
; MemoryBound: 0
; FloatMode: 240
; IeeeMode: 1
; LDSByteSize: 0 bytes/workgroup (compile time only)
; SGPRBlocks: 3
; VGPRBlocks: 1
; NumSGPRsForWavesPerEU: 26
; NumVGPRsForWavesPerEU: 16
; AccumOffset: 16
; Occupancy: 8
; WaveLimiterHint : 0
; COMPUTE_PGM_RSRC2:SCRATCH_EN: 0
; COMPUTE_PGM_RSRC2:USER_SGPR: 2
; COMPUTE_PGM_RSRC2:TRAP_HANDLER: 0
; COMPUTE_PGM_RSRC2:TGID_X_EN: 1
; COMPUTE_PGM_RSRC2:TGID_Y_EN: 1
; COMPUTE_PGM_RSRC2:TGID_Z_EN: 1
; COMPUTE_PGM_RSRC2:TIDIG_COMP_CNT: 0
; COMPUTE_PGM_RSRC3_GFX90A:ACCUM_OFFSET: 3
; COMPUTE_PGM_RSRC3_GFX90A:TG_SPLIT: 0
	.section	.text._ZL33flash_attn_stream_k_fixup_generalILi80ELi8ELi8EEvPfPK15HIP_vector_typeIfLj2EEiiiiS1_IjLj3EES5_S5_S5_,"axG",@progbits,_ZL33flash_attn_stream_k_fixup_generalILi80ELi8ELi8EEvPfPK15HIP_vector_typeIfLj2EEiiiiS1_IjLj3EES5_S5_S5_,comdat
	.globl	_ZL33flash_attn_stream_k_fixup_generalILi80ELi8ELi8EEvPfPK15HIP_vector_typeIfLj2EEiiiiS1_IjLj3EES5_S5_S5_ ; -- Begin function _ZL33flash_attn_stream_k_fixup_generalILi80ELi8ELi8EEvPfPK15HIP_vector_typeIfLj2EEiiiiS1_IjLj3EES5_S5_S5_
	.p2align	8
	.type	_ZL33flash_attn_stream_k_fixup_generalILi80ELi8ELi8EEvPfPK15HIP_vector_typeIfLj2EEiiiiS1_IjLj3EES5_S5_S5_,@function
_ZL33flash_attn_stream_k_fixup_generalILi80ELi8ELi8EEvPfPK15HIP_vector_typeIfLj2EEiiiiS1_IjLj3EES5_S5_S5_: ; @_ZL33flash_attn_stream_k_fixup_generalILi80ELi8ELi8EEvPfPK15HIP_vector_typeIfLj2EEiiiiS1_IjLj3EES5_S5_S5_
; %bb.0:
	s_load_dwordx4 s[12:15], s[0:1], 0x10
	s_load_dword s22, s[0:1], 0x50
	s_mov_b32 s8, 0
	s_waitcnt lgkmcnt(0)
	s_mul_hi_i32 s9, s15, s2
	s_cmp_lg_u64 s[8:9], 0
	s_mul_i32 s5, s15, s2
	s_cbranch_scc0 .LBB3_21
; %bb.1:
	v_cvt_f32_u32_e32 v1, s22
	v_cvt_f32_ubyte0_e32 v2, 0
	s_sub_u32 s8, 0, s22
	s_subb_u32 s10, 0, 0
	v_fmamk_f32 v1, v2, 0x4f800000, v1
	v_rcp_f32_e32 v1, v1
	s_nop 0
	v_mul_f32_e32 v1, 0x5f7ffffc, v1
	v_mul_f32_e32 v2, 0x2f800000, v1
	v_trunc_f32_e32 v2, v2
	v_fmamk_f32 v1, v2, 0xcf800000, v1
	v_cvt_u32_f32_e32 v2, v2
	v_cvt_u32_f32_e32 v1, v1
	v_readfirstlane_b32 s11, v2
	v_readfirstlane_b32 s16, v1
	s_mul_i32 s17, s8, s11
	s_mul_hi_u32 s19, s8, s16
	s_mul_i32 s18, s10, s16
	s_add_i32 s17, s19, s17
	s_add_i32 s17, s17, s18
	s_mul_i32 s20, s8, s16
	s_mul_hi_u32 s18, s16, s17
	s_mul_i32 s19, s16, s17
	s_mul_hi_u32 s16, s16, s20
	s_add_u32 s16, s16, s19
	s_addc_u32 s18, 0, s18
	s_mul_hi_u32 s21, s11, s20
	s_mul_i32 s20, s11, s20
	s_add_u32 s16, s16, s20
	s_mul_hi_u32 s19, s11, s17
	s_addc_u32 s16, s18, s21
	s_addc_u32 s18, s19, 0
	s_mul_i32 s17, s11, s17
	s_add_u32 s16, s16, s17
	s_addc_u32 s17, 0, s18
	v_add_co_u32_e32 v1, vcc, s16, v1
	s_cmp_lg_u64 vcc, 0
	s_addc_u32 s11, s11, s17
	v_readfirstlane_b32 s17, v1
	s_mul_i32 s16, s8, s11
	s_mul_hi_u32 s18, s8, s17
	s_add_i32 s16, s18, s16
	s_mul_i32 s10, s10, s17
	s_add_i32 s16, s16, s10
	s_mul_i32 s8, s8, s17
	s_mul_hi_u32 s18, s11, s8
	s_mul_i32 s19, s11, s8
	s_mul_i32 s21, s17, s16
	s_mul_hi_u32 s8, s17, s8
	s_mul_hi_u32 s20, s17, s16
	s_add_u32 s8, s8, s21
	s_addc_u32 s17, 0, s20
	s_add_u32 s8, s8, s19
	s_mul_hi_u32 s10, s11, s16
	s_addc_u32 s8, s17, s18
	s_addc_u32 s10, s10, 0
	s_mul_i32 s16, s11, s16
	s_add_u32 s8, s8, s16
	s_addc_u32 s10, 0, s10
	v_add_co_u32_e32 v1, vcc, s8, v1
	s_cmp_lg_u64 vcc, 0
	s_addc_u32 s16, s11, s10
	s_ashr_i32 s10, s9, 31
	s_add_u32 s8, s5, s10
	s_mov_b32 s11, s10
	s_addc_u32 s9, s9, s10
	s_xor_b64 s[8:9], s[8:9], s[10:11]
	v_readfirstlane_b32 s19, v1
	s_mul_i32 s18, s8, s16
	s_mul_hi_u32 s20, s8, s19
	s_mul_hi_u32 s17, s8, s16
	s_add_u32 s18, s20, s18
	s_addc_u32 s17, 0, s17
	s_mul_hi_u32 s21, s9, s19
	s_mul_i32 s19, s9, s19
	s_add_u32 s18, s18, s19
	s_mul_hi_u32 s20, s9, s16
	s_addc_u32 s17, s17, s21
	s_addc_u32 s18, s20, 0
	s_mul_i32 s16, s9, s16
	s_add_u32 s16, s17, s16
	s_addc_u32 s17, 0, s18
	s_add_u32 s18, s16, 1
	s_addc_u32 s19, s17, 0
	s_add_u32 s20, s16, 2
	s_mul_i32 s23, s22, s17
	s_mul_hi_u32 s24, s22, s16
	s_addc_u32 s21, s17, 0
	s_add_i32 s24, s24, s23
	s_mul_i32 s23, s22, s16
	v_mov_b32_e32 v1, s23
	v_sub_co_u32_e32 v1, vcc, s8, v1
	s_cmp_lg_u64 vcc, 0
	s_subb_u32 s8, s9, s24
	v_subrev_co_u32_e32 v2, vcc, s22, v1
	s_cmp_lg_u64 vcc, 0
	s_subb_u32 s9, s8, 0
	v_readfirstlane_b32 s23, v2
	s_cmp_ge_u32 s23, s22
	s_cselect_b32 s23, -1, 0
	s_cmp_eq_u32 s9, 0
	s_cselect_b32 s9, s23, -1
	s_cmp_lg_u32 s9, 0
	s_cselect_b32 s9, s21, s19
	v_readfirstlane_b32 s19, v1
	s_cselect_b32 s18, s20, s18
	s_cmp_ge_u32 s19, s22
	s_cselect_b32 s19, -1, 0
	s_cmp_eq_u32 s8, 0
	s_cselect_b32 s8, s19, -1
	s_cmp_lg_u32 s8, 0
	s_cselect_b32 s9, s9, s17
	s_cselect_b32 s8, s18, s16
	s_xor_b64 s[8:9], s[8:9], s[10:11]
	s_sub_u32 s20, s8, s10
	s_load_dwordx4 s[16:19], s[0:1], 0x44
	s_cbranch_execnz .LBB3_3
.LBB3_2:
	v_cvt_f32_u32_e32 v1, s22
	s_sub_i32 s6, 0, s22
	v_rcp_iflag_f32_e32 v1, v1
	s_nop 0
	v_mul_f32_e32 v1, 0x4f7ffffe, v1
	v_cvt_u32_f32_e32 v1, v1
	s_nop 0
	v_readfirstlane_b32 s7, v1
	s_mul_i32 s6, s6, s7
	s_mul_hi_u32 s6, s7, s6
	s_add_i32 s7, s7, s6
	s_mul_hi_u32 s6, s5, s7
	s_mul_i32 s8, s6, s22
	s_sub_i32 s5, s5, s8
	s_add_i32 s7, s6, 1
	s_sub_i32 s8, s5, s22
	s_cmp_ge_u32 s5, s22
	s_cselect_b32 s6, s7, s6
	s_cselect_b32 s5, s8, s5
	s_add_i32 s7, s6, 1
	s_cmp_ge_u32 s5, s22
	s_cselect_b32 s20, s7, s6
.LBB3_3:
	s_add_i32 s5, s2, 1
	s_mul_hi_i32 s9, s15, s5
	s_mov_b32 s8, 0
	s_cmp_lg_u64 s[8:9], 0
	s_mul_i32 s5, s15, s5
	s_cbranch_scc0 .LBB3_22
; %bb.4:
	v_cvt_f32_u32_e32 v1, s22
	v_cvt_f32_ubyte0_e32 v2, 0
	s_sub_u32 s8, 0, s22
	s_subb_u32 s10, 0, 0
	v_fmamk_f32 v1, v2, 0x4f800000, v1
	v_rcp_f32_e32 v1, v1
	s_nop 0
	v_mul_f32_e32 v1, 0x5f7ffffc, v1
	v_mul_f32_e32 v2, 0x2f800000, v1
	v_trunc_f32_e32 v2, v2
	v_fmamk_f32 v1, v2, 0xcf800000, v1
	v_cvt_u32_f32_e32 v2, v2
	v_cvt_u32_f32_e32 v1, v1
	v_readfirstlane_b32 s11, v2
	s_waitcnt lgkmcnt(0)
	v_readfirstlane_b32 s19, v1
	s_mul_i32 s21, s8, s11
	s_mul_hi_u32 s24, s8, s19
	s_mul_i32 s23, s10, s19
	s_add_i32 s21, s24, s21
	s_add_i32 s21, s21, s23
	s_mul_i32 s25, s8, s19
	s_mul_hi_u32 s23, s19, s21
	s_mul_i32 s24, s19, s21
	s_mul_hi_u32 s19, s19, s25
	s_add_u32 s19, s19, s24
	s_addc_u32 s23, 0, s23
	s_mul_hi_u32 s26, s11, s25
	s_mul_i32 s25, s11, s25
	s_add_u32 s19, s19, s25
	s_mul_hi_u32 s24, s11, s21
	s_addc_u32 s19, s23, s26
	s_addc_u32 s23, s24, 0
	s_mul_i32 s21, s11, s21
	s_add_u32 s19, s19, s21
	s_addc_u32 s21, 0, s23
	v_add_co_u32_e32 v1, vcc, s19, v1
	s_cmp_lg_u64 vcc, 0
	s_addc_u32 s11, s11, s21
	v_readfirstlane_b32 s21, v1
	s_mul_i32 s19, s8, s11
	s_mul_hi_u32 s23, s8, s21
	s_add_i32 s19, s23, s19
	s_mul_i32 s10, s10, s21
	s_add_i32 s19, s19, s10
	s_mul_i32 s8, s8, s21
	s_mul_hi_u32 s23, s11, s8
	s_mul_i32 s24, s11, s8
	s_mul_i32 s26, s21, s19
	s_mul_hi_u32 s8, s21, s8
	s_mul_hi_u32 s25, s21, s19
	s_add_u32 s8, s8, s26
	s_addc_u32 s21, 0, s25
	s_add_u32 s8, s8, s24
	s_mul_hi_u32 s10, s11, s19
	s_addc_u32 s8, s21, s23
	s_addc_u32 s10, s10, 0
	s_mul_i32 s19, s11, s19
	s_add_u32 s8, s8, s19
	s_addc_u32 s10, 0, s10
	v_add_co_u32_e32 v1, vcc, s8, v1
	s_cmp_lg_u64 vcc, 0
	s_addc_u32 s19, s11, s10
	s_ashr_i32 s10, s9, 31
	s_add_u32 s8, s5, s10
	s_mov_b32 s11, s10
	s_addc_u32 s9, s9, s10
	s_xor_b64 s[8:9], s[8:9], s[10:11]
	v_readfirstlane_b32 s23, v1
	s_mul_i32 s21, s8, s19
	s_mul_hi_u32 s24, s8, s23
	s_mul_hi_u32 s11, s8, s19
	s_add_u32 s21, s24, s21
	s_addc_u32 s11, 0, s11
	s_mul_hi_u32 s25, s9, s23
	s_mul_i32 s23, s9, s23
	s_add_u32 s21, s21, s23
	s_mul_hi_u32 s24, s9, s19
	s_addc_u32 s11, s11, s25
	s_addc_u32 s21, s24, 0
	s_mul_i32 s19, s9, s19
	s_add_u32 s11, s11, s19
	s_addc_u32 s19, 0, s21
	s_mul_i32 s19, s22, s19
	s_mul_hi_u32 s24, s22, s11
	s_add_i32 s24, s24, s19
	s_mul_i32 s19, s22, s11
	v_mov_b32_e32 v1, s19
	s_add_u32 s21, s11, 1
	s_add_u32 s23, s11, 2
	v_sub_co_u32_e32 v1, vcc, s8, v1
	s_cmp_lg_u64 vcc, 0
	s_subb_u32 s8, s9, s24
	v_subrev_co_u32_e32 v2, vcc, s22, v1
	s_cmp_lg_u64 vcc, 0
	s_subb_u32 s9, s8, 0
	v_cmp_le_u32_e32 vcc, s22, v2
	s_cmp_eq_u32 s9, 0
	v_mov_b32_e32 v3, s21
	v_cndmask_b32_e64 v2, 0, -1, vcc
	s_cselect_b64 vcc, -1, 0
	v_cndmask_b32_e32 v2, -1, v2, vcc
	v_mov_b32_e32 v4, s23
	v_cmp_ne_u32_e32 vcc, 0, v2
	s_cmp_eq_u32 s8, 0
	s_nop 0
	v_cndmask_b32_e32 v2, v3, v4, vcc
	v_cmp_le_u32_e32 vcc, s22, v1
	v_mov_b32_e32 v3, s11
	s_nop 0
	v_cndmask_b32_e64 v1, 0, -1, vcc
	s_cselect_b64 vcc, -1, 0
	v_cndmask_b32_e32 v1, -1, v1, vcc
	v_cmp_ne_u32_e32 vcc, 0, v1
	s_nop 1
	v_cndmask_b32_e32 v1, v3, v2, vcc
	v_xor_b32_e32 v1, s10, v1
	v_subrev_co_u32_e32 v2, vcc, s10, v1
	s_cbranch_execnz .LBB3_6
.LBB3_5:
	v_cvt_f32_u32_e32 v1, s22
	s_sub_i32 s6, 0, s22
	s_mov_b32 s7, 0
	v_rcp_iflag_f32_e32 v1, v1
	s_nop 0
	v_mul_f32_e32 v1, 0x4f7ffffe, v1
	v_cvt_u32_f32_e32 v1, v1
	s_nop 0
	v_readfirstlane_b32 s8, v1
	s_mul_i32 s6, s6, s8
	s_mul_hi_u32 s6, s8, s6
	s_add_i32 s8, s8, s6
	s_mul_hi_u32 s6, s5, s8
	s_mul_i32 s9, s6, s22
	s_sub_i32 s5, s5, s9
	s_add_i32 s8, s6, 1
	s_sub_i32 s9, s5, s22
	s_cmp_ge_u32 s5, s22
	s_cselect_b32 s6, s8, s6
	s_cselect_b32 s5, s9, s5
	s_add_i32 s8, s6, 1
	s_cmp_ge_u32 s5, s22
	s_cselect_b32 s6, s8, s6
	v_mov_b64_e32 v[2:3], s[6:7]
.LBB3_6:
	s_waitcnt lgkmcnt(0)
	s_mul_hi_u32 s5, s20, s16
	s_add_i32 s5, s5, s20
	v_mul_hi_u32 v1, v2, s16
	s_lshr_b32 s19, s5, s17
	v_add_u32_e32 v1, v1, v2
	s_mul_i32 s5, s19, s18
	v_lshrrev_b32_e32 v1, s17, v1
	s_cmp_eq_u32 s5, s20
	v_cmp_eq_u32_e64 s[6:7], s19, v1
	v_mul_lo_u32 v1, v1, s18
	v_cmp_eq_u32_e32 vcc, s20, v2
	s_cselect_b64 s[10:11], -1, 0
	v_cmp_ne_u32_e64 s[8:9], v1, v2
	s_and_b64 s[6:7], s[6:7], s[8:9]
	s_or_b64 s[8:9], vcc, s[10:11]
	s_or_b64 s[6:7], s[8:9], s[6:7]
	s_and_b64 vcc, exec, s[6:7]
	s_cbranch_vccnz .LBB3_24
; %bb.7:
	s_load_dwordx8 s[24:31], s[0:1], 0x20
	s_load_dword s5, s[0:1], 0x40
	s_waitcnt lgkmcnt(0)
	s_mul_hi_u32 s6, s20, s24
	s_add_i32 s6, s6, s20
	s_lshr_b32 s7, s6, s25
	s_mul_i32 s6, s7, s26
	s_sub_i32 s6, s20, s6
	s_mul_hi_u32 s8, s6, s27
	s_add_i32 s8, s6, s8
	s_lshr_b32 s23, s8, s28
	s_mul_i32 s8, s23, s29
	s_sub_i32 s6, s6, s8
	;; [unrolled: 5-line block ×3, first 2 shown]
	s_mul_hi_u32 s6, s5, s16
	s_add_i32 s5, s5, s6
	s_lshr_b32 s24, s5, s17
	s_lshl_b32 s5, s24, 3
	s_lshl_b32 s25, s8, 3
	s_add_i32 s5, s5, s3
	s_cmp_lt_i32 s5, s12
	s_cselect_b64 s[8:9], -1, 0
	s_add_i32 s25, s25, s4
	s_cmp_lt_i32 s25, s14
	s_cselect_b64 s[10:11], -1, 0
	s_and_b64 s[8:9], s[8:9], s[10:11]
	s_andn2_b64 vcc, exec, s[8:9]
	s_mov_b32 s6, 0
	s_cbranch_vccnz .LBB3_24
; %bb.8:
	s_load_dwordx4 s[8:11], s[0:1], 0x0
	s_lshl_b32 s21, s3, 3
	s_lshl_b32 s0, s22, 8
	s_mov_b32 s1, s6
	s_add_i32 s21, s21, s4
	s_lshl_b64 s[0:1], s[0:1], 2
	s_waitcnt lgkmcnt(0)
	s_add_u32 s4, s10, s0
	s_mul_i32 s0, s7, s12
	s_addc_u32 s5, s11, s1
	s_mul_i32 s23, s23, s14
	s_add_i32 s0, s0, s3
	s_mul_i32 s0, s0, s13
	s_add_i32 s3, s25, s23
	;; [unrolled: 2-line block ×3, first 2 shown]
	s_mulk_i32 s1, 0x280
	s_mulk_i32 s0, 0x50
	s_add_i32 s1, s1, s0
	v_add_u32_e32 v4, s1, v0
	v_mov_b32_e32 v2, s8
	v_mov_b32_e32 v3, s9
	v_ashrrev_i32_e32 v5, 31, v4
	v_lshl_add_u64 v[2:3], v[4:5], 2, v[2:3]
	global_load_dword v5, v[2:3], off
	s_lshl_b32 s0, s2, 6
	s_add_i32 s0, s21, s0
	s_ashr_i32 s1, s0, 31
	s_lshl_b64 s[0:1], s[0:1], 3
	s_add_u32 s0, s10, s0
	s_addc_u32 s1, s11, s1
	s_add_i32 s12, s2, -1
	s_mul_i32 s2, s21, 0x50
	v_add_u32_e32 v4, s2, v0
	v_cvt_f32_u32_e32 v0, s22
	v_cvt_f32_ubyte0_e32 v1, 0
	s_load_dwordx2 s[0:1], s[0:1], 0x0
	v_mov_b32_e32 v8, s20
	v_fmac_f32_e32 v0, 0x4f800000, v1
	v_rcp_f32_e32 v0, v0
	v_cvt_f32_u32_e32 v1, s22
	s_waitcnt lgkmcnt(0)
	v_mov_b32_e32 v6, s1
	v_mov_b32_e32 v7, s0
	v_mul_f32_e32 v0, 0x5f7ffffc, v0
	v_rcp_iflag_f32_e32 v1, v1
	v_mul_f32_e32 v9, 0x2f800000, v0
	v_trunc_f32_e32 v10, v9
	v_fmac_f32_e32 v0, 0xcf800000, v10
	v_cvt_u32_f32_e32 v9, v0
	v_mul_f32_e32 v0, 0x4f7ffffe, v1
	v_cvt_u32_f32_e32 v10, v10
	v_cvt_u32_f32_e32 v11, v0
	s_mov_b32 s8, 0x3fb8aa3b
	s_mov_b32 s9, 0xc2ce8ed0
	;; [unrolled: 1-line block ×4, first 2 shown]
	v_mov_b32_e32 v12, 0x7f800000
	s_mul_hi_i32 s7, s12, s15
	s_cmp_lg_u64 s[6:7], 0
	s_mul_i32 s2, s12, s15
	s_cbranch_scc0 .LBB3_15
.LBB3_9:
	s_sub_u32 s0, 0, s22
	v_readfirstlane_b32 s3, v9
	v_readfirstlane_b32 s24, v10
	s_subb_u32 s1, 0, 0
	s_mul_hi_u32 s23, s0, s3
	s_mul_i32 s25, s0, s24
	s_mul_i32 s20, s1, s3
	s_add_i32 s23, s23, s25
	s_add_i32 s23, s23, s20
	s_mul_i32 s26, s0, s3
	s_mul_hi_u32 s20, s3, s23
	s_mul_i32 s25, s3, s23
	s_mul_hi_u32 s3, s3, s26
	s_add_u32 s3, s3, s25
	s_addc_u32 s20, 0, s20
	s_mul_hi_u32 s27, s24, s26
	s_mul_i32 s26, s24, s26
	s_add_u32 s3, s3, s26
	s_mul_hi_u32 s25, s24, s23
	s_addc_u32 s3, s20, s27
	s_addc_u32 s20, s25, 0
	s_mul_i32 s23, s24, s23
	s_add_u32 s3, s3, s23
	s_addc_u32 s20, 0, s20
	v_add_co_u32_e32 v0, vcc, s3, v9
	s_cmp_lg_u64 vcc, 0
	s_addc_u32 s3, s24, s20
	v_readfirstlane_b32 s23, v0
	s_mul_i32 s20, s0, s3
	s_mul_hi_u32 s24, s0, s23
	s_add_i32 s20, s24, s20
	s_mul_i32 s1, s1, s23
	s_add_i32 s20, s20, s1
	s_mul_i32 s0, s0, s23
	s_mul_hi_u32 s24, s3, s0
	s_mul_i32 s25, s3, s0
	s_mul_i32 s27, s23, s20
	s_mul_hi_u32 s0, s23, s0
	s_mul_hi_u32 s26, s23, s20
	s_add_u32 s0, s0, s27
	s_addc_u32 s23, 0, s26
	s_add_u32 s0, s0, s25
	s_mul_hi_u32 s1, s3, s20
	s_addc_u32 s0, s23, s24
	s_addc_u32 s1, s1, 0
	s_mul_i32 s20, s3, s20
	s_add_u32 s0, s0, s20
	s_addc_u32 s1, 0, s1
	v_add_co_u32_e32 v0, vcc, s0, v0
	s_cmp_lg_u64 vcc, 0
	s_addc_u32 s3, s3, s1
	s_ashr_i32 s0, s7, 31
	s_add_u32 s24, s2, s0
	s_mov_b32 s1, s0
	s_addc_u32 s25, s7, s0
	s_xor_b64 s[24:25], s[24:25], s[0:1]
	v_readfirstlane_b32 s20, v0
	s_mul_i32 s7, s24, s3
	s_mul_hi_u32 s23, s24, s20
	s_mul_hi_u32 s1, s24, s3
	s_add_u32 s7, s23, s7
	s_addc_u32 s1, 0, s1
	s_mul_hi_u32 s26, s25, s20
	s_mul_i32 s20, s25, s20
	s_add_u32 s7, s7, s20
	s_mul_hi_u32 s23, s25, s3
	s_addc_u32 s1, s1, s26
	s_addc_u32 s7, s23, 0
	s_mul_i32 s3, s25, s3
	s_add_u32 s1, s1, s3
	s_addc_u32 s3, 0, s7
	s_mul_i32 s3, s22, s3
	s_mul_hi_u32 s23, s22, s1
	s_add_i32 s23, s23, s3
	s_mul_i32 s3, s22, s1
	v_mov_b32_e32 v0, s3
	s_add_u32 s7, s1, 1
	s_add_u32 s20, s1, 2
	v_sub_co_u32_e32 v0, vcc, s24, v0
	s_cmp_lg_u64 vcc, 0
	s_subb_u32 s3, s25, s23
	v_subrev_co_u32_e32 v1, vcc, s22, v0
	s_cmp_lg_u64 vcc, 0
	s_subb_u32 s23, s3, 0
	v_cmp_le_u32_e32 vcc, s22, v1
	s_cmp_eq_u32 s23, 0
	v_mov_b32_e32 v13, s7
	v_cndmask_b32_e64 v1, 0, -1, vcc
	s_cselect_b64 vcc, -1, 0
	v_cndmask_b32_e32 v1, -1, v1, vcc
	v_mov_b32_e32 v14, s20
	v_cmp_ne_u32_e32 vcc, 0, v1
	s_cmp_eq_u32 s3, 0
	s_nop 0
	v_cndmask_b32_e32 v1, v13, v14, vcc
	v_cmp_le_u32_e32 vcc, s22, v0
	v_mov_b32_e32 v13, s1
	s_nop 0
	v_cndmask_b32_e64 v0, 0, -1, vcc
	s_cselect_b64 vcc, -1, 0
	v_cndmask_b32_e32 v0, -1, v0, vcc
	v_cmp_ne_u32_e32 vcc, 0, v0
	s_nop 1
	v_cndmask_b32_e32 v0, v13, v1, vcc
	v_xor_b32_e32 v0, s0, v0
	v_subrev_co_u32_e32 v0, vcc, s0, v0
	s_cbranch_execnz .LBB3_11
.LBB3_10:
	s_sub_i32 s0, 0, s22
	v_mul_lo_u32 v0, s0, v11
	v_mul_hi_u32 v0, v11, v0
	v_add_u32_e32 v0, v11, v0
	v_mul_hi_u32 v0, s2, v0
	v_mul_lo_u32 v13, v0, s22
	v_sub_u32_e32 v13, s2, v13
	v_add_u32_e32 v1, 1, v0
	v_subrev_u32_e32 v14, s22, v13
	v_cmp_le_u32_e32 vcc, s22, v13
	s_nop 1
	v_cndmask_b32_e32 v13, v13, v14, vcc
	v_cndmask_b32_e32 v0, v0, v1, vcc
	v_add_u32_e32 v1, 1, v0
	v_cmp_le_u32_e32 vcc, s22, v13
	s_nop 1
	v_cndmask_b32_e32 v0, v0, v1, vcc
.LBB3_11:
	v_cmp_ne_u32_e32 vcc, v8, v0
	s_cbranch_vccz .LBB3_14
; %bb.12:
	s_add_i32 s0, s12, s22
	s_lshl_b32 s0, s0, 6
	v_mul_hi_u32 v1, v0, s16
	s_add_i32 s0, s0, s21
	s_mov_b32 s1, s6
	v_add_u32_e32 v1, v1, v0
	s_lshl_b64 s[0:1], s[0:1], 3
	v_lshrrev_b32_e32 v1, s17, v1
	s_add_u32 s2, s10, s0
	v_mul_lo_u32 v13, v1, s18
	s_addc_u32 s3, s11, s1
	v_cmp_eq_u32_e32 vcc, v13, v0
	v_cmp_gt_u32_e64 s[0:1], s19, v1
	s_or_b64 s[0:1], s[0:1], vcc
	s_and_b64 vcc, exec, s[0:1]
	s_cbranch_vccnz .LBB3_16
; %bb.13:
	s_add_i32 s7, s12, -1
	s_mov_b64 s[0:1], 0
	s_branch .LBB3_17
.LBB3_14:
                                        ; implicit-def: $sgpr0_sgpr1
                                        ; implicit-def: $vgpr14
                                        ; implicit-def: $vgpr1
                                        ; implicit-def: $vgpr13
                                        ; implicit-def: $sgpr7
                                        ; implicit-def: $vgpr0
	s_branch .LBB3_18
.LBB3_15:
                                        ; implicit-def: $vgpr0_vgpr1
	s_branch .LBB3_10
.LBB3_16:
	s_mov_b64 s[0:1], -1
	s_mov_b32 s7, s12
	v_mov_b32_e32 v0, v8
.LBB3_17:
	s_mul_i32 s20, s12, 0x1400
	v_add_u32_e32 v14, s20, v4
	v_ashrrev_i32_e32 v15, 31, v14
	v_lshl_add_u64 v[14:15], v[14:15], 2, s[4:5]
	global_load_dword v14, v[14:15], off
	s_load_dwordx2 s[2:3], s[2:3], 0x0
	v_max_f32_e32 v1, v7, v7
	s_waitcnt lgkmcnt(0)
	v_max_f32_e64 v13, s2, s2
	v_max_f32_e32 v1, v1, v13
	v_sub_f32_e32 v13, v7, v1
	v_sub_f32_e32 v15, s2, v1
	v_mul_f32_e32 v16, 0x3fb8aa3b, v13
	v_mul_f32_e32 v17, 0x3fb8aa3b, v15
	v_fma_f32 v18, v13, s8, -v16
	v_rndne_f32_e32 v19, v16
	v_fma_f32 v20, v15, s8, -v17
	v_rndne_f32_e32 v21, v17
	v_fmac_f32_e32 v18, 0x32a5705f, v13
	v_sub_f32_e32 v16, v16, v19
	v_fmac_f32_e32 v20, 0x32a5705f, v15
	v_sub_f32_e32 v17, v17, v21
	v_add_f32_e32 v16, v16, v18
	v_cvt_i32_f32_e32 v19, v19
	v_add_f32_e32 v17, v17, v20
	v_exp_f32_e32 v16, v16
	v_cvt_i32_f32_e32 v21, v21
	v_exp_f32_e32 v17, v17
	v_cmp_ngt_f32_e32 vcc, s9, v13
	v_ldexp_f32 v16, v16, v19
	v_ldexp_f32 v17, v17, v21
	v_cndmask_b32_e32 v16, 0, v16, vcc
	v_cmp_ngt_f32_e32 vcc, s9, v15
	s_nop 1
	v_cndmask_b32_e32 v17, 0, v17, vcc
	v_cmp_nlt_f32_e32 vcc, s13, v13
	s_nop 1
	v_cndmask_b32_e32 v16, v12, v16, vcc
	v_cmp_nlt_f32_e32 vcc, s13, v15
	s_nop 1
	v_cndmask_b32_e32 v17, v12, v17, vcc
	v_cmp_le_f32_e32 vcc, s14, v13
	s_nop 1
	v_cndmask_b32_e32 v16, 0, v16, vcc
	v_cmp_le_f32_e32 vcc, s14, v15
	s_nop 1
	v_cndmask_b32_e32 v15, 0, v17, vcc
	v_mul_f32_e32 v13, s3, v15
	v_fmac_f32_e32 v13, v6, v16
	s_waitcnt vmcnt(0)
	v_mul_f32_e32 v14, v14, v15
	v_fmac_f32_e32 v14, v5, v16
	s_cbranch_execnz .LBB3_19
.LBB3_18:
	s_add_i32 s7, s12, -1
	s_mov_b64 s[0:1], 0
	v_mov_b32_e32 v0, v8
	v_mov_b32_e32 v13, v6
	;; [unrolled: 1-line block ×3, first 2 shown]
	s_waitcnt vmcnt(0)
	v_mov_b32_e32 v14, v5
.LBB3_19:
	s_andn2_b64 vcc, exec, s[0:1]
	s_cbranch_vccz .LBB3_23
; %bb.20:
	v_mov_b32_e32 v8, v0
	s_mov_b32 s12, s7
	v_mov_b32_e32 v6, v13
	v_mov_b32_e32 v7, v1
	s_waitcnt vmcnt(0)
	v_mov_b32_e32 v5, v14
	s_mul_hi_i32 s7, s12, s15
	s_cmp_lg_u64 s[6:7], 0
	s_mul_i32 s2, s12, s15
	s_cbranch_scc1 .LBB3_9
	s_branch .LBB3_15
.LBB3_21:
                                        ; implicit-def: $sgpr20_sgpr21
	s_load_dwordx4 s[16:19], s[0:1], 0x44
	s_branch .LBB3_2
.LBB3_22:
                                        ; implicit-def: $vgpr2_vgpr3
	s_branch .LBB3_5
.LBB3_23:
	v_div_scale_f32 v0, s[0:1], v13, v13, v14
	v_rcp_f32_e32 v1, v0
	v_div_scale_f32 v4, vcc, v14, v13, v14
	s_waitcnt vmcnt(0)
	v_fma_f32 v5, -v0, v1, 1.0
	v_fmac_f32_e32 v1, v5, v1
	v_mul_f32_e32 v5, v4, v1
	v_fma_f32 v6, -v0, v5, v4
	v_fmac_f32_e32 v5, v6, v1
	v_fma_f32 v0, -v0, v5, v4
	v_div_fmas_f32 v0, v0, v1, v5
	v_div_fixup_f32 v0, v0, v13, v14
	global_store_dword v[2:3], v0, off
.LBB3_24:
	s_endpgm
	.section	.rodata,"a",@progbits
	.p2align	6, 0x0
	.amdhsa_kernel _ZL33flash_attn_stream_k_fixup_generalILi80ELi8ELi8EEvPfPK15HIP_vector_typeIfLj2EEiiiiS1_IjLj3EES5_S5_S5_
		.amdhsa_group_segment_fixed_size 0
		.amdhsa_private_segment_fixed_size 0
		.amdhsa_kernarg_size 336
		.amdhsa_user_sgpr_count 2
		.amdhsa_user_sgpr_dispatch_ptr 0
		.amdhsa_user_sgpr_queue_ptr 0
		.amdhsa_user_sgpr_kernarg_segment_ptr 1
		.amdhsa_user_sgpr_dispatch_id 0
		.amdhsa_user_sgpr_kernarg_preload_length 0
		.amdhsa_user_sgpr_kernarg_preload_offset 0
		.amdhsa_user_sgpr_private_segment_size 0
		.amdhsa_uses_dynamic_stack 0
		.amdhsa_enable_private_segment 0
		.amdhsa_system_sgpr_workgroup_id_x 1
		.amdhsa_system_sgpr_workgroup_id_y 1
		.amdhsa_system_sgpr_workgroup_id_z 1
		.amdhsa_system_sgpr_workgroup_info 0
		.amdhsa_system_vgpr_workitem_id 0
		.amdhsa_next_free_vgpr 22
		.amdhsa_next_free_sgpr 32
		.amdhsa_accum_offset 24
		.amdhsa_reserve_vcc 1
		.amdhsa_float_round_mode_32 0
		.amdhsa_float_round_mode_16_64 0
		.amdhsa_float_denorm_mode_32 3
		.amdhsa_float_denorm_mode_16_64 3
		.amdhsa_dx10_clamp 1
		.amdhsa_ieee_mode 1
		.amdhsa_fp16_overflow 0
		.amdhsa_tg_split 0
		.amdhsa_exception_fp_ieee_invalid_op 0
		.amdhsa_exception_fp_denorm_src 0
		.amdhsa_exception_fp_ieee_div_zero 0
		.amdhsa_exception_fp_ieee_overflow 0
		.amdhsa_exception_fp_ieee_underflow 0
		.amdhsa_exception_fp_ieee_inexact 0
		.amdhsa_exception_int_div_zero 0
	.end_amdhsa_kernel
	.section	.text._ZL33flash_attn_stream_k_fixup_generalILi80ELi8ELi8EEvPfPK15HIP_vector_typeIfLj2EEiiiiS1_IjLj3EES5_S5_S5_,"axG",@progbits,_ZL33flash_attn_stream_k_fixup_generalILi80ELi8ELi8EEvPfPK15HIP_vector_typeIfLj2EEiiiiS1_IjLj3EES5_S5_S5_,comdat
.Lfunc_end3:
	.size	_ZL33flash_attn_stream_k_fixup_generalILi80ELi8ELi8EEvPfPK15HIP_vector_typeIfLj2EEiiiiS1_IjLj3EES5_S5_S5_, .Lfunc_end3-_ZL33flash_attn_stream_k_fixup_generalILi80ELi8ELi8EEvPfPK15HIP_vector_typeIfLj2EEiiiiS1_IjLj3EES5_S5_S5_
                                        ; -- End function
	.section	.AMDGPU.csdata,"",@progbits
; Kernel info:
; codeLenInByte = 2868
; NumSgprs: 38
; NumVgprs: 22
; NumAgprs: 0
; TotalNumVgprs: 22
; ScratchSize: 0
; MemoryBound: 0
; FloatMode: 240
; IeeeMode: 1
; LDSByteSize: 0 bytes/workgroup (compile time only)
; SGPRBlocks: 4
; VGPRBlocks: 2
; NumSGPRsForWavesPerEU: 38
; NumVGPRsForWavesPerEU: 22
; AccumOffset: 24
; Occupancy: 8
; WaveLimiterHint : 0
; COMPUTE_PGM_RSRC2:SCRATCH_EN: 0
; COMPUTE_PGM_RSRC2:USER_SGPR: 2
; COMPUTE_PGM_RSRC2:TRAP_HANDLER: 0
; COMPUTE_PGM_RSRC2:TGID_X_EN: 1
; COMPUTE_PGM_RSRC2:TGID_Y_EN: 1
; COMPUTE_PGM_RSRC2:TGID_Z_EN: 1
; COMPUTE_PGM_RSRC2:TIDIG_COMP_CNT: 0
; COMPUTE_PGM_RSRC3_GFX90A:ACCUM_OFFSET: 5
; COMPUTE_PGM_RSRC3_GFX90A:TG_SPLIT: 0
	.section	.text._ZL26flash_attn_combine_resultsILi80EEvPKfPK15HIP_vector_typeIfLj2EEPfi,"axG",@progbits,_ZL26flash_attn_combine_resultsILi80EEvPKfPK15HIP_vector_typeIfLj2EEPfi,comdat
	.globl	_ZL26flash_attn_combine_resultsILi80EEvPKfPK15HIP_vector_typeIfLj2EEPfi ; -- Begin function _ZL26flash_attn_combine_resultsILi80EEvPKfPK15HIP_vector_typeIfLj2EEPfi
	.p2align	8
	.type	_ZL26flash_attn_combine_resultsILi80EEvPKfPK15HIP_vector_typeIfLj2EEPfi,@function
_ZL26flash_attn_combine_resultsILi80EEvPKfPK15HIP_vector_typeIfLj2EEPfi: ; @_ZL26flash_attn_combine_resultsILi80EEvPKfPK15HIP_vector_typeIfLj2EEPfi
; %bb.0:
	s_load_dwordx2 s[6:7], s[0:1], 0x20
	s_load_dword s25, s[0:1], 0x18
	s_load_dwordx4 s[16:19], s[0:1], 0x0
	s_load_dwordx2 s[14:15], s[0:1], 0x10
	s_waitcnt lgkmcnt(0)
	s_mul_i32 s0, s6, s4
	s_add_i32 s0, s0, s2
	s_mul_i32 s24, s0, s7
	s_add_i32 s24, s24, s3
	s_lshl_b32 s12, s25, 1
	s_mul_i32 s0, s24, s25
	v_cmp_gt_i32_e32 vcc, s12, v0
	s_and_saveexec_b64 s[2:3], vcc
	s_cbranch_execz .LBB4_13
; %bb.1:
	v_xad_u32 v1, v0, -1, s12
	s_movk_i32 s4, 0x4f
	s_ashr_i32 s1, s0, 31
	v_cmp_lt_u32_e32 vcc, s4, v1
	s_mov_b64 s[6:7], -1
	v_mov_b32_e32 v2, v0
	s_and_saveexec_b64 s[4:5], vcc
	s_cbranch_execz .LBB4_10
; %bb.2:
	s_mov_b32 s6, 0xcccccccd
	v_mul_hi_u32 v1, v1, s6
	v_lshrrev_b32_e32 v6, 6, v1
	s_lshl_b64 s[6:7], s[0:1], 3
	v_add_u32_e32 v2, -1, v6
	s_add_u32 s6, s18, s6
	v_add_u32_e32 v1, 0x50, v0
	v_lshrrev_b32_e32 v3, 1, v2
	s_addc_u32 s7, s19, s7
	v_add_u32_e32 v7, 1, v3
	v_cmp_lt_u32_e32 vcc, 13, v2
	v_mov_b32_e32 v4, 0
	v_mov_b64_e32 v[2:3], v[0:1]
	s_and_saveexec_b64 s[8:9], vcc
	s_cbranch_execz .LBB4_6
; %bb.3:
	v_and_b32_e32 v8, -8, v7
	s_mov_b32 s13, 0
	v_lshl_add_u32 v9, v0, 2, 0
	s_mov_b64 s[10:11], 0
	v_mov_b32_e32 v5, 0
	v_mov_b64_e32 v[2:3], v[0:1]
.LBB4_4:                                ; =>This Inner Loop Header: Depth=1
	v_mov_b32_e32 v4, v2
	v_lshl_add_u64 v[24:25], v[4:5], 2, s[6:7]
	v_mov_b32_e32 v4, v3
	v_lshl_add_u64 v[26:27], v[4:5], 2, s[6:7]
	v_add_u32_e32 v4, 0xa0, v2
	v_add_u32_e32 v10, 0xa0, v3
	v_mov_b32_e32 v11, v5
	global_load_dword v1, v[24:25], off
	global_load_dword v28, v[26:27], off
	v_lshl_add_u64 v[24:25], v[4:5], 2, s[6:7]
	v_add_u32_e32 v4, 0x140, v2
	v_lshl_add_u64 v[10:11], v[10:11], 2, s[6:7]
	v_lshl_add_u64 v[26:27], v[4:5], 2, s[6:7]
	v_add_u32_e32 v4, 0x1e0, v2
	v_add_u32_e32 v12, 0x140, v3
	v_mov_b32_e32 v13, v5
	v_add_u32_e32 v14, 0x1e0, v3
	v_mov_b32_e32 v15, v5
	global_load_dword v29, v[24:25], off
	global_load_dword v30, v[10:11], off
	v_lshl_add_u64 v[10:11], v[4:5], 2, s[6:7]
	v_add_u32_e32 v4, 0x280, v2
	v_lshl_add_u64 v[12:13], v[12:13], 2, s[6:7]
	v_lshl_add_u64 v[14:15], v[14:15], 2, s[6:7]
	global_load_dword v24, v[26:27], off
	global_load_dword v25, v[12:13], off
	;; [unrolled: 1-line block ×4, first 2 shown]
	v_lshl_add_u64 v[10:11], v[4:5], 2, s[6:7]
	v_add_u32_e32 v4, 0x320, v2
	v_add_u32_e32 v16, 0x280, v3
	v_mov_b32_e32 v17, v5
	v_add_u32_e32 v18, 0x320, v3
	v_mov_b32_e32 v19, v5
	v_lshl_add_u64 v[12:13], v[4:5], 2, s[6:7]
	v_add_u32_e32 v4, 0x3c0, v2
	v_add_u32_e32 v20, 0x3c0, v3
	v_mov_b32_e32 v21, v5
	v_add_u32_e32 v22, 0x460, v3
	v_mov_b32_e32 v23, v5
	v_lshl_add_u64 v[16:17], v[16:17], 2, s[6:7]
	v_lshl_add_u64 v[18:19], v[18:19], 2, s[6:7]
	global_load_dword v14, v[10:11], off
	global_load_dword v15, v[16:17], off
	v_lshl_add_u64 v[10:11], v[4:5], 2, s[6:7]
	v_add_u32_e32 v4, 0x460, v2
	v_lshl_add_u64 v[20:21], v[20:21], 2, s[6:7]
	v_lshl_add_u64 v[22:23], v[22:23], 2, s[6:7]
	global_load_dword v16, v[12:13], off
	global_load_dword v17, v[18:19], off
	v_lshl_add_u64 v[12:13], v[4:5], 2, s[6:7]
	global_load_dword v18, v[10:11], off
	global_load_dword v19, v[20:21], off
	;; [unrolled: 1-line block ×4, first 2 shown]
	v_add_u32_e32 v8, -8, v8
	s_add_i32 s13, s13, 16
	v_cmp_eq_u32_e32 vcc, 0, v8
	v_add_u32_e32 v10, 0x400, v9
	v_add_u32_e32 v11, 0x600, v9
	;; [unrolled: 1-line block ×7, first 2 shown]
	v_mov_b32_e32 v4, s13
	s_or_b64 s[10:11], vcc, s[10:11]
	v_add_u32_e32 v2, 0x500, v2
	s_waitcnt vmcnt(14)
	ds_write2_b32 v9, v1, v28 offset1:80
	s_waitcnt vmcnt(12)
	ds_write2_b32 v9, v29, v30 offset0:160 offset1:240
	v_add_u32_e32 v9, 0x1400, v9
	s_waitcnt vmcnt(10)
	ds_write2_b32 v10, v24, v25 offset0:64 offset1:144
	s_waitcnt vmcnt(8)
	ds_write2_b32 v11, v31, v32 offset0:96 offset1:176
	;; [unrolled: 2-line block ×6, first 2 shown]
	s_andn2_b64 exec, exec, s[10:11]
	s_cbranch_execnz .LBB4_4
; %bb.5:
	s_or_b64 exec, exec, s[10:11]
.LBB4_6:
	s_or_b64 exec, exec, s[8:9]
	v_and_b32_e32 v1, 7, v7
	v_cmp_ne_u32_e32 vcc, 0, v1
	s_and_saveexec_b64 s[8:9], vcc
	s_cbranch_execz .LBB4_9
; %bb.7:
	s_movk_i32 s10, 0x140
	v_mul_lo_u32 v4, v4, s10
	v_lshlrev_b32_e32 v5, 2, v0
	v_add3_u32 v7, v4, v5, 0
	s_mov_b64 s[10:11], 0
	v_mov_b32_e32 v5, 0
.LBB4_8:                                ; =>This Inner Loop Header: Depth=1
	v_mov_b32_e32 v4, v2
	v_lshl_add_u64 v[8:9], v[4:5], 2, s[6:7]
	v_mov_b32_e32 v4, v3
	v_lshl_add_u64 v[10:11], v[4:5], 2, s[6:7]
	global_load_dword v4, v[8:9], off
	global_load_dword v12, v[10:11], off
	v_add_u32_e32 v1, -1, v1
	v_cmp_eq_u32_e32 vcc, 0, v1
	v_add_u32_e32 v2, 0xa0, v2
	v_add_u32_e32 v3, 0xa0, v3
	s_or_b64 s[10:11], vcc, s[10:11]
	s_waitcnt vmcnt(0)
	ds_write2_b32 v7, v4, v12 offset1:80
	v_add_u32_e32 v7, 0x280, v7
	s_andn2_b64 exec, exec, s[10:11]
	s_cbranch_execnz .LBB4_8
.LBB4_9:
	s_or_b64 exec, exec, s[8:9]
	v_add_u32_e32 v1, 1, v6
	v_and_b32_e32 v4, 0x7fffffe, v1
	s_movk_i32 s6, 0x50
	v_mad_u64_u32 v[2:3], s[6:7], v4, s6, v[0:1]
	v_cmp_ne_u32_e32 vcc, v1, v4
	s_orn2_b64 s[6:7], vcc, exec
.LBB4_10:
	s_or_b64 exec, exec, s[4:5]
	s_and_b64 exec, exec, s[6:7]
	s_cbranch_execz .LBB4_13
; %bb.11:
	s_lshl_b64 s[4:5], s[0:1], 3
	s_add_u32 s4, s18, s4
	v_mov_b32_e32 v3, 0
	s_addc_u32 s5, s19, s5
	v_lshl_add_u64 v[4:5], v[2:3], 2, s[4:5]
	v_lshl_add_u32 v1, v2, 2, 0
	s_mov_b64 s[4:5], 0
	s_mov_b64 s[6:7], 0x140
.LBB4_12:                               ; =>This Inner Loop Header: Depth=1
	global_load_dword v3, v[4:5], off
	v_add_u32_e32 v2, 0x50, v2
	v_cmp_le_i32_e32 vcc, s12, v2
	v_lshl_add_u64 v[4:5], v[4:5], 0, s[6:7]
	s_or_b64 s[4:5], vcc, s[4:5]
	s_waitcnt vmcnt(0)
	ds_write_b32 v1, v3
	v_add_u32_e32 v1, 0x140, v1
	s_andn2_b64 exec, exec, s[4:5]
	s_cbranch_execnz .LBB4_12
.LBB4_13:
	s_or_b64 exec, exec, s[2:3]
	v_mov_b32_e32 v1, 0
	s_waitcnt lgkmcnt(0)
	s_barrier
	ds_read_b32 v1, v1
	s_cmp_lt_i32 s25, 2
	s_cbranch_scc1 .LBB4_21
; %bb.14:
	s_add_i32 s1, s25, -1
	s_add_i32 s2, s25, -2
	s_cmp_lt_u32 s2, 7
	s_cbranch_scc1 .LBB4_18
; %bb.15:
	s_mov_b32 s4, 0
	s_add_i32 s2, 0, 8
	s_and_b32 s3, s1, -8
.LBB4_16:                               ; =>This Inner Loop Header: Depth=1
	v_mov_b32_e32 v8, s2
	ds_read2_b32 v[2:3], v8 offset1:2
	ds_read2_b32 v[4:5], v8 offset0:4 offset1:6
	ds_read2_b32 v[6:7], v8 offset0:8 offset1:10
	;; [unrolled: 1-line block ×3, first 2 shown]
	s_mov_b32 s5, s4
	s_waitcnt lgkmcnt(3)
	v_max3_f32 v1, v1, v2, v3
	s_waitcnt lgkmcnt(2)
	v_max3_f32 v1, v1, v4, v5
	s_add_i32 s2, s2, 64
	s_add_i32 s4, s4, 8
	s_waitcnt lgkmcnt(1)
	v_max3_f32 v1, v1, v6, v7
	s_cmp_eq_u32 s3, s4
	s_waitcnt lgkmcnt(0)
	v_max3_f32 v1, v1, v8, v9
	s_cbranch_scc0 .LBB4_16
; %bb.17:
	s_add_i32 s2, s5, 9
	s_and_b32 s1, s1, 7
	s_cmp_eq_u32 s1, 0
	s_cbranch_scc0 .LBB4_19
	s_branch .LBB4_21
.LBB4_18:
	s_mov_b32 s2, 1
	s_and_b32 s1, s1, 7
	s_cmp_eq_u32 s1, 0
	s_cbranch_scc1 .LBB4_21
.LBB4_19:
	s_lshl_b32 s2, s2, 3
	s_add_i32 s2, s2, 0
.LBB4_20:                               ; =>This Inner Loop Header: Depth=1
	v_mov_b32_e32 v2, s2
	ds_read_b32 v2, v2
	s_waitcnt lgkmcnt(1)
	v_max_f32_e32 v1, v1, v1
	s_add_i32 s2, s2, 8
	s_add_i32 s1, s1, -1
	s_cmp_lg_u32 s1, 0
	s_waitcnt lgkmcnt(0)
	v_max_f32_e32 v2, v2, v2
	v_max_f32_e32 v1, v1, v2
	s_cbranch_scc1 .LBB4_20
.LBB4_21:
	s_cmp_lt_i32 s25, 1
	s_cbranch_scc1 .LBB4_26
; %bb.22:
	s_mul_i32 s18, s0, 0x50
	s_ashr_i32 s19, s18, 31
	s_cmp_lt_u32 s25, 8
	v_mov_b32_e32 v8, 0
	s_cbranch_scc1 .LBB4_27
; %bb.23:
	s_lshl_b64 s[0:1], s[18:19], 2
	s_add_u32 s20, s16, s0
	s_addc_u32 s21, s17, s1
	v_lshlrev_b32_e32 v2, 2, v0
	v_mov_b32_e32 v3, 0
	v_lshl_add_u64 v[4:5], s[20:21], 0, v[2:3]
	s_mov_b64 s[0:1], 0x140
	s_and_b32 s26, s25, 0x7ffffff8
	v_lshl_add_u64 v[4:5], v[4:5], 0, s[0:1]
	v_add_u32_e32 v6, 0x140, v0
	s_mov_b32 s27, 0
	s_mov_b32 s28, 0x3fb8aa3b
	;; [unrolled: 1-line block ×4, first 2 shown]
	v_mov_b32_e32 v10, 0x7f800000
	s_mov_b64 s[22:23], 0xa00
	s_mov_b32 s31, 0
	v_mov_b32_e32 v9, 0
	v_mov_b32_e32 v8, 0
.LBB4_24:                               ; =>This Inner Loop Header: Depth=1
	v_add_u32_e32 v2, 0xfffffec0, v6
	v_mov_b32_e32 v11, s27
	v_mov_b32_e32 v7, v3
	v_lshl_add_u64 v[28:29], v[2:3], 2, s[20:21]
	global_load_dword v34, v[4:5], off
	global_load_dword v35, v[4:5], off offset:320
	ds_read2_b64 v[12:15], v11 offset1:1
	ds_read2_b64 v[16:19], v11 offset0:2 offset1:3
	v_lshl_add_u64 v[30:31], v[6:7], 2, s[20:21]
	ds_read2_b64 v[20:23], v11 offset0:4 offset1:5
	ds_read2_b64 v[24:27], v11 offset0:6 offset1:7
	global_load_dword v7, v[28:29], off
	v_add_u32_e32 v2, 0xffffffb0, v6
	v_lshl_add_u64 v[32:33], v[2:3], 2, s[20:21]
	v_add_u32_e32 v2, 0x50, v6
	v_lshl_add_u64 v[28:29], v[2:3], 2, s[20:21]
	v_add_u32_e32 v2, 0xa0, v6
	global_load_dword v11, v[32:33], off
	global_load_dword v36, v[30:31], off
	v_lshl_add_u64 v[30:31], v[2:3], 2, s[20:21]
	v_add_u32_e32 v2, 0xf0, v6
	global_load_dword v32, v[28:29], off
	v_lshl_add_u64 v[28:29], v[2:3], 2, s[20:21]
	global_load_dword v2, v[30:31], off
	s_waitcnt lgkmcnt(3)
	v_sub_f32_e32 v12, v12, v1
	global_load_dword v28, v[28:29], off
	v_sub_f32_e32 v14, v14, v1
	v_mul_f32_e32 v29, 0x3fb8aa3b, v12
	v_mul_f32_e32 v30, 0x3fb8aa3b, v14
	s_waitcnt lgkmcnt(2)
	v_sub_f32_e32 v16, v16, v1
	v_sub_f32_e32 v18, v18, v1
	s_waitcnt lgkmcnt(1)
	v_sub_f32_e32 v20, v20, v1
	v_sub_f32_e32 v22, v22, v1
	v_fma_f32 v41, v12, s28, -v29
	v_rndne_f32_e32 v42, v29
	v_fma_f32 v43, v14, s28, -v30
	v_rndne_f32_e32 v44, v30
	v_mul_f32_e32 v31, 0x3fb8aa3b, v16
	v_mul_f32_e32 v33, 0x3fb8aa3b, v18
	;; [unrolled: 1-line block ×4, first 2 shown]
	v_fmac_f32_e32 v41, 0x32a5705f, v12
	v_sub_f32_e32 v29, v29, v42
	v_fmac_f32_e32 v43, 0x32a5705f, v14
	v_sub_f32_e32 v30, v30, v44
	s_waitcnt lgkmcnt(0)
	v_sub_f32_e32 v24, v24, v1
	v_sub_f32_e32 v26, v26, v1
	v_fma_f32 v45, v16, s28, -v31
	v_rndne_f32_e32 v46, v31
	v_fma_f32 v47, v18, s28, -v33
	v_rndne_f32_e32 v48, v33
	;; [unrolled: 2-line block ×3, first 2 shown]
	v_add_f32_e32 v29, v29, v41
	v_fma_f32 v41, v22, s28, -v38
	v_add_f32_e32 v30, v30, v43
	v_rndne_f32_e32 v43, v38
	v_mul_f32_e32 v39, 0x3fb8aa3b, v24
	v_mul_f32_e32 v40, 0x3fb8aa3b, v26
	v_fmac_f32_e32 v45, 0x32a5705f, v16
	v_sub_f32_e32 v31, v31, v46
	v_fmac_f32_e32 v47, 0x32a5705f, v18
	v_sub_f32_e32 v33, v33, v48
	v_fmac_f32_e32 v49, 0x32a5705f, v20
	v_sub_f32_e32 v37, v37, v50
	v_fmac_f32_e32 v41, 0x32a5705f, v22
	v_sub_f32_e32 v38, v38, v43
	v_add_f32_e32 v31, v31, v45
	v_fma_f32 v45, v24, s28, -v39
	v_add_f32_e32 v33, v33, v47
	v_rndne_f32_e32 v47, v39
	v_add_f32_e32 v37, v37, v49
	v_fma_f32 v49, v26, s28, -v40
	v_add_f32_e32 v38, v38, v41
	v_rndne_f32_e32 v41, v40
	v_cvt_i32_f32_e32 v42, v42
	v_fmac_f32_e32 v45, 0x32a5705f, v24
	v_sub_f32_e32 v39, v39, v47
	v_fmac_f32_e32 v49, 0x32a5705f, v26
	v_sub_f32_e32 v40, v40, v41
	v_exp_f32_e32 v29, v29
	v_cvt_i32_f32_e32 v44, v44
	v_add_f32_e32 v39, v39, v45
	v_add_f32_e32 v40, v40, v49
	v_exp_f32_e32 v30, v30
	v_cvt_i32_f32_e32 v46, v46
	v_cvt_i32_f32_e32 v48, v48
	;; [unrolled: 1-line block ×6, first 2 shown]
	v_exp_f32_e32 v31, v31
	v_exp_f32_e32 v33, v33
	;; [unrolled: 1-line block ×6, first 2 shown]
	v_ldexp_f32 v29, v29, v42
	v_cmp_ngt_f32_e64 s[12:13], s29, v12
	v_ldexp_f32 v30, v30, v44
	v_cmp_ngt_f32_e32 vcc, s29, v14
	v_cndmask_b32_e64 v29, 0, v29, s[12:13]
	v_cmp_nlt_f32_e64 s[12:13], s30, v12
	v_ldexp_f32 v31, v31, v46
	v_cmp_ngt_f32_e64 s[0:1], s29, v16
	v_ldexp_f32 v33, v33, v48
	v_cmp_ngt_f32_e64 s[2:3], s29, v18
	;; [unrolled: 2-line block ×6, first 2 shown]
	v_cndmask_b32_e32 v30, 0, v30, vcc
	v_cmp_nlt_f32_e32 vcc, s30, v14
	v_cndmask_b32_e64 v12, v10, v29, s[12:13]
	v_cndmask_b32_e64 v14, 0, v31, s[0:1]
	v_cmp_nlt_f32_e64 s[0:1], s30, v16
	v_cndmask_b32_e64 v16, 0, v33, s[2:3]
	v_cmp_nlt_f32_e64 s[2:3], s30, v18
	;; [unrolled: 2-line block ×6, first 2 shown]
	v_cndmask_b32_e32 v26, v10, v30, vcc
	v_fmac_f32_e32 v9, v12, v13
	s_waitcnt vmcnt(5)
	v_fmac_f32_e32 v8, v7, v12
	v_cndmask_b32_e64 v14, v10, v14, s[0:1]
	v_fmac_f32_e32 v9, v26, v15
	v_fmac_f32_e32 v8, v34, v26
	v_cndmask_b32_e64 v16, v10, v16, s[2:3]
	v_fmac_f32_e32 v9, v14, v17
	;; [unrolled: 3-line block ×3, first 2 shown]
	s_waitcnt vmcnt(4)
	v_fmac_f32_e32 v8, v11, v16
	v_cndmask_b32_e64 v20, v10, v20, s[6:7]
	v_fmac_f32_e32 v9, v18, v21
	s_waitcnt vmcnt(3)
	v_fmac_f32_e32 v8, v36, v18
	v_cndmask_b32_e64 v22, v10, v22, s[8:9]
	v_fmac_f32_e32 v9, v20, v23
	s_waitcnt vmcnt(2)
	v_fmac_f32_e32 v8, v32, v20
	s_add_i32 s31, s31, 8
	s_add_i32 s27, s27, 64
	v_cndmask_b32_e64 v24, v10, v24, s[10:11]
	v_fmac_f32_e32 v9, v22, v25
	s_waitcnt vmcnt(1)
	v_fmac_f32_e32 v8, v2, v22
	v_lshl_add_u64 v[4:5], v[4:5], 0, s[22:23]
	s_cmp_eq_u32 s26, s31
	v_add_u32_e32 v6, 0x280, v6
	v_fmac_f32_e32 v9, v24, v27
	s_waitcnt vmcnt(0)
	v_fmac_f32_e32 v8, v28, v24
	s_cbranch_scc0 .LBB4_24
; %bb.25:
	s_and_b32 s2, s25, 7
	s_cmp_eq_u32 s2, 0
	s_cbranch_scc0 .LBB4_28
	s_branch .LBB4_30
.LBB4_26:
	s_waitcnt lgkmcnt(0)
	v_mov_b32_e32 v1, 0x7fc00000
	s_branch .LBB4_31
.LBB4_27:
	s_mov_b32 s26, 0
	v_mov_b32_e32 v9, 0
	s_and_b32 s2, s25, 7
	s_cmp_eq_u32 s2, 0
	s_cbranch_scc1 .LBB4_30
.LBB4_28:
	s_lshl_b64 s[0:1], s[18:19], 2
	s_mul_i32 s3, s26, 0x50
	s_add_u32 s0, s16, s0
	v_add_u32_e32 v2, s3, v0
	v_mov_b32_e32 v3, 0
	s_addc_u32 s1, s17, s1
	v_lshl_add_u64 v[2:3], v[2:3], 2, s[0:1]
	s_lshl_b32 s0, s26, 3
	s_add_i32 s3, s0, 0
	s_mov_b32 s4, 0x3fb8aa3b
	s_mov_b32 s5, 0xc2ce8ed0
	;; [unrolled: 1-line block ×3, first 2 shown]
	v_mov_b32_e32 v4, 0x7f800000
	s_mov_b64 s[0:1], 0x140
.LBB4_29:                               ; =>This Inner Loop Header: Depth=1
	global_load_dword v5, v[2:3], off
	v_mov_b32_e32 v6, s3
	ds_read_b64 v[6:7], v6
	s_add_i32 s3, s3, 8
	s_add_i32 s2, s2, -1
	v_lshl_add_u64 v[2:3], v[2:3], 0, s[0:1]
	s_cmp_lg_u32 s2, 0
	s_waitcnt lgkmcnt(0)
	v_sub_f32_e32 v6, v6, v1
	v_mul_f32_e32 v10, 0x3fb8aa3b, v6
	v_fma_f32 v11, v6, s4, -v10
	v_rndne_f32_e32 v12, v10
	v_fmac_f32_e32 v11, 0x32a5705f, v6
	v_sub_f32_e32 v10, v10, v12
	v_add_f32_e32 v10, v10, v11
	v_cvt_i32_f32_e32 v12, v12
	v_exp_f32_e32 v10, v10
	v_cmp_ngt_f32_e32 vcc, s5, v6
	v_ldexp_f32 v10, v10, v12
	s_nop 0
	v_cndmask_b32_e32 v10, 0, v10, vcc
	v_cmp_nlt_f32_e32 vcc, s6, v6
	s_nop 1
	v_cndmask_b32_e32 v6, v4, v10, vcc
	v_fmac_f32_e32 v9, v6, v7
	s_waitcnt vmcnt(0)
	v_fmac_f32_e32 v8, v5, v6
	s_cbranch_scc1 .LBB4_29
.LBB4_30:
	s_waitcnt lgkmcnt(0)
	v_div_scale_f32 v1, s[0:1], v9, v9, v8
	v_rcp_f32_e32 v2, v1
	v_div_scale_f32 v3, vcc, v8, v9, v8
	v_fma_f32 v4, -v1, v2, 1.0
	v_fmac_f32_e32 v2, v4, v2
	v_mul_f32_e32 v4, v3, v2
	v_fma_f32 v5, -v1, v4, v3
	v_fmac_f32_e32 v4, v5, v2
	v_fma_f32 v1, -v1, v4, v3
	v_div_fmas_f32 v1, v1, v2, v4
	v_div_fixup_f32 v1, v1, v9, v8
.LBB4_31:
	s_mul_i32 s0, s24, 0x50
	s_ashr_i32 s1, s0, 31
	s_lshl_b64 s[0:1], s[0:1], 2
	s_add_u32 s0, s14, s0
	s_addc_u32 s1, s15, s1
	v_lshlrev_b32_e32 v0, 2, v0
	global_store_dword v0, v1, s[0:1]
	s_endpgm
	.section	.rodata,"a",@progbits
	.p2align	6, 0x0
	.amdhsa_kernel _ZL26flash_attn_combine_resultsILi80EEvPKfPK15HIP_vector_typeIfLj2EEPfi
		.amdhsa_group_segment_fixed_size 0
		.amdhsa_private_segment_fixed_size 0
		.amdhsa_kernarg_size 288
		.amdhsa_user_sgpr_count 2
		.amdhsa_user_sgpr_dispatch_ptr 0
		.amdhsa_user_sgpr_queue_ptr 0
		.amdhsa_user_sgpr_kernarg_segment_ptr 1
		.amdhsa_user_sgpr_dispatch_id 0
		.amdhsa_user_sgpr_kernarg_preload_length 0
		.amdhsa_user_sgpr_kernarg_preload_offset 0
		.amdhsa_user_sgpr_private_segment_size 0
		.amdhsa_uses_dynamic_stack 0
		.amdhsa_enable_private_segment 0
		.amdhsa_system_sgpr_workgroup_id_x 1
		.amdhsa_system_sgpr_workgroup_id_y 1
		.amdhsa_system_sgpr_workgroup_id_z 1
		.amdhsa_system_sgpr_workgroup_info 0
		.amdhsa_system_vgpr_workitem_id 0
		.amdhsa_next_free_vgpr 51
		.amdhsa_next_free_sgpr 32
		.amdhsa_accum_offset 52
		.amdhsa_reserve_vcc 1
		.amdhsa_float_round_mode_32 0
		.amdhsa_float_round_mode_16_64 0
		.amdhsa_float_denorm_mode_32 3
		.amdhsa_float_denorm_mode_16_64 3
		.amdhsa_dx10_clamp 1
		.amdhsa_ieee_mode 1
		.amdhsa_fp16_overflow 0
		.amdhsa_tg_split 0
		.amdhsa_exception_fp_ieee_invalid_op 0
		.amdhsa_exception_fp_denorm_src 0
		.amdhsa_exception_fp_ieee_div_zero 0
		.amdhsa_exception_fp_ieee_overflow 0
		.amdhsa_exception_fp_ieee_underflow 0
		.amdhsa_exception_fp_ieee_inexact 0
		.amdhsa_exception_int_div_zero 0
	.end_amdhsa_kernel
	.section	.text._ZL26flash_attn_combine_resultsILi80EEvPKfPK15HIP_vector_typeIfLj2EEPfi,"axG",@progbits,_ZL26flash_attn_combine_resultsILi80EEvPKfPK15HIP_vector_typeIfLj2EEPfi,comdat
.Lfunc_end4:
	.size	_ZL26flash_attn_combine_resultsILi80EEvPKfPK15HIP_vector_typeIfLj2EEPfi, .Lfunc_end4-_ZL26flash_attn_combine_resultsILi80EEvPKfPK15HIP_vector_typeIfLj2EEPfi
                                        ; -- End function
	.section	.AMDGPU.csdata,"",@progbits
; Kernel info:
; codeLenInByte = 2924
; NumSgprs: 38
; NumVgprs: 51
; NumAgprs: 0
; TotalNumVgprs: 51
; ScratchSize: 0
; MemoryBound: 0
; FloatMode: 240
; IeeeMode: 1
; LDSByteSize: 0 bytes/workgroup (compile time only)
; SGPRBlocks: 4
; VGPRBlocks: 6
; NumSGPRsForWavesPerEU: 38
; NumVGPRsForWavesPerEU: 51
; AccumOffset: 52
; Occupancy: 8
; WaveLimiterHint : 1
; COMPUTE_PGM_RSRC2:SCRATCH_EN: 0
; COMPUTE_PGM_RSRC2:USER_SGPR: 2
; COMPUTE_PGM_RSRC2:TRAP_HANDLER: 0
; COMPUTE_PGM_RSRC2:TGID_X_EN: 1
; COMPUTE_PGM_RSRC2:TGID_Y_EN: 1
; COMPUTE_PGM_RSRC2:TGID_Z_EN: 1
; COMPUTE_PGM_RSRC2:TIDIG_COMP_CNT: 0
; COMPUTE_PGM_RSRC3_GFX90A:ACCUM_OFFSET: 12
; COMPUTE_PGM_RSRC3_GFX90A:TG_SPLIT: 0
	.section	.text._ZL15flash_attn_tileILi80ELi80ELi4ELi8ELb0EEvPKcS1_S1_S1_S1_PKiPfP15HIP_vector_typeIfLj2EEffffjfiS5_IjLj3EEiiiiiiiiiiiliiliiiiil,"axG",@progbits,_ZL15flash_attn_tileILi80ELi80ELi4ELi8ELb0EEvPKcS1_S1_S1_S1_PKiPfP15HIP_vector_typeIfLj2EEffffjfiS5_IjLj3EEiiiiiiiiiiiliiliiiiil,comdat
	.globl	_ZL15flash_attn_tileILi80ELi80ELi4ELi8ELb0EEvPKcS1_S1_S1_S1_PKiPfP15HIP_vector_typeIfLj2EEffffjfiS5_IjLj3EEiiiiiiiiiiiliiliiiiil ; -- Begin function _ZL15flash_attn_tileILi80ELi80ELi4ELi8ELb0EEvPKcS1_S1_S1_S1_PKiPfP15HIP_vector_typeIfLj2EEffffjfiS5_IjLj3EEiiiiiiiiiiiliiliiiiil
	.p2align	8
	.type	_ZL15flash_attn_tileILi80ELi80ELi4ELi8ELb0EEvPKcS1_S1_S1_S1_PKiPfP15HIP_vector_typeIfLj2EEffffjfiS5_IjLj3EEiiiiiiiiiiiliiliiiiil,@function
_ZL15flash_attn_tileILi80ELi80ELi4ELi8ELb0EEvPKcS1_S1_S1_S1_PKiPfP15HIP_vector_typeIfLj2EEffffjfiS5_IjLj3EEiiiiiiiiiiiliiliiiiil: ; @_ZL15flash_attn_tileILi80ELi80ELi4ELi8ELb0EEvPKcS1_S1_S1_S1_PKiPfP15HIP_vector_typeIfLj2EEffffjfiS5_IjLj3EEiiiiiiiiiiiliiliiiiil
; %bb.0:
	s_load_dwordx4 s[28:31], s[0:1], 0x5c
	s_load_dwordx2 s[34:35], s[0:1], 0x80
	s_load_dwordx16 s[36:51], s[0:1], 0x0
	s_mov_b64 s[52:53], 0
	s_waitcnt lgkmcnt(0)
	s_ashr_i32 s5, s31, 31
	s_lshr_b32 s5, s5, 29
	s_add_i32 s5, s31, s5
	s_ashr_i32 s5, s5, 3
	v_cvt_f32_u32_e32 v1, s5
	s_sub_i32 s6, 0, s5
	v_rcp_iflag_f32_e32 v1, v1
	s_nop 0
	v_mul_f32_e32 v1, 0x4f7ffffe, v1
	v_cvt_u32_f32_e32 v1, v1
	s_nop 0
	v_readfirstlane_b32 s7, v1
	s_mul_i32 s6, s6, s7
	s_mul_hi_u32 s6, s7, s6
	s_add_i32 s7, s7, s6
	s_mul_hi_u32 s6, s4, s7
	s_mul_i32 s7, s6, s5
	s_sub_i32 s7, s4, s7
	s_add_i32 s8, s6, 1
	s_sub_i32 s9, s7, s5
	s_cmp_ge_u32 s7, s5
	s_cselect_b32 s6, s8, s6
	s_cselect_b32 s7, s9, s7
	s_add_i32 s8, s6, 1
	s_cmp_ge_u32 s7, s5
	s_cselect_b32 s33, s8, s6
	s_abs_i32 s5, s35
	v_cvt_f32_u32_e32 v1, s5
	s_sub_i32 s8, 0, s5
	s_abs_i32 s7, s31
	s_lshl_b32 s6, s4, 3
	v_rcp_iflag_f32_e32 v1, v1
	s_xor_b32 s4, s31, s35
	s_ashr_i32 s4, s4, 31
	v_mul_f32_e32 v1, 0x4f7ffffe, v1
	v_cvt_u32_f32_e32 v1, v1
	s_nop 0
	v_readfirstlane_b32 s9, v1
	s_mul_i32 s8, s8, s9
	s_mul_hi_u32 s8, s9, s8
	s_add_i32 s9, s9, s8
	s_mul_hi_u32 s8, s7, s9
	s_mul_i32 s9, s8, s5
	s_sub_i32 s7, s7, s9
	s_add_i32 s10, s8, 1
	s_sub_i32 s9, s7, s5
	s_cmp_ge_u32 s7, s5
	s_cselect_b32 s8, s10, s8
	s_cselect_b32 s7, s9, s7
	s_add_i32 s9, s8, 1
	s_cmp_ge_u32 s7, s5
	s_cselect_b32 s5, s9, s8
	s_xor_b32 s5, s5, s4
	s_sub_i32 s9, s5, s4
	s_abs_i32 s8, s9
	v_cvt_f32_u32_e32 v1, s8
	s_load_dwordx2 s[4:5], s[0:1], 0xb8
	s_mul_i32 s7, s33, s31
	s_cmp_eq_u64 s[42:43], 0
	v_rcp_iflag_f32_e32 v1, v1
	s_nop 0
	v_mul_f32_e32 v1, 0x4f7ffffe, v1
	v_cvt_u32_f32_e32 v1, v1
	s_nop 0
	v_readfirstlane_b32 s10, v1
	s_cbranch_scc1 .LBB5_2
; %bb.1:
	s_waitcnt lgkmcnt(0)
	s_abs_i32 s4, s4
	v_cvt_f32_u32_e32 v1, s4
	s_sub_i32 s15, 0, s4
	s_abs_i32 s14, s33
	s_ashr_i32 s11, s33, 31
	v_rcp_iflag_f32_e32 v1, v1
	s_load_dwordx2 s[12:13], s[0:1], 0xc8
	v_mul_f32_e32 v1, 0x4f7ffffe, v1
	v_cvt_u32_f32_e32 v1, v1
	s_nop 0
	v_readfirstlane_b32 s16, v1
	s_mul_i32 s15, s15, s16
	s_mul_hi_u32 s15, s16, s15
	s_add_i32 s16, s16, s15
	s_mul_hi_u32 s15, s14, s16
	s_mul_i32 s15, s15, s4
	s_sub_i32 s14, s14, s15
	s_sub_i32 s15, s14, s4
	s_cmp_ge_u32 s14, s4
	s_cselect_b32 s14, s15, s14
	s_sub_i32 s15, s14, s4
	s_cmp_ge_u32 s14, s4
	s_cselect_b32 s4, s15, s14
	s_xor_b32 s4, s4, s11
	s_sub_i32 s4, s4, s11
	s_ashr_i32 s11, s4, 31
	s_waitcnt lgkmcnt(0)
	s_mul_i32 s13, s4, s13
	s_mul_hi_u32 s14, s4, s12
	s_add_i32 s13, s14, s13
	s_mul_i32 s11, s11, s12
	s_add_i32 s13, s13, s11
	s_mul_i32 s4, s4, s12
	s_add_u32 s52, s42, s4
	s_addc_u32 s53, s43, s13
.LBB5_2:
	v_bfe_u32 v5, v0, 10, 10
	v_and_b32_e32 v70, 0x3ff, v0
	v_lshrrev_b32_e32 v0, 1, v5
	v_lshl_add_u32 v69, s2, 2, v0
	v_mul_hi_u32 v0, s28, v69
	v_add_u32_e32 v0, v69, v0
	v_lshrrev_b32_e32 v0, s29, v0
	v_lshlrev_b32_e32 v4, 2, v5
	v_mul_lo_u32 v0, v0, s30
	s_sub_i32 s35, s6, s7
	v_cmp_gt_u32_e64 s[26:27], 20, v70
	v_sub_u32_e32 v6, v69, v0
	v_lshlrev_b32_e32 v68, 2, v70
	v_and_b32_e32 v71, 4, v4
	s_and_saveexec_b64 s[6:7], s[26:27]
	s_cbranch_execz .LBB5_4
; %bb.3:
	s_load_dwordx4 s[12:15], s[0:1], 0x70
	v_or_b32_e32 v20, 1, v4
	v_mul_u32_u24_e32 v21, 0xa0, v5
	s_waitcnt lgkmcnt(0)
	s_mul_i32 s4, s33, s14
	s_ashr_i32 s14, s4, 31
	s_mul_i32 s11, s35, s13
	s_add_u32 s4, s36, s4
	s_addc_u32 s15, s37, s14
	s_ashr_i32 s16, s11, 31
	s_add_u32 s14, s4, s11
	v_mov_b32_e32 v0, s12
	s_addc_u32 s15, s15, s16
	s_ashr_i32 s4, s12, 31
	v_alignbit_b32 v0, s4, v0, 2
	v_mad_u64_u32 v[0:1], s[16:17], v0, v6, 0
	v_mov_b32_e32 v2, v1
	s_lshr_b32 s4, s4, 2
	v_mad_u64_u32 v[2:3], s[16:17], s4, v6, v[2:3]
	v_mov_b32_e32 v1, v2
	v_lshl_add_u64 v[0:1], v[0:1], 2, s[14:15]
	v_lshlrev_b32_e32 v2, 2, v68
	v_mov_b32_e32 v3, 0
	v_lshl_add_u64 v[16:17], v[0:1], 0, v[2:3]
	s_ashr_i32 s4, s13, 31
	v_mov_b32_e32 v0, s13
	s_lshr_b32 s11, s4, 2
	v_alignbit_b32 v7, s4, v0, 2
	v_mul_lo_u32 v2, s11, v71
	v_mad_u64_u32 v[0:1], s[12:13], v7, v71, 0
	v_or_b32_e32 v1, v1, v2
	v_and_b32_e32 v3, 5, v20
	v_lshl_add_u64 v[12:13], v[0:1], 2, v[16:17]
	v_mad_u64_u32 v[0:1], s[12:13], v7, v3, 0
	v_mov_b32_e32 v2, v1
	v_mad_u64_u32 v[2:3], s[12:13], s11, v3, v[2:3]
	v_mov_b32_e32 v1, v2
	v_lshl_add_u64 v[14:15], v[0:1], 2, v[16:17]
	global_load_dwordx4 v[0:3], v[12:13], off
	global_load_dwordx4 v[8:11], v[14:15], off
	v_or_b32_e32 v12, 2, v4
	v_and_b32_e32 v15, 6, v12
	v_mad_u64_u32 v[12:13], s[12:13], v7, v15, 0
	v_mov_b32_e32 v14, v13
	v_mad_u64_u32 v[14:15], s[12:13], s11, v15, v[14:15]
	v_mov_b32_e32 v13, v14
	v_or_b32_e32 v14, 3, v4
	v_and_b32_e32 v15, 7, v14
	v_mad_u64_u32 v[18:19], s[12:13], v7, v15, 0
	v_mov_b32_e32 v14, v19
	v_mad_u64_u32 v[14:15], s[12:13], s11, v15, v[14:15]
	v_mov_b32_e32 v19, v14
	v_lshl_add_u64 v[12:13], v[12:13], 2, v[16:17]
	v_lshl_add_u64 v[16:17], v[18:19], 2, v[16:17]
	global_load_dwordx4 v[12:15], v[12:13], off
	s_load_dword s4, s[0:1], 0x40
	global_load_dwordx4 v[16:19], v[16:17], off
	v_lshlrev_b32_e32 v7, 1, v70
	v_mul_u32_u24_e32 v20, 40, v20
	v_add_lshl_u32 v21, v21, v7, 2
	v_add_lshl_u32 v7, v20, v7, 2
	s_waitcnt vmcnt(3) lgkmcnt(0)
	v_pk_mul_f32 v[0:1], v[0:1], s[4:5] op_sel_hi:[1,0]
	v_pk_mul_f32 v[2:3], v[2:3], s[4:5] op_sel_hi:[1,0]
	s_waitcnt vmcnt(2)
	v_pk_mul_f32 v[8:9], v[8:9], s[4:5] op_sel_hi:[1,0]
	v_pk_mul_f32 v[10:11], v[10:11], s[4:5] op_sel_hi:[1,0]
	v_cvt_f16_f32_e32 v20, v1
	v_cvt_f16_f32_e32 v0, v0
	;; [unrolled: 1-line block ×8, first 2 shown]
	v_pack_b32_f16 v1, v2, v1
	v_pack_b32_f16 v0, v0, v20
	;; [unrolled: 1-line block ×4, first 2 shown]
	s_waitcnt vmcnt(1)
	v_pk_mul_f32 v[12:13], v[12:13], s[4:5] op_sel_hi:[1,0]
	v_pk_mul_f32 v[14:15], v[14:15], s[4:5] op_sel_hi:[1,0]
	s_waitcnt vmcnt(0)
	v_pk_mul_f32 v[16:17], v[16:17], s[4:5] op_sel_hi:[1,0]
	v_pk_mul_f32 v[18:19], v[18:19], s[4:5] op_sel_hi:[1,0]
	v_cvt_f16_f32_e32 v11, v13
	v_cvt_f16_f32_e32 v12, v12
	;; [unrolled: 1-line block ×8, first 2 shown]
	v_pack_b32_f16 v9, v14, v13
	v_pack_b32_f16 v8, v12, v11
	;; [unrolled: 1-line block ×4, first 2 shown]
	ds_write_b64 v21, v[0:1]
	ds_write2_b64 v7, v[2:3], v[8:9] offset1:20
	ds_write_b64 v7, v[10:11] offset:320
.LBB5_4:
	s_or_b64 exec, exec, s[6:7]
	s_cmp_eq_u64 s[46:47], 0
	s_waitcnt lgkmcnt(0)
	s_barrier
	s_cbranch_scc1 .LBB5_6
; %bb.5:
	s_load_dword s4, s[0:1], 0xd0
	s_mov_b32 s7, 0
	s_waitcnt lgkmcnt(0)
	s_mul_i32 s4, s4, s33
	s_add_i32 s6, s4, s2
	s_lshl_b64 s[6:7], s[6:7], 2
	s_add_u32 s6, s46, s6
	s_addc_u32 s7, s47, s7
	s_load_dword s34, s[6:7], 0x0
.LBB5_6:
	s_lshl_b32 s42, s3, 5
	s_waitcnt lgkmcnt(0)
	s_cmp_lt_i32 s42, s34
	v_mbcnt_lo_u32_b32 v7, -1, 0
	s_cbranch_scc1 .LBB5_8
; %bb.7:
	v_mbcnt_hi_u32_b32 v93, -1, v7
	v_and_b32_e32 v0, 0x60, v93
	s_mov_b32 s2, 0
	v_add_u32_e32 v119, 32, v0
	v_xor_b32_e32 v121, 16, v93
	v_xor_b32_e32 v122, 8, v93
	;; [unrolled: 1-line block ×5, first 2 shown]
	s_mov_b64 s[6:7], 0
	s_mov_b32 s4, 0xfeffffff
	s_branch .LBB5_9
.LBB5_8:
	s_mov_b64 s[6:7], -1
                                        ; implicit-def: $sgpr4
                                        ; implicit-def: $sgpr2
                                        ; implicit-def: $vgpr93
                                        ; implicit-def: $vgpr119
                                        ; implicit-def: $vgpr121
                                        ; implicit-def: $vgpr122
                                        ; implicit-def: $vgpr123
                                        ; implicit-def: $vgpr120
                                        ; implicit-def: $vgpr118
.LBB5_9:
	s_andn2_b64 vcc, exec, s[6:7]
	v_mov_b32_e32 v3, s4
	v_mov_b32_e32 v79, s2
	;; [unrolled: 1-line block ×16, first 2 shown]
	s_cbranch_vccnz .LBB5_29
; %bb.10:
	s_load_dwordx2 s[6:7], s[0:1], 0x8c
	s_load_dwordx4 s[12:15], s[0:1], 0x98
	s_sub_i32 s2, 0, s8
	s_mul_i32 s2, s2, s10
	s_mul_hi_u32 s2, s10, s2
	s_waitcnt lgkmcnt(0)
	s_ashr_i32 s46, s6, 2
	s_ashr_i32 s43, s14, 2
	;; [unrolled: 1-line block ×4, first 2 shown]
	s_mul_i32 s6, s33, s13
	s_mul_hi_u32 s13, s33, s12
	s_abs_i32 s4, s35
	s_add_i32 s10, s10, s2
	s_add_i32 s6, s13, s6
	s_mul_i32 s13, s5, s12
	s_mul_hi_u32 s2, s4, s10
	s_ashr_i32 s16, s35, 31
	s_ashr_i32 s9, s9, 31
	s_add_i32 s6, s6, s13
	s_mul_i32 s12, s33, s12
	s_add_u32 s12, s38, s12
	s_mul_i32 s13, s2, s8
	s_addc_u32 s6, s39, s6
	s_sub_i32 s4, s4, s13
	s_xor_b32 s9, s16, s9
	s_add_i32 s13, s2, 1
	s_sub_i32 s16, s4, s8
	s_cmp_ge_u32 s4, s8
	s_cselect_b32 s2, s13, s2
	s_cselect_b32 s4, s16, s4
	s_add_i32 s13, s2, 1
	s_cmp_ge_u32 s4, s8
	s_cselect_b32 s2, s13, s2
	s_load_dwordx2 s[10:11], s[0:1], 0xa8
	s_xor_b32 s2, s2, s9
	s_sub_i32 s2, s2, s9
	s_mul_i32 s4, s2, s7
	s_ashr_i32 s7, s4, 31
	s_add_u32 s47, s12, s4
	s_addc_u32 s54, s6, s7
	s_waitcnt lgkmcnt(0)
	s_mul_i32 s4, s33, s11
	s_mul_hi_u32 s6, s33, s10
	s_add_i32 s4, s6, s4
	s_mul_i32 s5, s5, s10
	s_add_i32 s4, s4, s5
	s_mul_i32 s5, s33, s10
	s_add_u32 s5, s40, s5
	s_mul_i32 s2, s2, s15
	s_addc_u32 s4, s41, s4
	s_ashr_i32 s6, s2, 31
	v_lshrrev_b32_e32 v1, 2, v70
	s_add_u32 s40, s5, s2
	v_lshl_add_u32 v0, v5, 5, v70
	v_lshl_add_u32 v1, v5, 3, v1
	s_movk_i32 s2, 0x60
	v_mov_b32_e32 v2, 0x1440
	v_and_b32_e32 v84, 12, v68
	v_cmp_gt_u32_e32 vcc, 32, v0
	v_mad_u32_u24 v111, v0, s2, v2
	v_mul_lo_u32 v82, s46, v0
	v_mul_u32_u24_e32 v0, 0x60, v1
	v_lshlrev_b32_e32 v2, 2, v84
	s_movk_i32 s2, 0x1400
	v_add3_u32 v112, v0, v2, s2
	v_mov_b32_e32 v0, 0x20c0
	v_lshl_add_u32 v113, v5, 8, v0
	v_lshrrev_b32_e32 v0, 1, v70
	v_lshl_add_u32 v0, v5, 4, v0
	s_addc_u32 s41, s4, s6
	v_cmp_gt_u32_e64 s[4:5], 32, v1
	v_mul_lo_u32 v88, s46, v1
	v_lshrrev_b32_e32 v1, 3, v70
	v_and_b32_e32 v92, 4, v68
	v_mul_u32_u24_e32 v2, 0xa0, v0
	v_mad_u64_u32 v[90:91], s[6:7], v6, s14, v[70:71]
	v_add_u32_e32 v1, v4, v1
	v_lshl_or_b32 v2, v92, 2, v2
	v_and_b32_e32 v96, 28, v68
	v_mov_b32_e32 v87, 0
	v_cmp_gt_u32_e64 s[6:7], 16, v0
	v_add_u32_e32 v115, 0x1480, v2
	v_mul_lo_u32 v94, s43, v0
	v_mul_u32_u24_e32 v0, 0xa0, v1
	v_lshlrev_b32_e32 v2, 2, v96
	v_mul_lo_u32 v98, s43, v1
	s_add_u32 s28, s0, 0xd0
	v_mul_u32_u24_e32 v97, 0x60, v70
	v_mul_u32_u24_e32 v110, 0x280, v5
	v_ashrrev_i32_e32 v83, 31, v82
	v_ashrrev_i32_e32 v89, 31, v88
	v_lshlrev_b32_e32 v114, 3, v70
	v_cmp_gt_u32_e64 s[8:9], 16, v1
	v_ashrrev_i32_e32 v95, 31, v94
	v_add3_u32 v116, v0, v2, s2
	v_ashrrev_i32_e32 v99, 31, v98
	s_addc_u32 s29, s1, 0
	v_mov_b32_e32 v8, 0xfeffffff
	v_mbcnt_hi_u32_b32 v93, -1, v7
	s_mov_b32 s2, 0x40051340
	s_mov_b32 s55, 0x3fb8aa3b
	s_mov_b32 s56, 0xc2ce8ed0
	s_mov_b32 s57, 0x42b17218
	v_mov_b32_e32 v117, 0x7f800000
	v_mov_b32_e32 v75, 0
	;; [unrolled: 1-line block ×16, first 2 shown]
.LBB5_11:                               ; =>This Inner Loop Header: Depth=1
	s_mul_hi_i32 s11, s42, s46
	s_mul_i32 s10, s42, s46
	s_lshl_b64 s[10:11], s[10:11], 2
	s_add_u32 s10, s47, s10
	s_addc_u32 s11, s54, s11
	v_lshl_add_u64 v[6:7], v[82:83], 2, s[10:11]
	s_and_saveexec_b64 s[12:13], vcc
	s_cbranch_execz .LBB5_13
; %bb.12:                               ;   in Loop: Header=BB5_11 Depth=1
	global_load_dwordx4 v[0:3], v[6:7], off offset:64
	s_waitcnt vmcnt(0)
	ds_write_b128 v111, v[0:3]
.LBB5_13:                               ;   in Loop: Header=BB5_11 Depth=1
	s_or_b64 exec, exec, s[12:13]
	v_lshl_add_u64 v[4:5], v[88:89], 2, s[10:11]
	v_lshlrev_b32_e32 v86, 2, v84
	s_and_saveexec_b64 s[10:11], s[4:5]
	s_cbranch_execz .LBB5_15
; %bb.14:                               ;   in Loop: Header=BB5_11 Depth=1
	v_lshl_add_u64 v[0:1], v[4:5], 0, v[86:87]
	global_load_dwordx4 v[0:3], v[0:1], off
	s_waitcnt vmcnt(0)
	ds_write_b128 v112, v[0:3]
.LBB5_15:                               ;   in Loop: Header=BB5_11 Depth=1
	s_or_b64 exec, exec, s[10:11]
	s_waitcnt lgkmcnt(0)
	s_barrier
	ds_read_b128 v[12:15], v97 offset:5120
	ds_read_b128 v[16:19], v110
	ds_read_b128 v[20:23], v110 offset:160
	ds_read_b128 v[24:27], v110 offset:320
	;; [unrolled: 1-line block ×3, first 2 shown]
	v_mov_b32_e32 v0, 0
	s_waitcnt lgkmcnt(3)
	;;#ASMSTART
	v_dot2_f32_f16 v0, v12, v16, v0
	;;#ASMEND
	v_mov_b32_e32 v1, 0
	;;#ASMSTART
	v_dot2_f32_f16 v0, v13, v17, v0
	;;#ASMEND
	v_mov_b32_e32 v2, 0
	;; [unrolled: 4-line block ×3, first 2 shown]
	;;#ASMSTART
	v_dot2_f32_f16 v0, v15, v19, v0
	;;#ASMEND
	s_waitcnt lgkmcnt(2)
	;;#ASMSTART
	v_dot2_f32_f16 v1, v12, v20, v1
	;;#ASMEND
	s_nop 0
	;;#ASMSTART
	v_dot2_f32_f16 v1, v13, v21, v1
	;;#ASMEND
	s_nop 0
	;;#ASMSTART
	v_dot2_f32_f16 v1, v14, v22, v1
	;;#ASMEND
	s_nop 0
	;;#ASMSTART
	v_dot2_f32_f16 v1, v15, v23, v1
	;;#ASMEND
	s_waitcnt lgkmcnt(1)
	;;#ASMSTART
	v_dot2_f32_f16 v2, v12, v24, v2
	;;#ASMEND
	s_nop 0
	;;#ASMSTART
	v_dot2_f32_f16 v2, v13, v25, v2
	;;#ASMEND
	s_nop 0
	;;#ASMSTART
	v_dot2_f32_f16 v2, v14, v26, v2
	;;#ASMEND
	s_nop 0
	;; [unrolled: 16-line block ×3, first 2 shown]
	;;#ASMSTART
	v_dot2_f32_f16 v3, v15, v31, v3
	;;#ASMEND
	ds_read_b128 v[12:15], v97 offset:5136
	ds_read_b128 v[16:19], v110 offset:16
	;; [unrolled: 1-line block ×5, first 2 shown]
	s_waitcnt lgkmcnt(3)
	;;#ASMSTART
	v_dot2_f32_f16 v0, v12, v16, v0
	;;#ASMEND
	s_nop 0
	;;#ASMSTART
	v_dot2_f32_f16 v0, v13, v17, v0
	;;#ASMEND
	s_nop 0
	;;#ASMSTART
	v_dot2_f32_f16 v0, v14, v18, v0
	;;#ASMEND
	s_nop 0
	;;#ASMSTART
	v_dot2_f32_f16 v0, v15, v19, v0
	;;#ASMEND
	s_waitcnt lgkmcnt(2)
	;;#ASMSTART
	v_dot2_f32_f16 v1, v12, v20, v1
	;;#ASMEND
	s_nop 0
	;;#ASMSTART
	v_dot2_f32_f16 v1, v13, v21, v1
	;;#ASMEND
	s_nop 0
	;;#ASMSTART
	v_dot2_f32_f16 v1, v14, v22, v1
	;;#ASMEND
	s_nop 0
	;;#ASMSTART
	v_dot2_f32_f16 v1, v15, v23, v1
	;;#ASMEND
	;; [unrolled: 16-line block ×4, first 2 shown]
	ds_read_b128 v[12:15], v97 offset:5152
	ds_read_b128 v[16:19], v110 offset:32
	;; [unrolled: 1-line block ×5, first 2 shown]
	s_waitcnt lgkmcnt(3)
	;;#ASMSTART
	v_dot2_f32_f16 v0, v12, v16, v0
	;;#ASMEND
	s_nop 0
	;;#ASMSTART
	v_dot2_f32_f16 v0, v13, v17, v0
	;;#ASMEND
	s_nop 0
	;;#ASMSTART
	v_dot2_f32_f16 v0, v14, v18, v0
	;;#ASMEND
	s_nop 0
	;;#ASMSTART
	v_dot2_f32_f16 v0, v15, v19, v0
	;;#ASMEND
	s_waitcnt lgkmcnt(2)
	;;#ASMSTART
	v_dot2_f32_f16 v1, v12, v20, v1
	;;#ASMEND
	s_nop 0
	;;#ASMSTART
	v_dot2_f32_f16 v1, v13, v21, v1
	;;#ASMEND
	s_nop 0
	;;#ASMSTART
	v_dot2_f32_f16 v1, v14, v22, v1
	;;#ASMEND
	s_nop 0
	;;#ASMSTART
	v_dot2_f32_f16 v1, v15, v23, v1
	;;#ASMEND
	;; [unrolled: 16-line block ×4, first 2 shown]
	ds_read_b128 v[12:15], v97 offset:5168
	ds_read_b128 v[16:19], v110 offset:48
	;; [unrolled: 1-line block ×5, first 2 shown]
	s_waitcnt lgkmcnt(3)
	;;#ASMSTART
	v_dot2_f32_f16 v0, v12, v16, v0
	;;#ASMEND
	s_nop 0
	;;#ASMSTART
	v_dot2_f32_f16 v0, v13, v17, v0
	;;#ASMEND
	s_nop 0
	;;#ASMSTART
	v_dot2_f32_f16 v0, v14, v18, v0
	;;#ASMEND
	s_nop 0
	;;#ASMSTART
	v_dot2_f32_f16 v0, v15, v19, v0
	;;#ASMEND
	s_waitcnt lgkmcnt(2)
	;;#ASMSTART
	v_dot2_f32_f16 v1, v12, v20, v1
	;;#ASMEND
	s_nop 0
	;;#ASMSTART
	v_dot2_f32_f16 v1, v13, v21, v1
	;;#ASMEND
	s_nop 0
	;;#ASMSTART
	v_dot2_f32_f16 v1, v14, v22, v1
	;;#ASMEND
	s_nop 0
	;;#ASMSTART
	v_dot2_f32_f16 v1, v15, v23, v1
	;;#ASMEND
	;; [unrolled: 16-line block ×4, first 2 shown]
	ds_read_b128 v[12:15], v97 offset:5184
	ds_read_b128 v[16:19], v110 offset:64
	;; [unrolled: 1-line block ×5, first 2 shown]
	s_waitcnt lgkmcnt(3)
	;;#ASMSTART
	v_dot2_f32_f16 v0, v12, v16, v0
	;;#ASMEND
	s_nop 0
	;;#ASMSTART
	v_dot2_f32_f16 v0, v13, v17, v0
	;;#ASMEND
	s_nop 0
	;;#ASMSTART
	v_dot2_f32_f16 v0, v14, v18, v0
	;;#ASMEND
	s_nop 0
	;;#ASMSTART
	v_dot2_f32_f16 v0, v15, v19, v0
	;;#ASMEND
	s_waitcnt lgkmcnt(2)
	;;#ASMSTART
	v_dot2_f32_f16 v1, v12, v20, v1
	;;#ASMEND
	s_nop 0
	;;#ASMSTART
	v_dot2_f32_f16 v1, v13, v21, v1
	;;#ASMEND
	s_nop 0
	;;#ASMSTART
	v_dot2_f32_f16 v1, v14, v22, v1
	;;#ASMEND
	s_nop 0
	;;#ASMSTART
	v_dot2_f32_f16 v1, v15, v23, v1
	;;#ASMEND
	;; [unrolled: 16-line block ×4, first 2 shown]
	s_barrier
	s_and_saveexec_b64 s[10:11], vcc
	s_cbranch_execz .LBB5_17
; %bb.16:                               ;   in Loop: Header=BB5_11 Depth=1
	global_load_dwordx4 v[12:15], v[6:7], off offset:144
	s_waitcnt vmcnt(0)
	ds_write_b128 v111, v[12:15]
.LBB5_17:                               ;   in Loop: Header=BB5_11 Depth=1
	s_or_b64 exec, exec, s[10:11]
	s_and_saveexec_b64 s[10:11], s[4:5]
	s_cbranch_execz .LBB5_19
; %bb.18:                               ;   in Loop: Header=BB5_11 Depth=1
	v_lshl_add_u64 v[4:5], v[4:5], 0, v[86:87]
	global_load_dwordx4 v[4:7], v[4:5], off offset:80
	s_waitcnt vmcnt(0)
	ds_write_b128 v112, v[4:7]
.LBB5_19:                               ;   in Loop: Header=BB5_11 Depth=1
	s_or_b64 exec, exec, s[10:11]
	s_waitcnt lgkmcnt(0)
	s_barrier
	ds_read_b128 v[4:7], v97 offset:5120
	ds_read_b128 v[12:15], v110 offset:80
	;; [unrolled: 1-line block ×5, first 2 shown]
	s_waitcnt lgkmcnt(3)
	;;#ASMSTART
	v_dot2_f32_f16 v0, v4, v12, v0
	;;#ASMEND
	s_nop 0
	;;#ASMSTART
	v_dot2_f32_f16 v0, v5, v13, v0
	;;#ASMEND
	v_xor_b32_e32 v121, 16, v93
	;;#ASMSTART
	v_dot2_f32_f16 v0, v6, v14, v0
	;;#ASMEND
	v_xor_b32_e32 v122, 8, v93
	;;#ASMSTART
	v_dot2_f32_f16 v0, v7, v15, v0
	;;#ASMEND
	s_waitcnt lgkmcnt(2)
	;;#ASMSTART
	v_dot2_f32_f16 v1, v4, v16, v1
	;;#ASMEND
	v_xor_b32_e32 v123, 4, v93
	;;#ASMSTART
	v_dot2_f32_f16 v1, v5, v17, v1
	;;#ASMEND
	v_xor_b32_e32 v120, 2, v93
	;; [unrolled: 4-line block ×3, first 2 shown]
	;;#ASMSTART
	v_dot2_f32_f16 v1, v7, v19, v1
	;;#ASMEND
	s_waitcnt lgkmcnt(1)
	;;#ASMSTART
	v_dot2_f32_f16 v2, v4, v20, v2
	;;#ASMEND
	v_lshlrev_b32_e32 v86, 2, v92
	;;#ASMSTART
	v_dot2_f32_f16 v2, v5, v21, v2
	;;#ASMEND
	s_nop 0
	;;#ASMSTART
	v_dot2_f32_f16 v2, v6, v22, v2
	;;#ASMEND
	s_nop 0
	;;#ASMSTART
	v_dot2_f32_f16 v2, v7, v23, v2
	;;#ASMEND
	s_waitcnt lgkmcnt(0)
	;;#ASMSTART
	v_dot2_f32_f16 v3, v4, v24, v3
	;;#ASMEND
	s_nop 0
	;;#ASMSTART
	v_dot2_f32_f16 v3, v5, v25, v3
	;;#ASMEND
	s_nop 0
	;; [unrolled: 4-line block ×3, first 2 shown]
	;;#ASMSTART
	v_dot2_f32_f16 v3, v7, v27, v3
	;;#ASMEND
	ds_read_b128 v[4:7], v97 offset:5136
	ds_read_b128 v[12:15], v110 offset:96
	;; [unrolled: 1-line block ×5, first 2 shown]
	s_waitcnt lgkmcnt(3)
	;;#ASMSTART
	v_dot2_f32_f16 v0, v4, v12, v0
	;;#ASMEND
	s_nop 0
	;;#ASMSTART
	v_dot2_f32_f16 v0, v5, v13, v0
	;;#ASMEND
	s_nop 0
	;;#ASMSTART
	v_dot2_f32_f16 v0, v6, v14, v0
	;;#ASMEND
	s_nop 0
	;;#ASMSTART
	v_dot2_f32_f16 v0, v7, v15, v0
	;;#ASMEND
	s_waitcnt lgkmcnt(2)
	;;#ASMSTART
	v_dot2_f32_f16 v1, v4, v16, v1
	;;#ASMEND
	s_nop 0
	;;#ASMSTART
	v_dot2_f32_f16 v1, v5, v17, v1
	;;#ASMEND
	s_nop 0
	;;#ASMSTART
	v_dot2_f32_f16 v1, v6, v18, v1
	;;#ASMEND
	s_nop 0
	;;#ASMSTART
	v_dot2_f32_f16 v1, v7, v19, v1
	;;#ASMEND
	;; [unrolled: 16-line block ×4, first 2 shown]
	ds_read_b128 v[4:7], v97 offset:5152
	ds_read_b128 v[12:15], v110 offset:112
	;; [unrolled: 1-line block ×5, first 2 shown]
	s_waitcnt lgkmcnt(3)
	;;#ASMSTART
	v_dot2_f32_f16 v0, v4, v12, v0
	;;#ASMEND
	s_nop 0
	;;#ASMSTART
	v_dot2_f32_f16 v0, v5, v13, v0
	;;#ASMEND
	s_nop 0
	;;#ASMSTART
	v_dot2_f32_f16 v0, v6, v14, v0
	;;#ASMEND
	s_nop 0
	;;#ASMSTART
	v_dot2_f32_f16 v0, v7, v15, v0
	;;#ASMEND
	s_waitcnt lgkmcnt(2)
	;;#ASMSTART
	v_dot2_f32_f16 v1, v4, v16, v1
	;;#ASMEND
	s_nop 0
	;;#ASMSTART
	v_dot2_f32_f16 v1, v5, v17, v1
	;;#ASMEND
	s_nop 0
	;;#ASMSTART
	v_dot2_f32_f16 v1, v6, v18, v1
	;;#ASMEND
	s_nop 0
	;;#ASMSTART
	v_dot2_f32_f16 v1, v7, v19, v1
	;;#ASMEND
	;; [unrolled: 16-line block ×4, first 2 shown]
	ds_read_b128 v[4:7], v97 offset:5168
	ds_read_b128 v[12:15], v110 offset:128
	;; [unrolled: 1-line block ×5, first 2 shown]
	s_waitcnt lgkmcnt(3)
	;;#ASMSTART
	v_dot2_f32_f16 v0, v4, v12, v0
	;;#ASMEND
	s_nop 0
	;;#ASMSTART
	v_dot2_f32_f16 v0, v5, v13, v0
	;;#ASMEND
	s_nop 0
	;;#ASMSTART
	v_dot2_f32_f16 v0, v6, v14, v0
	;;#ASMEND
	s_nop 0
	;;#ASMSTART
	v_dot2_f32_f16 v0, v7, v15, v0
	;;#ASMEND
	s_waitcnt lgkmcnt(2)
	;;#ASMSTART
	v_dot2_f32_f16 v1, v4, v16, v1
	;;#ASMEND
	s_nop 0
	;;#ASMSTART
	v_dot2_f32_f16 v1, v5, v17, v1
	;;#ASMEND
	s_nop 0
	;;#ASMSTART
	v_dot2_f32_f16 v1, v6, v18, v1
	;;#ASMEND
	s_nop 0
	;;#ASMSTART
	v_dot2_f32_f16 v1, v7, v19, v1
	;;#ASMEND
	;; [unrolled: 16-line block ×4, first 2 shown]
	ds_read_b128 v[4:7], v97 offset:5184
	ds_read_b128 v[12:15], v110 offset:144
	ds_read_b128 v[16:19], v110 offset:304
	ds_read_b128 v[20:23], v110 offset:464
	ds_read_b128 v[24:27], v110 offset:624
	s_waitcnt lgkmcnt(3)
	;;#ASMSTART
	v_dot2_f32_f16 v0, v4, v12, v0
	;;#ASMEND
	s_nop 0
	;;#ASMSTART
	v_dot2_f32_f16 v0, v5, v13, v0
	;;#ASMEND
	v_max_f32_e32 v12, v11, v11
	;;#ASMSTART
	v_dot2_f32_f16 v0, v6, v14, v0
	;;#ASMEND
	v_max_f32_e32 v13, v10, v10
	;;#ASMSTART
	v_dot2_f32_f16 v0, v7, v15, v0
	;;#ASMEND
	s_waitcnt lgkmcnt(2)
	;;#ASMSTART
	v_dot2_f32_f16 v1, v4, v16, v1
	;;#ASMEND
	v_max_f32_e32 v14, v9, v9
	;;#ASMSTART
	v_dot2_f32_f16 v1, v5, v17, v1
	;;#ASMEND
	v_max_f32_e32 v15, v8, v8
	;;#ASMSTART
	v_dot2_f32_f16 v1, v6, v18, v1
	;;#ASMEND
	s_nop 0
	;;#ASMSTART
	v_dot2_f32_f16 v1, v7, v19, v1
	;;#ASMEND
	s_waitcnt lgkmcnt(1)
	;;#ASMSTART
	v_dot2_f32_f16 v2, v4, v20, v2
	;;#ASMEND
	s_nop 0
	;;#ASMSTART
	v_dot2_f32_f16 v2, v5, v21, v2
	;;#ASMEND
	s_nop 0
	;; [unrolled: 4-line block ×3, first 2 shown]
	;;#ASMSTART
	v_dot2_f32_f16 v2, v7, v23, v2
	;;#ASMEND
	s_waitcnt lgkmcnt(0)
	;;#ASMSTART
	v_dot2_f32_f16 v3, v4, v24, v3
	;;#ASMEND
	v_add_u32_e32 v4, s42, v90
	;;#ASMSTART
	v_dot2_f32_f16 v3, v5, v25, v3
	;;#ASMEND
	v_ashrrev_i32_e32 v5, 31, v4
	;;#ASMSTART
	v_dot2_f32_f16 v3, v6, v26, v3
	;;#ASMEND
	v_lshl_add_u64 v[4:5], v[4:5], 1, s[52:53]
	;;#ASMSTART
	v_dot2_f32_f16 v3, v7, v27, v3
	;;#ASMEND
	flat_load_ushort v4, v[4:5]
	v_and_b32_e32 v5, 0x60, v93
	v_add_u32_e32 v119, 32, v5
	v_cmp_lt_i32_e64 s[10:11], v121, v119
	s_waitcnt lgkmcnt(0)
	s_barrier
	v_cndmask_b32_e64 v5, v93, v121, s[10:11]
	v_lshlrev_b32_e32 v20, 2, v5
	v_cmp_lt_i32_e64 s[10:11], v122, v119
	s_waitcnt vmcnt(0)
	v_cvt_f32_f16_e32 v4, v4
	v_cndmask_b32_e64 v16, v93, v122, s[10:11]
	v_lshlrev_b32_e32 v16, 2, v16
	v_cmp_lt_i32_e64 s[10:11], v123, v119
	v_pk_add_f32 v[6:7], v[2:3], v[4:5] op_sel_hi:[1,0]
	v_pk_add_f32 v[4:5], v[0:1], v[4:5] op_sel_hi:[1,0]
	;; [unrolled: 1-line block ×4, first 2 shown]
	v_max_f32_e32 v3, v12, v3
	ds_bpermute_b32 v12, v20, v3
	v_max_f32_e32 v2, v13, v2
	v_max_f32_e32 v1, v14, v1
	ds_bpermute_b32 v13, v20, v2
	ds_bpermute_b32 v14, v20, v1
	v_max_f32_e32 v0, v15, v0
	s_waitcnt lgkmcnt(2)
	v_max_f32_e32 v12, v12, v12
	ds_bpermute_b32 v15, v20, v0
	v_max_f32_e32 v3, v3, v12
	ds_bpermute_b32 v12, v16, v3
	s_waitcnt lgkmcnt(3)
	v_max_f32_e32 v13, v13, v13
	s_waitcnt lgkmcnt(2)
	v_max_f32_e32 v14, v14, v14
	v_max_f32_e32 v2, v2, v13
	v_max_f32_e32 v1, v1, v14
	ds_bpermute_b32 v13, v16, v2
	ds_bpermute_b32 v14, v16, v1
	s_waitcnt lgkmcnt(3)
	v_max_f32_e32 v15, v15, v15
	v_cndmask_b32_e64 v17, v93, v123, s[10:11]
	v_max_f32_e32 v0, v0, v15
	s_waitcnt lgkmcnt(2)
	v_max_f32_e32 v12, v12, v12
	ds_bpermute_b32 v15, v16, v0
	v_lshlrev_b32_e32 v16, 2, v17
	v_max_f32_e32 v3, v3, v12
	ds_bpermute_b32 v12, v16, v3
	s_waitcnt lgkmcnt(3)
	v_max_f32_e32 v13, v13, v13
	s_waitcnt lgkmcnt(2)
	v_max_f32_e32 v14, v14, v14
	v_max_f32_e32 v2, v2, v13
	;; [unrolled: 1-line block ×3, first 2 shown]
	ds_bpermute_b32 v13, v16, v2
	ds_bpermute_b32 v14, v16, v1
	v_cmp_lt_i32_e64 s[10:11], v120, v119
	s_waitcnt lgkmcnt(3)
	v_max_f32_e32 v15, v15, v15
	v_max_f32_e32 v0, v0, v15
	v_cndmask_b32_e64 v18, v93, v120, s[10:11]
	s_waitcnt lgkmcnt(2)
	v_max_f32_e32 v12, v12, v12
	ds_bpermute_b32 v15, v16, v0
	v_lshlrev_b32_e32 v16, 2, v18
	v_max_f32_e32 v3, v3, v12
	ds_bpermute_b32 v12, v16, v3
	s_waitcnt lgkmcnt(3)
	v_max_f32_e32 v13, v13, v13
	s_waitcnt lgkmcnt(2)
	v_max_f32_e32 v14, v14, v14
	v_max_f32_e32 v2, v2, v13
	;; [unrolled: 1-line block ×3, first 2 shown]
	ds_bpermute_b32 v13, v16, v2
	ds_bpermute_b32 v14, v16, v1
	v_cmp_lt_i32_e64 s[10:11], v118, v119
	s_waitcnt lgkmcnt(3)
	v_max_f32_e32 v15, v15, v15
	v_max_f32_e32 v0, v0, v15
	v_cndmask_b32_e64 v19, v93, v118, s[10:11]
	s_waitcnt lgkmcnt(2)
	v_max_f32_e32 v12, v12, v12
	ds_bpermute_b32 v15, v16, v0
	v_lshlrev_b32_e32 v16, 2, v19
	v_max_f32_e32 v3, v3, v12
	ds_bpermute_b32 v12, v16, v3
	s_waitcnt lgkmcnt(3)
	v_max_f32_e32 v13, v13, v13
	s_waitcnt lgkmcnt(2)
	v_max_f32_e32 v14, v14, v14
	v_max_f32_e32 v2, v2, v13
	;; [unrolled: 1-line block ×3, first 2 shown]
	ds_bpermute_b32 v13, v16, v2
	ds_bpermute_b32 v14, v16, v1
	s_waitcnt lgkmcnt(2)
	v_max_f32_e32 v12, v12, v12
	v_max_f32_e32 v3, v3, v12
	v_sub_f32_e32 v7, v7, v3
	s_waitcnt lgkmcnt(1)
	v_max_f32_e32 v13, v13, v13
	s_waitcnt lgkmcnt(0)
	v_max_f32_e32 v14, v14, v14
	v_mul_f32_e32 v12, 0x3fb8aa3b, v7
	v_max_f32_e32 v15, v15, v15
	v_max_f32_e32 v2, v2, v13
	;; [unrolled: 1-line block ×3, first 2 shown]
	v_fma_f32 v13, v7, s55, -v12
	v_rndne_f32_e32 v14, v12
	v_max_f32_e32 v0, v0, v15
	v_fmac_f32_e32 v13, 0x32a5705f, v7
	v_sub_f32_e32 v12, v12, v14
	ds_bpermute_b32 v15, v16, v0
	v_add_f32_e32 v12, v12, v13
	v_exp_f32_e32 v12, v12
	v_cvt_i32_f32_e32 v13, v14
	v_sub_f32_e32 v6, v6, v2
	s_waitcnt lgkmcnt(0)
	v_max_f32_e32 v15, v15, v15
	v_max_f32_e32 v0, v0, v15
	v_ldexp_f32 v12, v12, v13
	v_mul_f32_e32 v13, 0x3fb8aa3b, v6
	v_fma_f32 v14, v6, s55, -v13
	v_rndne_f32_e32 v15, v13
	v_fmac_f32_e32 v14, 0x32a5705f, v6
	v_sub_f32_e32 v13, v13, v15
	v_add_f32_e32 v13, v13, v14
	v_exp_f32_e32 v13, v13
	v_cvt_i32_f32_e32 v14, v15
	v_cmp_ngt_f32_e64 s[10:11], s56, v7
	v_sub_f32_e32 v5, v5, v1
	v_sub_f32_e32 v4, v4, v0
	v_cndmask_b32_e64 v12, 0, v12, s[10:11]
	v_cmp_nlt_f32_e64 s[10:11], s57, v7
	v_ldexp_f32 v7, v13, v14
	s_nop 0
	v_cndmask_b32_e64 v101, v117, v12, s[10:11]
	v_mul_f32_e32 v12, 0x3fb8aa3b, v5
	v_fma_f32 v13, v5, s55, -v12
	v_rndne_f32_e32 v14, v12
	v_fmac_f32_e32 v13, 0x32a5705f, v5
	v_sub_f32_e32 v12, v12, v14
	v_add_f32_e32 v12, v12, v13
	v_exp_f32_e32 v12, v12
	v_cvt_i32_f32_e32 v13, v14
	v_cmp_ngt_f32_e64 s[10:11], s56, v6
	s_nop 1
	v_cndmask_b32_e64 v7, 0, v7, s[10:11]
	v_cmp_nlt_f32_e64 s[10:11], s57, v6
	v_ldexp_f32 v6, v12, v13
	s_nop 0
	v_cndmask_b32_e64 v100, v117, v7, s[10:11]
	v_mul_f32_e32 v7, 0x3fb8aa3b, v4
	v_fma_f32 v12, v4, s55, -v7
	v_rndne_f32_e32 v13, v7
	v_fmac_f32_e32 v12, 0x32a5705f, v4
	v_sub_f32_e32 v7, v7, v13
	v_add_f32_e32 v7, v7, v12
	v_exp_f32_e32 v7, v7
	v_cvt_i32_f32_e32 v12, v13
	v_cmp_ngt_f32_e64 s[10:11], s56, v5
	s_nop 1
	v_cndmask_b32_e64 v6, 0, v6, s[10:11]
	v_cmp_nlt_f32_e64 s[10:11], s57, v5
	v_ldexp_f32 v5, v7, v12
	s_nop 0
	v_cndmask_b32_e64 v103, v117, v6, s[10:11]
	v_cmp_ngt_f32_e64 s[10:11], s56, v4
	v_cvt_f16_f32_e32 v6, v103
	s_nop 0
	v_cndmask_b32_e64 v5, 0, v5, s[10:11]
	v_cmp_nlt_f32_e64 s[10:11], s57, v4
	v_cvt_f16_f32_e32 v4, v101
	s_nop 0
	v_cndmask_b32_e64 v102, v117, v5, s[10:11]
	v_cvt_f16_f32_e32 v5, v100
	v_cvt_f16_f32_e32 v7, v102
	s_mul_hi_i32 s11, s42, s43
	s_mul_i32 s10, s42, s43
	s_lshl_b64 s[10:11], s[10:11], 2
	s_add_u32 s10, s40, s10
	v_pack_b32_f16 v5, v5, v4
	v_pack_b32_f16 v4, v7, v6
	v_add_u32_e32 v6, v113, v114
	s_addc_u32 s11, s41, s11
	ds_write_b64 v6, v[4:5]
	s_and_saveexec_b64 s[12:13], s[6:7]
	s_cbranch_execz .LBB5_21
; %bb.20:                               ;   in Loop: Header=BB5_11 Depth=1
	v_lshl_add_u64 v[4:5], v[94:95], 2, s[10:11]
	v_lshl_add_u64 v[4:5], v[4:5], 0, v[86:87]
	global_load_dwordx4 v[4:7], v[4:5], off offset:128
	s_waitcnt vmcnt(0)
	ds_write_b128 v115, v[4:7]
.LBB5_21:                               ;   in Loop: Header=BB5_11 Depth=1
	s_or_b64 exec, exec, s[12:13]
	v_lshlrev_b32_e32 v108, 2, v96
	s_and_saveexec_b64 s[12:13], s[8:9]
	s_cbranch_execz .LBB5_23
; %bb.22:                               ;   in Loop: Header=BB5_11 Depth=1
	v_lshl_add_u64 v[4:5], v[98:99], 2, s[10:11]
	v_mov_b32_e32 v109, v87
	v_lshl_add_u64 v[4:5], v[4:5], 0, v[108:109]
	global_load_dwordx4 v[4:7], v[4:5], off
	s_waitcnt vmcnt(0)
	ds_write_b128 v116, v[4:7]
.LBB5_23:                               ;   in Loop: Header=BB5_11 Depth=1
	s_or_b64 exec, exec, s[12:13]
	v_add_u32_e32 v126, 0x1000, v114
	v_add_u32_e32 v125, 0x1400, v114
	;; [unrolled: 1-line block ×3, first 2 shown]
	v_sub_f32_e32 v106, v10, v2
	v_sub_f32_e32 v107, v11, v3
	;; [unrolled: 1-line block ×4, first 2 shown]
	s_waitcnt lgkmcnt(0)
	s_barrier
	ds_read2_b64 v[60:63], v126 offset0:128 offset1:148
	ds_read_b128 v[64:67], v113
	ds_read_b128 v[52:55], v113 offset:16
	ds_read_b128 v[44:47], v113 offset:32
	;; [unrolled: 1-line block ×3, first 2 shown]
	ds_read2_b64 v[56:59], v126 offset0:168 offset1:188
	ds_read2_b64 v[48:51], v126 offset0:208 offset1:228
	;; [unrolled: 1-line block ×5, first 2 shown]
	ds_read_b128 v[36:39], v113 offset:64
	ds_read_b128 v[24:27], v113 offset:80
	ds_read2_b64 v[12:15], v124 offset0:112 offset1:132
	ds_read2_b64 v[4:7], v124 offset0:152 offset1:172
	ds_read_b128 v[16:19], v113 offset:96
	ds_read_b128 v[8:11], v113 offset:112
	s_or_b32 s36, s42, 16
	s_mul_hi_i32 s37, s36, s43
	s_mul_i32 s36, s36, s43
	s_lshl_b64 s[36:37], s[36:37], 2
	s_add_u32 s36, s40, s36
	v_cmp_ngt_f32_e64 s[22:23], s56, v105
	v_cmp_nlt_f32_e64 s[24:25], s57, v105
	v_cmp_ngt_f32_e64 s[18:19], s56, v104
	v_cmp_nlt_f32_e64 s[20:21], s57, v104
	;; [unrolled: 2-line block ×4, first 2 shown]
	s_addc_u32 s37, s41, s37
	s_waitcnt lgkmcnt(0)
	s_barrier
	s_and_saveexec_b64 s[38:39], s[6:7]
	s_cbranch_execz .LBB5_25
; %bb.24:                               ;   in Loop: Header=BB5_11 Depth=1
	v_lshl_add_u64 v[128:129], v[94:95], 2, s[36:37]
	v_lshl_add_u64 v[128:129], v[128:129], 0, v[86:87]
	global_load_dwordx4 v[128:131], v[128:129], off offset:128
	s_waitcnt vmcnt(0)
	ds_write_b128 v115, v[128:131]
.LBB5_25:                               ;   in Loop: Header=BB5_11 Depth=1
	s_or_b64 exec, exec, s[38:39]
	v_mul_f32_e32 v86, 0x3fb8aa3b, v105
	v_fma_f32 v109, v105, s55, -v86
	v_fmac_f32_e32 v109, 0x32a5705f, v105
	v_rndne_f32_e32 v105, v86
	v_sub_f32_e32 v86, v86, v105
	v_add_f32_e32 v86, v86, v109
	v_mul_f32_e32 v109, 0x3fb8aa3b, v104
	v_fma_f32 v127, v104, s55, -v109
	v_fmac_f32_e32 v127, 0x32a5705f, v104
	v_rndne_f32_e32 v104, v109
	v_exp_f32_e32 v86, v86
	v_cvt_i32_f32_e32 v105, v105
	v_sub_f32_e32 v109, v109, v104
	v_add_f32_e32 v109, v109, v127
	v_exp_f32_e32 v109, v109
	v_cvt_i32_f32_e32 v104, v104
	v_ldexp_f32 v86, v86, v105
	v_cndmask_b32_e64 v86, 0, v86, s[22:23]
	v_cndmask_b32_e64 v105, v117, v86, s[24:25]
	v_ldexp_f32 v86, v109, v104
	v_cndmask_b32_e64 v86, 0, v86, s[18:19]
	v_cndmask_b32_e64 v104, v117, v86, s[20:21]
	v_mul_f32_e32 v86, 0x3fb8aa3b, v107
	v_fma_f32 v109, v107, s55, -v86
	v_fmac_f32_e32 v109, 0x32a5705f, v107
	v_rndne_f32_e32 v107, v86
	v_sub_f32_e32 v86, v86, v107
	v_add_f32_e32 v86, v86, v109
	v_mul_f32_e32 v109, 0x3fb8aa3b, v106
	v_fma_f32 v127, v106, s55, -v109
	v_fmac_f32_e32 v127, 0x32a5705f, v106
	v_rndne_f32_e32 v106, v109
	v_exp_f32_e32 v86, v86
	v_cvt_i32_f32_e32 v107, v107
	v_sub_f32_e32 v109, v109, v106
	v_add_f32_e32 v109, v109, v127
	v_exp_f32_e32 v109, v109
	v_cvt_i32_f32_e32 v106, v106
	v_ldexp_f32 v86, v86, v107
	v_cndmask_b32_e64 v86, 0, v86, s[14:15]
	v_cndmask_b32_e64 v107, v117, v86, s[16:17]
	v_ldexp_f32 v86, v109, v106
	v_cndmask_b32_e64 v86, 0, v86, s[10:11]
	v_cndmask_b32_e64 v106, v117, v86, s[12:13]
	s_and_saveexec_b64 s[10:11], s[8:9]
	s_cbranch_execz .LBB5_27
; %bb.26:                               ;   in Loop: Header=BB5_11 Depth=1
	v_lshl_add_u64 v[128:129], v[98:99], 2, s[36:37]
	v_mov_b32_e32 v109, v87
	v_lshl_add_u64 v[108:109], v[128:129], 0, v[108:109]
	global_load_dwordx4 v[128:131], v[108:109], off
	s_waitcnt vmcnt(0)
	ds_write_b128 v116, v[128:131]
.LBB5_27:                               ;   in Loop: Header=BB5_11 Depth=1
	s_or_b64 exec, exec, s[10:11]
	v_cvt_f16_f32_e32 v127, v107
	v_cvt_f16_f32_e32 v86, v104
	;; [unrolled: 1-line block ×4, first 2 shown]
	v_pk_mul_f16 v73, v127, v73 op_sel_hi:[0,1]
	v_pk_mul_f16 v75, v127, v75 op_sel_hi:[0,1]
	;; [unrolled: 1-line block ×4, first 2 shown]
	v_pk_fma_f16 v86, v86, v91, v127 op_sel_hi:[0,1,1]
	v_pk_mul_f16 v91, v60, v64 op_sel:[0,1]
	v_pk_mul_f16 v74, v108, v74 op_sel_hi:[0,1]
	v_pk_mul_f16 v72, v109, v72 op_sel_hi:[0,1]
	v_pk_fma_f16 v85, v108, v85, v91 op_sel_hi:[0,1,1]
	v_pk_mul_f16 v91, v60, v65 op_sel_hi:[1,0]
	v_pk_fma_f16 v60, v60, v65, v73 op_sel:[0,1,0]
	v_pk_fma_f16 v77, v109, v77, v91 op_sel_hi:[0,1,1]
	v_pk_fma_f16 v73, v61, v64, v76 op_sel_hi:[1,0,1]
	v_pk_fma_f16 v64, v61, v64, v74 op_sel:[0,1,0]
	v_pk_fma_f16 v72, v61, v65, v72 op_sel_hi:[1,0,1]
	v_pk_fma_f16 v61, v61, v65, v75 op_sel:[0,1,0]
	v_pk_fma_f16 v65, v62, v66, v86 op_sel_hi:[1,0,1]
	v_pk_fma_f16 v74, v62, v66, v85 op_sel:[0,1,0]
	v_pk_fma_f16 v75, v62, v67, v77 op_sel_hi:[1,0,1]
	v_pk_fma_f16 v60, v62, v67, v60 op_sel:[0,1,0]
	v_pk_fma_f16 v62, v63, v66, v73 op_sel_hi:[1,0,1]
	v_pk_fma_f16 v64, v63, v66, v64 op_sel:[0,1,0]
	v_pk_fma_f16 v66, v63, v67, v72 op_sel_hi:[1,0,1]
	v_pk_fma_f16 v61, v63, v67, v61 op_sel:[0,1,0]
	v_pk_fma_f16 v63, v56, v52, v65 op_sel_hi:[1,0,1]
	v_pk_fma_f16 v65, v56, v52, v74 op_sel:[0,1,0]
	v_pk_fma_f16 v67, v56, v53, v75 op_sel_hi:[1,0,1]
	v_pk_fma_f16 v56, v56, v53, v60 op_sel:[0,1,0]
	v_pk_fma_f16 v60, v57, v52, v62 op_sel_hi:[1,0,1]
	v_pk_fma_f16 v52, v57, v52, v64 op_sel:[0,1,0]
	v_pk_fma_f16 v62, v57, v53, v66 op_sel_hi:[1,0,1]
	v_pk_fma_f16 v53, v57, v53, v61 op_sel:[0,1,0]
	v_pk_fma_f16 v57, v58, v54, v63 op_sel_hi:[1,0,1]
	v_pk_fma_f16 v61, v58, v54, v65 op_sel:[0,1,0]
	v_pk_fma_f16 v63, v58, v55, v67 op_sel_hi:[1,0,1]
	v_pk_fma_f16 v56, v58, v55, v56 op_sel:[0,1,0]
	v_pk_fma_f16 v58, v59, v54, v60 op_sel_hi:[1,0,1]
	v_pk_fma_f16 v52, v59, v54, v52 op_sel:[0,1,0]
	v_pk_fma_f16 v54, v59, v55, v62 op_sel_hi:[1,0,1]
	v_pk_fma_f16 v53, v59, v55, v53 op_sel:[0,1,0]
	v_pk_fma_f16 v55, v48, v44, v57 op_sel_hi:[1,0,1]
	v_pk_fma_f16 v57, v48, v44, v61 op_sel:[0,1,0]
	v_pk_fma_f16 v59, v48, v45, v63 op_sel_hi:[1,0,1]
	v_pk_fma_f16 v48, v48, v45, v56 op_sel:[0,1,0]
	v_pk_fma_f16 v56, v49, v44, v58 op_sel_hi:[1,0,1]
	v_pk_fma_f16 v44, v49, v44, v52 op_sel:[0,1,0]
	v_pk_fma_f16 v52, v49, v45, v54 op_sel_hi:[1,0,1]
	v_pk_fma_f16 v45, v49, v45, v53 op_sel:[0,1,0]
	v_pk_fma_f16 v49, v50, v46, v55 op_sel_hi:[1,0,1]
	v_pk_fma_f16 v53, v50, v46, v57 op_sel:[0,1,0]
	v_pk_fma_f16 v54, v50, v47, v59 op_sel_hi:[1,0,1]
	v_pk_fma_f16 v48, v50, v47, v48 op_sel:[0,1,0]
	v_pk_fma_f16 v50, v51, v46, v56 op_sel_hi:[1,0,1]
	v_pk_fma_f16 v44, v51, v46, v44 op_sel:[0,1,0]
	v_pk_fma_f16 v46, v51, v47, v52 op_sel_hi:[1,0,1]
	v_pk_fma_f16 v45, v51, v47, v45 op_sel:[0,1,0]
	v_pk_fma_f16 v47, v40, v32, v49 op_sel_hi:[1,0,1]
	v_pk_fma_f16 v49, v40, v32, v53 op_sel:[0,1,0]
	v_pk_fma_f16 v51, v40, v33, v54 op_sel_hi:[1,0,1]
	v_pk_fma_f16 v40, v40, v33, v48 op_sel:[0,1,0]
	v_pk_fma_f16 v48, v41, v32, v50 op_sel_hi:[1,0,1]
	v_pk_fma_f16 v32, v41, v32, v44 op_sel:[0,1,0]
	v_pk_fma_f16 v44, v41, v33, v46 op_sel_hi:[1,0,1]
	v_pk_fma_f16 v33, v41, v33, v45 op_sel:[0,1,0]
	v_pk_fma_f16 v41, v42, v34, v47 op_sel_hi:[1,0,1]
	v_pk_fma_f16 v45, v42, v34, v49 op_sel:[0,1,0]
	v_pk_fma_f16 v46, v42, v35, v51 op_sel_hi:[1,0,1]
	v_pk_fma_f16 v40, v42, v35, v40 op_sel:[0,1,0]
	v_pk_fma_f16 v42, v43, v34, v48 op_sel_hi:[1,0,1]
	v_pk_fma_f16 v32, v43, v34, v32 op_sel:[0,1,0]
	v_pk_fma_f16 v34, v43, v35, v44 op_sel_hi:[1,0,1]
	v_pk_fma_f16 v33, v43, v35, v33 op_sel:[0,1,0]
	v_pk_fma_f16 v35, v28, v36, v41 op_sel_hi:[1,0,1]
	v_pk_fma_f16 v41, v28, v36, v45 op_sel:[0,1,0]
	v_pk_fma_f16 v43, v28, v37, v46 op_sel_hi:[1,0,1]
	v_pk_fma_f16 v28, v28, v37, v40 op_sel:[0,1,0]
	v_pk_fma_f16 v40, v29, v36, v42 op_sel_hi:[1,0,1]
	v_pk_fma_f16 v32, v29, v36, v32 op_sel:[0,1,0]
	v_pk_fma_f16 v34, v29, v37, v34 op_sel_hi:[1,0,1]
	v_pk_fma_f16 v29, v29, v37, v33 op_sel:[0,1,0]
	v_pk_fma_f16 v33, v30, v38, v35 op_sel_hi:[1,0,1]
	v_pk_fma_f16 v35, v30, v38, v41 op_sel:[0,1,0]
	v_pk_fma_f16 v36, v30, v39, v43 op_sel_hi:[1,0,1]
	v_pk_fma_f16 v28, v30, v39, v28 op_sel:[0,1,0]
	v_pk_fma_f16 v30, v31, v38, v40 op_sel_hi:[1,0,1]
	v_pk_fma_f16 v32, v31, v38, v32 op_sel:[0,1,0]
	v_pk_fma_f16 v34, v31, v39, v34 op_sel_hi:[1,0,1]
	v_pk_fma_f16 v29, v31, v39, v29 op_sel:[0,1,0]
	v_pk_fma_f16 v31, v20, v24, v33 op_sel_hi:[1,0,1]
	v_pk_fma_f16 v33, v20, v24, v35 op_sel:[0,1,0]
	v_pk_fma_f16 v35, v20, v25, v36 op_sel_hi:[1,0,1]
	v_pk_fma_f16 v20, v20, v25, v28 op_sel:[0,1,0]
	v_pk_fma_f16 v28, v21, v24, v30 op_sel_hi:[1,0,1]
	v_pk_fma_f16 v24, v21, v24, v32 op_sel:[0,1,0]
	v_pk_fma_f16 v30, v21, v25, v34 op_sel_hi:[1,0,1]
	v_pk_fma_f16 v21, v21, v25, v29 op_sel:[0,1,0]
	v_pk_fma_f16 v25, v22, v26, v31 op_sel_hi:[1,0,1]
	v_pk_fma_f16 v29, v22, v26, v33 op_sel:[0,1,0]
	v_pk_fma_f16 v31, v22, v27, v35 op_sel_hi:[1,0,1]
	v_pk_fma_f16 v20, v22, v27, v20 op_sel:[0,1,0]
	v_pk_fma_f16 v22, v23, v26, v28 op_sel_hi:[1,0,1]
	v_pk_fma_f16 v24, v23, v26, v24 op_sel:[0,1,0]
	v_pk_fma_f16 v26, v23, v27, v30 op_sel_hi:[1,0,1]
	v_pk_fma_f16 v21, v23, v27, v21 op_sel:[0,1,0]
	v_pk_fma_f16 v23, v12, v16, v25 op_sel_hi:[1,0,1]
	v_pk_fma_f16 v25, v12, v16, v29 op_sel:[0,1,0]
	v_pk_fma_f16 v27, v12, v17, v31 op_sel_hi:[1,0,1]
	v_pk_fma_f16 v12, v12, v17, v20 op_sel:[0,1,0]
	v_pk_fma_f16 v20, v13, v16, v22 op_sel_hi:[1,0,1]
	v_pk_fma_f16 v16, v13, v16, v24 op_sel:[0,1,0]
	v_pk_fma_f16 v22, v13, v17, v26 op_sel_hi:[1,0,1]
	v_pk_fma_f16 v13, v13, v17, v21 op_sel:[0,1,0]
	v_pk_fma_f16 v17, v14, v18, v23 op_sel_hi:[1,0,1]
	v_pk_fma_f16 v21, v14, v18, v25 op_sel:[0,1,0]
	v_pk_fma_f16 v23, v14, v19, v27 op_sel_hi:[1,0,1]
	v_pk_fma_f16 v12, v14, v19, v12 op_sel:[0,1,0]
	v_pk_fma_f16 v14, v15, v18, v20 op_sel_hi:[1,0,1]
	v_pk_fma_f16 v16, v15, v18, v16 op_sel:[0,1,0]
	v_pk_fma_f16 v18, v15, v19, v22 op_sel_hi:[1,0,1]
	v_pk_fma_f16 v13, v15, v19, v13 op_sel:[0,1,0]
	v_pk_fma_f16 v15, v4, v8, v17 op_sel_hi:[1,0,1]
	v_pk_fma_f16 v17, v4, v8, v21 op_sel:[0,1,0]
	v_pk_fma_f16 v19, v4, v9, v23 op_sel_hi:[1,0,1]
	v_pk_fma_f16 v4, v4, v9, v12 op_sel:[0,1,0]
	v_pk_fma_f16 v12, v5, v8, v14 op_sel_hi:[1,0,1]
	v_pk_fma_f16 v8, v5, v8, v16 op_sel:[0,1,0]
	v_pk_fma_f16 v14, v5, v9, v18 op_sel_hi:[1,0,1]
	v_pk_fma_f16 v5, v5, v9, v13 op_sel:[0,1,0]
	v_pk_fma_f16 v24, v6, v10, v15 op_sel_hi:[1,0,1]
	v_pk_fma_f16 v25, v6, v10, v17 op_sel:[0,1,0]
	v_pk_fma_f16 v26, v6, v11, v19 op_sel_hi:[1,0,1]
	v_pk_fma_f16 v27, v6, v11, v4 op_sel:[0,1,0]
	v_pk_fma_f16 v28, v7, v10, v12 op_sel_hi:[1,0,1]
	v_pk_fma_f16 v29, v7, v10, v8 op_sel:[0,1,0]
	v_pk_fma_f16 v30, v7, v11, v14 op_sel_hi:[1,0,1]
	v_pk_fma_f16 v31, v7, v11, v5 op_sel:[0,1,0]
	s_waitcnt lgkmcnt(0)
	s_barrier
	ds_read2_b64 v[4:7], v126 offset0:128 offset1:148
	ds_read_b128 v[8:11], v113 offset:128
	ds_read_b128 v[12:15], v113 offset:144
	;; [unrolled: 1-line block ×4, first 2 shown]
	v_pk_fma_f32 v[78:79], v[78:79], v[106:107], v[100:101]
	v_pk_fma_f32 v[80:81], v[80:81], v[104:105], v[102:103]
	s_waitcnt lgkmcnt(3)
	v_pk_fma_f16 v24, v4, v8, v24 op_sel_hi:[1,0,1]
	v_pk_fma_f16 v25, v4, v8, v25 op_sel:[0,1,0]
	v_pk_fma_f16 v26, v4, v9, v26 op_sel_hi:[1,0,1]
	v_pk_fma_f16 v4, v4, v9, v27 op_sel:[0,1,0]
	;; [unrolled: 2-line block ×5, first 2 shown]
	v_pk_fma_f16 v31, v6, v11, v26 op_sel_hi:[1,0,1]
	ds_read2_b64 v[24:27], v126 offset0:168 offset1:188
	v_pk_fma_f16 v4, v6, v11, v4 op_sel:[0,1,0]
	v_pk_fma_f16 v6, v7, v10, v28 op_sel_hi:[1,0,1]
	v_pk_fma_f16 v8, v7, v10, v8 op_sel:[0,1,0]
	v_pk_fma_f16 v10, v7, v11, v29 op_sel_hi:[1,0,1]
	v_pk_fma_f16 v5, v7, v11, v5 op_sel:[0,1,0]
	s_waitcnt lgkmcnt(0)
	v_pk_fma_f16 v7, v24, v12, v9 op_sel_hi:[1,0,1]
	v_pk_fma_f16 v4, v24, v13, v4 op_sel:[0,1,0]
	v_pk_fma_f16 v9, v24, v12, v30 op_sel:[0,1,0]
	v_pk_fma_f16 v11, v24, v13, v31 op_sel_hi:[1,0,1]
	v_pk_fma_f16 v24, v25, v12, v6 op_sel_hi:[1,0,1]
	v_pk_fma_f16 v8, v25, v12, v8 op_sel:[0,1,0]
	v_pk_fma_f16 v10, v25, v13, v10 op_sel_hi:[1,0,1]
	v_pk_fma_f16 v12, v25, v13, v5 op_sel:[0,1,0]
	;; [unrolled: 2-line block ×3, first 2 shown]
	ds_read2_b64 v[4:7], v126 offset0:208 offset1:228
	v_pk_fma_f16 v9, v26, v14, v9 op_sel:[0,1,0]
	v_pk_fma_f16 v11, v26, v15, v11 op_sel_hi:[1,0,1]
	v_pk_fma_f16 v24, v27, v14, v24 op_sel_hi:[1,0,1]
	v_pk_fma_f16 v8, v27, v14, v8 op_sel:[0,1,0]
	v_pk_fma_f16 v10, v27, v15, v10 op_sel_hi:[1,0,1]
	v_pk_fma_f16 v12, v27, v15, v12 op_sel:[0,1,0]
	s_waitcnt lgkmcnt(0)
	v_pk_fma_f16 v13, v4, v16, v13 op_sel_hi:[1,0,1]
	v_pk_fma_f16 v9, v4, v16, v9 op_sel:[0,1,0]
	v_pk_fma_f16 v11, v4, v17, v11 op_sel_hi:[1,0,1]
	v_pk_fma_f16 v4, v4, v17, v25 op_sel:[0,1,0]
	;; [unrolled: 2-line block ×5, first 2 shown]
	v_pk_fma_f16 v17, v6, v19, v11 op_sel_hi:[1,0,1]
	ds_read2_b64 v[8:11], v125 offset0:120 offset1:140
	v_pk_fma_f16 v4, v6, v19, v4 op_sel:[0,1,0]
	v_pk_fma_f16 v6, v7, v18, v14 op_sel_hi:[1,0,1]
	v_pk_fma_f16 v14, v7, v18, v15 op_sel:[0,1,0]
	v_pk_fma_f16 v15, v7, v19, v16 op_sel_hi:[1,0,1]
	v_pk_fma_f16 v5, v7, v19, v5 op_sel:[0,1,0]
	s_waitcnt lgkmcnt(0)
	v_pk_fma_f16 v7, v8, v20, v12 op_sel_hi:[1,0,1]
	v_pk_fma_f16 v12, v8, v20, v13 op_sel:[0,1,0]
	v_pk_fma_f16 v13, v8, v21, v17 op_sel_hi:[1,0,1]
	v_pk_fma_f16 v4, v8, v21, v4 op_sel:[0,1,0]
	;; [unrolled: 2-line block ×6, first 2 shown]
	v_pk_fma_f16 v21, v11, v22, v6 op_sel_hi:[1,0,1]
	ds_read2_b64 v[4:7], v124 offset0:32 offset1:52
	ds_read_b128 v[12:15], v113 offset:192
	v_pk_fma_f16 v22, v11, v22, v8 op_sel:[0,1,0]
	v_pk_fma_f16 v16, v11, v23, v16 op_sel_hi:[1,0,1]
	v_pk_fma_f16 v23, v11, v23, v9 op_sel:[0,1,0]
	ds_read_b128 v[8:11], v113 offset:208
	s_waitcnt lgkmcnt(1)
	v_pk_fma_f16 v17, v4, v12, v17 op_sel_hi:[1,0,1]
	v_pk_fma_f16 v18, v4, v12, v18 op_sel:[0,1,0]
	v_pk_fma_f16 v19, v4, v13, v19 op_sel_hi:[1,0,1]
	v_pk_fma_f16 v4, v4, v13, v20 op_sel:[0,1,0]
	;; [unrolled: 2-line block ×5, first 2 shown]
	v_pk_fma_f16 v23, v6, v15, v19 op_sel_hi:[1,0,1]
	ds_read2_b64 v[16:19], v124 offset0:72 offset1:92
	v_pk_fma_f16 v4, v6, v15, v4 op_sel:[0,1,0]
	v_pk_fma_f16 v6, v7, v14, v20 op_sel_hi:[1,0,1]
	v_pk_fma_f16 v12, v7, v14, v12 op_sel:[0,1,0]
	v_pk_fma_f16 v14, v7, v15, v21 op_sel_hi:[1,0,1]
	v_pk_fma_f16 v5, v7, v15, v5 op_sel:[0,1,0]
	s_waitcnt lgkmcnt(0)
	v_pk_fma_f16 v7, v16, v8, v13 op_sel_hi:[1,0,1]
	v_pk_fma_f16 v13, v16, v8, v22 op_sel:[0,1,0]
	v_pk_fma_f16 v15, v16, v9, v23 op_sel_hi:[1,0,1]
	v_pk_fma_f16 v4, v16, v9, v4 op_sel:[0,1,0]
	;; [unrolled: 2-line block ×6, first 2 shown]
	v_pk_fma_f16 v22, v19, v10, v6 op_sel_hi:[1,0,1]
	ds_read2_b64 v[4:7], v124 offset0:112 offset1:132
	ds_read_b128 v[12:15], v113 offset:224
	v_pk_fma_f16 v23, v19, v10, v8 op_sel:[0,1,0]
	v_pk_fma_f16 v16, v19, v11, v16 op_sel_hi:[1,0,1]
	v_pk_fma_f16 v19, v19, v11, v9 op_sel:[0,1,0]
	ds_read_b128 v[8:11], v113 offset:240
	s_waitcnt lgkmcnt(1)
	v_pk_fma_f16 v17, v4, v12, v17 op_sel_hi:[1,0,1]
	v_pk_fma_f16 v20, v4, v12, v20 op_sel:[0,1,0]
	v_pk_fma_f16 v21, v4, v13, v21 op_sel_hi:[1,0,1]
	v_pk_fma_f16 v4, v4, v13, v18 op_sel:[0,1,0]
	v_pk_fma_f16 v22, v5, v12, v22 op_sel_hi:[1,0,1]
	v_pk_fma_f16 v12, v5, v12, v23 op_sel:[0,1,0]
	v_pk_fma_f16 v23, v5, v13, v16 op_sel_hi:[1,0,1]
	v_pk_fma_f16 v5, v5, v13, v19 op_sel:[0,1,0]
	v_pk_fma_f16 v13, v6, v14, v17 op_sel_hi:[1,0,1]
	ds_read2_b64 v[16:19], v124 offset0:152 offset1:172
	s_waitcnt lgkmcnt(0)
	s_barrier
	s_load_dword s10, s[28:29], 0x4
	v_pk_fma_f16 v20, v6, v14, v20 op_sel:[0,1,0]
	v_pk_fma_f16 v21, v6, v15, v21 op_sel_hi:[1,0,1]
	v_pk_fma_f16 v4, v6, v15, v4 op_sel:[0,1,0]
	v_pk_fma_f16 v6, v7, v14, v22 op_sel_hi:[1,0,1]
	v_pk_fma_f16 v12, v7, v14, v12 op_sel:[0,1,0]
	v_pk_fma_f16 v14, v7, v15, v23 op_sel_hi:[1,0,1]
	v_pk_fma_f16 v5, v7, v15, v5 op_sel:[0,1,0]
	s_waitcnt lgkmcnt(0)
	s_lshl_b32 s10, s10, 5
	v_pk_fma_f16 v7, v16, v8, v13 op_sel_hi:[1,0,1]
	v_pk_fma_f16 v13, v16, v8, v20 op_sel:[0,1,0]
	v_pk_fma_f16 v15, v16, v9, v21 op_sel_hi:[1,0,1]
	v_pk_fma_f16 v4, v16, v9, v4 op_sel:[0,1,0]
	;; [unrolled: 2-line block ×4, first 2 shown]
	s_add_i32 s42, s10, s42
	v_pk_fma_f16 v91, v18, v10, v7 op_sel_hi:[1,0,1]
	v_pk_fma_f16 v85, v18, v10, v13 op_sel:[0,1,0]
	v_pk_fma_f16 v77, v18, v11, v15 op_sel_hi:[1,0,1]
	v_pk_fma_f16 v73, v18, v11, v4 op_sel:[0,1,0]
	;; [unrolled: 2-line block ×3, first 2 shown]
	v_pk_fma_f16 v72, v19, v11, v12 op_sel_hi:[1,0,1]
	s_cmp_ge_i32 s42, s34
	v_pk_fma_f16 v75, v19, v11, v5 op_sel:[0,1,0]
	s_cbranch_scc1 .LBB5_29
; %bb.28:                               ;   in Loop: Header=BB5_11 Depth=1
	v_mov_b32_e32 v8, v0
	v_mov_b32_e32 v9, v1
	;; [unrolled: 1-line block ×4, first 2 shown]
	s_branch .LBB5_11
.LBB5_29:
	v_cmp_lt_i32_e32 vcc, v121, v119
	s_cmp_lg_u64 s[44:45], 0
	s_cselect_b64 s[4:5], -1, 0
	v_cndmask_b32_e32 v4, v93, v121, vcc
	v_cmp_lt_i32_e32 vcc, v122, v119
	v_lshlrev_b32_e32 v7, 2, v4
	ds_bpermute_b32 v5, v7, v81
	v_cndmask_b32_e32 v4, v93, v122, vcc
	v_cmp_lt_i32_e32 vcc, v123, v119
	v_lshlrev_b32_e32 v11, 2, v4
	ds_bpermute_b32 v6, v7, v78
	v_cndmask_b32_e32 v4, v93, v123, vcc
	v_lshlrev_b32_e32 v12, 2, v4
	ds_bpermute_b32 v4, v7, v80
	ds_bpermute_b32 v7, v7, v79
	v_cmp_lt_i32_e32 vcc, v120, v119
	s_cmp_eq_u32 s3, 0
	s_cselect_b64 s[6:7], -1, 0
	s_waitcnt lgkmcnt(1)
	v_pk_add_f32 v[4:5], v[80:81], v[4:5]
	s_waitcnt lgkmcnt(0)
	v_pk_add_f32 v[6:7], v[78:79], v[6:7]
	ds_bpermute_b32 v8, v11, v4
	ds_bpermute_b32 v9, v11, v5
	;; [unrolled: 1-line block ×4, first 2 shown]
	v_cndmask_b32_e32 v13, v93, v120, vcc
	v_lshlrev_b32_e32 v13, 2, v13
	s_waitcnt lgkmcnt(2)
	v_pk_add_f32 v[4:5], v[4:5], v[8:9]
	ds_bpermute_b32 v8, v12, v4
	s_waitcnt lgkmcnt(1)
	v_pk_add_f32 v[6:7], v[6:7], v[10:11]
	ds_bpermute_b32 v9, v12, v5
	ds_bpermute_b32 v10, v12, v6
	;; [unrolled: 1-line block ×3, first 2 shown]
	v_cmp_lt_i32_e32 vcc, v118, v119
	s_and_b64 s[4:5], s[6:7], s[4:5]
	s_waitcnt lgkmcnt(2)
	v_pk_add_f32 v[4:5], v[4:5], v[8:9]
	ds_bpermute_b32 v8, v13, v4
	s_waitcnt lgkmcnt(1)
	v_pk_add_f32 v[6:7], v[6:7], v[10:11]
	ds_bpermute_b32 v9, v13, v5
	ds_bpermute_b32 v10, v13, v6
	ds_bpermute_b32 v11, v13, v7
	v_cndmask_b32_e32 v12, v93, v118, vcc
	v_lshlrev_b32_e32 v13, 2, v12
	s_waitcnt lgkmcnt(2)
	v_pk_add_f32 v[4:5], v[4:5], v[8:9]
	ds_bpermute_b32 v8, v13, v4
	s_waitcnt lgkmcnt(1)
	v_pk_add_f32 v[10:11], v[6:7], v[10:11]
	ds_bpermute_b32 v9, v13, v5
	ds_bpermute_b32 v12, v13, v10
	;; [unrolled: 1-line block ×3, first 2 shown]
	s_and_b64 vcc, exec, s[4:5]
	s_waitcnt lgkmcnt(2)
	v_pk_add_f32 v[6:7], v[4:5], v[8:9]
	s_waitcnt lgkmcnt(0)
	v_pk_add_f32 v[4:5], v[10:11], v[12:13]
	s_cbranch_vccz .LBB5_31
; %bb.30:
	v_add_u32_e32 v8, s35, v71
	v_ashrrev_i32_e32 v9, 31, v8
	v_lshl_add_u64 v[8:9], v[8:9], 2, s[44:45]
	global_load_dwordx4 v[8:11], v[8:9], off
	v_max_f32_e32 v12, v1, v1
	v_max_f32_e32 v14, v0, v0
	;; [unrolled: 1-line block ×4, first 2 shown]
	s_mov_b32 s5, 0x3fb8aa3b
	s_mov_b32 s2, 0xc2ce8ed0
	;; [unrolled: 1-line block ×3, first 2 shown]
	v_mov_b32_e32 v16, 0x7f800000
	s_waitcnt vmcnt(0)
	v_max_f32_e32 v13, v9, v9
	v_max_f32_e32 v18, v8, v8
	;; [unrolled: 1-line block ×6, first 2 shown]
	v_pk_add_f32 v[0:1], v[0:1], v[12:13] neg_lo:[0,1] neg_hi:[0,1]
	v_max_f32_e32 v15, v15, v19
	v_max_f32_e32 v14, v17, v20
	v_mul_f32_e32 v17, 0x3fb8aa3b, v1
	v_pk_add_f32 v[2:3], v[2:3], v[14:15] neg_lo:[0,1] neg_hi:[0,1]
	v_mul_f32_e32 v18, 0x3fb8aa3b, v0
	v_fma_f32 v23, v1, s5, -v17
	v_rndne_f32_e32 v24, v17
	v_mul_f32_e32 v19, 0x3fb8aa3b, v3
	v_fma_f32 v25, v0, s5, -v18
	v_rndne_f32_e32 v26, v18
	v_fmac_f32_e32 v23, 0x32a5705f, v1
	v_sub_f32_e32 v17, v17, v24
	v_mul_f32_e32 v20, 0x3fb8aa3b, v2
	v_fma_f32 v27, v3, s5, -v19
	v_rndne_f32_e32 v28, v19
	v_fmac_f32_e32 v25, 0x32a5705f, v0
	v_sub_f32_e32 v18, v18, v26
	v_add_f32_e32 v17, v17, v23
	v_fma_f32 v29, v2, s5, -v20
	v_rndne_f32_e32 v30, v20
	v_cvt_i32_f32_e32 v24, v24
	v_fmac_f32_e32 v27, 0x32a5705f, v3
	v_sub_f32_e32 v19, v19, v28
	v_add_f32_e32 v18, v18, v25
	v_exp_f32_e32 v17, v17
	v_cvt_i32_f32_e32 v26, v26
	v_fmac_f32_e32 v29, 0x32a5705f, v2
	v_sub_f32_e32 v20, v20, v30
	v_add_f32_e32 v19, v19, v27
	v_exp_f32_e32 v18, v18
	v_cvt_i32_f32_e32 v28, v28
	v_add_f32_e32 v20, v20, v29
	v_exp_f32_e32 v19, v19
	v_cvt_i32_f32_e32 v30, v30
	v_exp_f32_e32 v20, v20
	v_ldexp_f32 v17, v17, v24
	v_cmp_ngt_f32_e32 vcc, s2, v1
	v_ldexp_f32 v18, v18, v26
	v_ldexp_f32 v19, v19, v28
	v_cndmask_b32_e32 v17, 0, v17, vcc
	v_cmp_ngt_f32_e32 vcc, s2, v0
	v_ldexp_f32 v20, v20, v30
	v_pk_add_f32 v[10:11], v[10:11], v[14:15] neg_lo:[0,1] neg_hi:[0,1]
	v_cndmask_b32_e32 v18, 0, v18, vcc
	v_cmp_ngt_f32_e32 vcc, s2, v3
	v_mul_f32_e32 v21, 0x3fb8aa3b, v11
	v_mul_f32_e32 v22, 0x3fb8aa3b, v10
	v_cndmask_b32_e32 v19, 0, v19, vcc
	v_cmp_ngt_f32_e32 vcc, s2, v2
	v_fma_f32 v31, v11, s5, -v21
	v_rndne_f32_e32 v32, v21
	v_cndmask_b32_e32 v20, 0, v20, vcc
	v_cmp_nlt_f32_e32 vcc, s4, v1
	v_fma_f32 v33, v10, s5, -v22
	v_rndne_f32_e32 v34, v22
	v_cndmask_b32_e32 v1, v16, v17, vcc
	v_cmp_nlt_f32_e32 vcc, s4, v0
	v_fmac_f32_e32 v31, 0x32a5705f, v11
	v_sub_f32_e32 v21, v21, v32
	v_cndmask_b32_e32 v0, v16, v18, vcc
	v_cvt_f16_f32_e32 v17, v0
	v_cvt_f16_f32_e32 v18, v1
	v_cmp_nlt_f32_e32 vcc, s4, v3
	v_fmac_f32_e32 v33, 0x32a5705f, v10
	v_sub_f32_e32 v22, v22, v34
	v_add_f32_e32 v21, v21, v31
	v_cndmask_b32_e32 v3, v16, v19, vcc
	v_cmp_nlt_f32_e32 vcc, s4, v2
	v_cvt_i32_f32_e32 v32, v32
	v_exp_f32_e32 v21, v21
	v_cndmask_b32_e32 v2, v16, v20, vcc
	v_pk_mul_f16 v91, v17, v91 op_sel_hi:[0,1]
	v_pk_mul_f16 v76, v17, v76 op_sel_hi:[0,1]
	v_add_f32_e32 v17, v22, v33
	v_cvt_f16_f32_e32 v19, v2
	v_pk_mul_f16 v85, v18, v85 op_sel_hi:[0,1]
	v_pk_mul_f16 v74, v18, v74 op_sel_hi:[0,1]
	v_exp_f32_e32 v17, v17
	v_cvt_i32_f32_e32 v18, v34
	v_cvt_f16_f32_e32 v20, v3
	v_pk_add_f32 v[8:9], v[8:9], v[12:13] neg_lo:[0,1] neg_hi:[0,1]
	v_ldexp_f32 v21, v21, v32
	v_cmp_ngt_f32_e32 vcc, s2, v11
	v_pk_mul_f16 v77, v19, v77 op_sel_hi:[0,1]
	v_pk_mul_f16 v72, v19, v72 op_sel_hi:[0,1]
	v_cndmask_b32_e32 v19, 0, v21, vcc
	v_cmp_nlt_f32_e32 vcc, s4, v11
	v_ldexp_f32 v17, v17, v18
	v_mul_f32_e32 v18, 0x3fb8aa3b, v9
	v_pk_mul_f16 v73, v20, v73 op_sel_hi:[0,1]
	v_pk_mul_f16 v75, v20, v75 op_sel_hi:[0,1]
	v_cndmask_b32_e32 v11, v16, v19, vcc
	v_fma_f32 v19, v9, s5, -v18
	v_rndne_f32_e32 v20, v18
	v_fmac_f32_e32 v19, 0x32a5705f, v9
	v_sub_f32_e32 v18, v18, v20
	v_add_f32_e32 v18, v18, v19
	v_exp_f32_e32 v18, v18
	v_cvt_i32_f32_e32 v19, v20
	v_cmp_ngt_f32_e32 vcc, s2, v10
	s_nop 1
	v_cndmask_b32_e32 v17, 0, v17, vcc
	v_cmp_nlt_f32_e32 vcc, s4, v10
	s_nop 1
	v_cndmask_b32_e32 v10, v16, v17, vcc
	v_ldexp_f32 v17, v18, v19
	v_mul_f32_e32 v18, 0x3fb8aa3b, v8
	v_fma_f32 v19, v8, s5, -v18
	v_rndne_f32_e32 v20, v18
	v_fmac_f32_e32 v19, 0x32a5705f, v8
	v_sub_f32_e32 v18, v18, v20
	v_add_f32_e32 v18, v18, v19
	v_exp_f32_e32 v18, v18
	v_cvt_i32_f32_e32 v19, v20
	v_cmp_ngt_f32_e32 vcc, s2, v9
	v_pk_fma_f32 v[4:5], v[4:5], v[2:3], v[10:11]
	s_nop 0
	v_cndmask_b32_e32 v17, 0, v17, vcc
	v_cmp_nlt_f32_e32 vcc, s4, v9
	s_nop 1
	v_cndmask_b32_e32 v9, v16, v17, vcc
	v_ldexp_f32 v17, v18, v19
	v_cmp_ngt_f32_e32 vcc, s2, v8
	s_nop 1
	v_cndmask_b32_e32 v17, 0, v17, vcc
	v_cmp_nlt_f32_e32 vcc, s4, v8
	s_nop 1
	v_cndmask_b32_e32 v8, v16, v17, vcc
	v_pk_fma_f32 v[6:7], v[6:7], v[0:1], v[8:9]
	v_mov_b64_e32 v[0:1], v[12:13]
	v_mov_b64_e32 v[2:3], v[14:15]
.LBB5_31:
	v_cmp_gt_i32_e32 vcc, s30, v69
	s_and_saveexec_b64 s[4:5], vcc
	s_cbranch_execz .LBB5_48
; %bb.32:
	s_load_dword s2, s[0:1], 0xd4
	v_mov_b32_e32 v10, 1.0
	s_waitcnt lgkmcnt(0)
	s_cmp_lg_u32 s2, 1
	s_cselect_b64 s[0:1], -1, 0
	s_cmp_eq_u32 s2, 1
	s_cselect_b64 s[6:7], -1, 0
	s_and_b64 vcc, exec, s[0:1]
	s_cbranch_vccnz .LBB5_34
; %bb.33:
	v_div_scale_f32 v8, s[4:5], v6, v6, 1.0
	v_rcp_f32_e32 v9, v8
	v_div_scale_f32 v10, vcc, 1.0, v6, 1.0
	v_fma_f32 v11, -v8, v9, 1.0
	v_fmac_f32_e32 v9, v11, v9
	v_mul_f32_e32 v11, v10, v9
	v_fma_f32 v12, -v8, v11, v10
	v_fmac_f32_e32 v11, v12, v9
	v_fma_f32 v8, -v8, v11, v10
	v_div_fmas_f32 v8, v8, v9, v11
	v_div_fixup_f32 v10, v8, v6, 1.0
.LBB5_34:
	s_mul_i32 s33, s33, s30
	v_add_u32_e32 v8, s33, v69
	v_mul_lo_u32 v8, v8, s31
	v_add3_u32 v8, s35, v71, v8
	v_mul_lo_u32 v11, s2, v8
	v_add_u32_e32 v8, s3, v11
	s_and_saveexec_b64 s[4:5], s[26:27]
	s_cbranch_execz .LBB5_36
; %bb.35:
	v_cvt_f32_f16_sdwa v15, v91 dst_sel:DWORD dst_unused:UNUSED_PAD src0_sel:WORD_1
	v_cvt_f32_f16_e32 v14, v91
	v_cvt_f32_f16_sdwa v17, v76 dst_sel:DWORD dst_unused:UNUSED_PAD src0_sel:WORD_1
	v_cvt_f32_f16_e32 v16, v76
	s_movk_i32 s8, 0x50
	v_mad_u64_u32 v[12:13], s[8:9], v8, s8, v[68:69]
	v_mov_b32_e32 v13, 0
	v_lshl_add_u64 v[18:19], v[12:13], 2, s[48:49]
	v_pk_mul_f32 v[12:13], v[10:11], v[14:15] op_sel_hi:[0,1]
	v_pk_mul_f32 v[14:15], v[10:11], v[16:17] op_sel_hi:[0,1]
	global_store_dwordx4 v[18:19], v[12:15], off
.LBB5_36:
	s_or_b64 exec, exec, s[4:5]
	v_cmp_eq_u32_e32 vcc, 0, v70
	s_and_b64 s[4:5], vcc, s[0:1]
	s_and_saveexec_b64 s[0:1], s[4:5]
	s_cbranch_execz .LBB5_38
; %bb.37:
	v_ashrrev_i32_e32 v9, 31, v8
	v_lshl_add_u64 v[8:9], v[8:9], 3, s[50:51]
	v_mov_b32_e32 v12, v0
	v_mov_b32_e32 v13, v6
	global_store_dwordx2 v[8:9], v[12:13], off
.LBB5_38:
	s_or_b64 exec, exec, s[0:1]
	v_cndmask_b32_e64 v0, 0, 1, s[6:7]
	v_cmp_ne_u32_e64 s[0:1], 1, v0
	s_andn2_b64 vcc, exec, s[6:7]
	v_mov_b32_e32 v0, 1.0
	s_cbranch_vccz .LBB5_49
; %bb.39:
	v_add_u32_e32 v10, s2, v11
	v_add_u32_e32 v8, s3, v10
	s_and_saveexec_b64 s[6:7], s[26:27]
	s_cbranch_execnz .LBB5_50
.LBB5_40:
	s_or_b64 exec, exec, s[6:7]
	s_and_saveexec_b64 s[6:7], s[4:5]
	s_cbranch_execnz .LBB5_51
.LBB5_41:
	s_or_b64 exec, exec, s[6:7]
	s_and_b64 vcc, exec, s[0:1]
	v_mov_b32_e32 v6, 1.0
	s_cbranch_vccz .LBB5_52
.LBB5_42:
	v_add_u32_e32 v7, s2, v10
	v_add_u32_e32 v0, s3, v7
	s_and_saveexec_b64 s[6:7], s[26:27]
	s_cbranch_execnz .LBB5_53
.LBB5_43:
	s_or_b64 exec, exec, s[6:7]
	s_and_saveexec_b64 s[6:7], s[4:5]
	s_cbranch_execnz .LBB5_54
.LBB5_44:
	s_or_b64 exec, exec, s[6:7]
	s_and_b64 vcc, exec, s[0:1]
	v_mov_b32_e32 v2, 1.0
	s_cbranch_vccz .LBB5_55
.LBB5_45:
	s_add_i32 s3, s3, s2
	v_add_u32_e32 v0, s3, v7
	s_and_saveexec_b64 s[0:1], s[26:27]
	s_cbranch_execnz .LBB5_56
.LBB5_46:
	s_or_b64 exec, exec, s[0:1]
	s_and_b64 exec, exec, s[4:5]
	s_cbranch_execz .LBB5_48
.LBB5_47:
	v_ashrrev_i32_e32 v1, 31, v0
	v_lshl_add_u64 v[0:1], v[0:1], 3, s[50:51]
	v_mov_b32_e32 v4, v3
	global_store_dwordx2 v[0:1], v[4:5], off
.LBB5_48:
	s_endpgm
.LBB5_49:
	v_div_scale_f32 v0, s[6:7], v7, v7, 1.0
	v_rcp_f32_e32 v6, v0
	v_div_scale_f32 v8, vcc, 1.0, v7, 1.0
	v_fma_f32 v9, -v0, v6, 1.0
	v_fmac_f32_e32 v6, v9, v6
	v_mul_f32_e32 v9, v8, v6
	v_fma_f32 v10, -v0, v9, v8
	v_fmac_f32_e32 v9, v10, v6
	v_fma_f32 v0, -v0, v9, v8
	v_div_fmas_f32 v0, v0, v6, v9
	v_div_fixup_f32 v0, v0, v7, 1.0
	v_add_u32_e32 v10, s2, v11
	v_add_u32_e32 v8, s3, v10
	s_and_saveexec_b64 s[6:7], s[26:27]
	s_cbranch_execz .LBB5_40
.LBB5_50:
	v_cvt_f32_f16_sdwa v15, v85 dst_sel:DWORD dst_unused:UNUSED_PAD src0_sel:WORD_1
	v_cvt_f32_f16_e32 v14, v85
	v_cvt_f32_f16_sdwa v17, v74 dst_sel:DWORD dst_unused:UNUSED_PAD src0_sel:WORD_1
	v_cvt_f32_f16_e32 v16, v74
	s_movk_i32 s8, 0x50
	v_mad_u64_u32 v[12:13], s[8:9], v8, s8, v[68:69]
	v_mov_b32_e32 v13, 0
	v_lshl_add_u64 v[18:19], v[12:13], 2, s[48:49]
	v_pk_mul_f32 v[12:13], v[0:1], v[14:15] op_sel_hi:[0,1]
	v_pk_mul_f32 v[14:15], v[0:1], v[16:17] op_sel_hi:[0,1]
	global_store_dwordx4 v[18:19], v[12:15], off
	s_or_b64 exec, exec, s[6:7]
	s_and_saveexec_b64 s[6:7], s[4:5]
	s_cbranch_execz .LBB5_41
.LBB5_51:
	v_ashrrev_i32_e32 v9, 31, v8
	v_lshl_add_u64 v[8:9], v[8:9], 3, s[50:51]
	v_mov_b32_e32 v6, v1
	global_store_dwordx2 v[8:9], v[6:7], off
	s_or_b64 exec, exec, s[6:7]
	s_and_b64 vcc, exec, s[0:1]
	v_mov_b32_e32 v6, 1.0
	s_cbranch_vccnz .LBB5_42
.LBB5_52:
	v_div_scale_f32 v0, s[6:7], v4, v4, 1.0
	v_rcp_f32_e32 v1, v0
	v_div_scale_f32 v6, vcc, 1.0, v4, 1.0
	v_fma_f32 v7, -v0, v1, 1.0
	v_fmac_f32_e32 v1, v7, v1
	v_mul_f32_e32 v7, v6, v1
	v_fma_f32 v8, -v0, v7, v6
	v_fmac_f32_e32 v7, v8, v1
	v_fma_f32 v0, -v0, v7, v6
	v_div_fmas_f32 v0, v0, v1, v7
	v_div_fixup_f32 v6, v0, v4, 1.0
	v_add_u32_e32 v7, s2, v10
	v_add_u32_e32 v0, s3, v7
	s_and_saveexec_b64 s[6:7], s[26:27]
	s_cbranch_execz .LBB5_43
.LBB5_53:
	v_cvt_f32_f16_sdwa v11, v77 dst_sel:DWORD dst_unused:UNUSED_PAD src0_sel:WORD_1
	v_cvt_f32_f16_e32 v10, v77
	v_cvt_f32_f16_sdwa v13, v72 dst_sel:DWORD dst_unused:UNUSED_PAD src0_sel:WORD_1
	v_cvt_f32_f16_e32 v12, v72
	s_movk_i32 s8, 0x50
	v_mad_u64_u32 v[8:9], s[8:9], v0, s8, v[68:69]
	v_mov_b32_e32 v9, 0
	v_lshl_add_u64 v[14:15], v[8:9], 2, s[48:49]
	v_pk_mul_f32 v[8:9], v[6:7], v[10:11] op_sel_hi:[0,1]
	v_pk_mul_f32 v[10:11], v[6:7], v[12:13] op_sel_hi:[0,1]
	global_store_dwordx4 v[14:15], v[8:11], off
	s_or_b64 exec, exec, s[6:7]
	s_and_saveexec_b64 s[6:7], s[4:5]
	s_cbranch_execz .LBB5_44
.LBB5_54:
	v_ashrrev_i32_e32 v1, 31, v0
	v_lshl_add_u64 v[0:1], v[0:1], 3, s[50:51]
	v_mov_b32_e32 v8, v2
	v_mov_b32_e32 v9, v4
	global_store_dwordx2 v[0:1], v[8:9], off
	s_or_b64 exec, exec, s[6:7]
	s_and_b64 vcc, exec, s[0:1]
	v_mov_b32_e32 v2, 1.0
	s_cbranch_vccnz .LBB5_45
.LBB5_55:
	v_div_scale_f32 v0, s[0:1], v5, v5, 1.0
	v_rcp_f32_e32 v1, v0
	v_div_scale_f32 v2, vcc, 1.0, v5, 1.0
	v_fma_f32 v4, -v0, v1, 1.0
	v_fmac_f32_e32 v1, v4, v1
	v_mul_f32_e32 v4, v2, v1
	v_fma_f32 v6, -v0, v4, v2
	v_fmac_f32_e32 v4, v6, v1
	v_fma_f32 v0, -v0, v4, v2
	v_div_fmas_f32 v0, v0, v1, v4
	v_div_fixup_f32 v2, v0, v5, 1.0
	s_add_i32 s3, s3, s2
	v_add_u32_e32 v0, s3, v7
	s_and_saveexec_b64 s[0:1], s[26:27]
	s_cbranch_execz .LBB5_46
.LBB5_56:
	v_cvt_f32_f16_sdwa v9, v73 dst_sel:DWORD dst_unused:UNUSED_PAD src0_sel:WORD_1
	v_cvt_f32_f16_e32 v8, v73
	v_cvt_f32_f16_sdwa v11, v75 dst_sel:DWORD dst_unused:UNUSED_PAD src0_sel:WORD_1
	v_cvt_f32_f16_e32 v10, v75
	s_movk_i32 s2, 0x50
	v_mad_u64_u32 v[6:7], s[2:3], v0, s2, v[68:69]
	v_mov_b32_e32 v7, 0
	v_lshl_add_u64 v[12:13], v[6:7], 2, s[48:49]
	v_pk_mul_f32 v[6:7], v[2:3], v[8:9] op_sel_hi:[0,1]
	v_pk_mul_f32 v[8:9], v[2:3], v[10:11] op_sel_hi:[0,1]
	global_store_dwordx4 v[12:13], v[6:9], off
	s_or_b64 exec, exec, s[0:1]
	s_and_b64 exec, exec, s[4:5]
	s_cbranch_execnz .LBB5_47
	s_branch .LBB5_48
	.section	.rodata,"a",@progbits
	.p2align	6, 0x0
	.amdhsa_kernel _ZL15flash_attn_tileILi80ELi80ELi4ELi8ELb0EEvPKcS1_S1_S1_S1_PKiPfP15HIP_vector_typeIfLj2EEffffjfiS5_IjLj3EEiiiiiiiiiiiliiliiiiil
		.amdhsa_group_segment_fixed_size 10432
		.amdhsa_private_segment_fixed_size 0
		.amdhsa_kernarg_size 464
		.amdhsa_user_sgpr_count 2
		.amdhsa_user_sgpr_dispatch_ptr 0
		.amdhsa_user_sgpr_queue_ptr 0
		.amdhsa_user_sgpr_kernarg_segment_ptr 1
		.amdhsa_user_sgpr_dispatch_id 0
		.amdhsa_user_sgpr_kernarg_preload_length 0
		.amdhsa_user_sgpr_kernarg_preload_offset 0
		.amdhsa_user_sgpr_private_segment_size 0
		.amdhsa_uses_dynamic_stack 0
		.amdhsa_enable_private_segment 0
		.amdhsa_system_sgpr_workgroup_id_x 1
		.amdhsa_system_sgpr_workgroup_id_y 1
		.amdhsa_system_sgpr_workgroup_id_z 1
		.amdhsa_system_sgpr_workgroup_info 0
		.amdhsa_system_vgpr_workitem_id 1
		.amdhsa_next_free_vgpr 132
		.amdhsa_next_free_sgpr 58
		.amdhsa_accum_offset 132
		.amdhsa_reserve_vcc 1
		.amdhsa_float_round_mode_32 0
		.amdhsa_float_round_mode_16_64 0
		.amdhsa_float_denorm_mode_32 3
		.amdhsa_float_denorm_mode_16_64 3
		.amdhsa_dx10_clamp 1
		.amdhsa_ieee_mode 1
		.amdhsa_fp16_overflow 0
		.amdhsa_tg_split 0
		.amdhsa_exception_fp_ieee_invalid_op 0
		.amdhsa_exception_fp_denorm_src 0
		.amdhsa_exception_fp_ieee_div_zero 0
		.amdhsa_exception_fp_ieee_overflow 0
		.amdhsa_exception_fp_ieee_underflow 0
		.amdhsa_exception_fp_ieee_inexact 0
		.amdhsa_exception_int_div_zero 0
	.end_amdhsa_kernel
	.section	.text._ZL15flash_attn_tileILi80ELi80ELi4ELi8ELb0EEvPKcS1_S1_S1_S1_PKiPfP15HIP_vector_typeIfLj2EEffffjfiS5_IjLj3EEiiiiiiiiiiiliiliiiiil,"axG",@progbits,_ZL15flash_attn_tileILi80ELi80ELi4ELi8ELb0EEvPKcS1_S1_S1_S1_PKiPfP15HIP_vector_typeIfLj2EEffffjfiS5_IjLj3EEiiiiiiiiiiiliiliiiiil,comdat
.Lfunc_end5:
	.size	_ZL15flash_attn_tileILi80ELi80ELi4ELi8ELb0EEvPKcS1_S1_S1_S1_PKiPfP15HIP_vector_typeIfLj2EEffffjfiS5_IjLj3EEiiiiiiiiiiiliiliiiiil, .Lfunc_end5-_ZL15flash_attn_tileILi80ELi80ELi4ELi8ELb0EEvPKcS1_S1_S1_S1_PKiPfP15HIP_vector_typeIfLj2EEffffjfiS5_IjLj3EEiiiiiiiiiiiliiliiiiil
                                        ; -- End function
	.section	.AMDGPU.csdata,"",@progbits
; Kernel info:
; codeLenInByte = 10908
; NumSgprs: 64
; NumVgprs: 132
; NumAgprs: 0
; TotalNumVgprs: 132
; ScratchSize: 0
; MemoryBound: 0
; FloatMode: 240
; IeeeMode: 1
; LDSByteSize: 10432 bytes/workgroup (compile time only)
; SGPRBlocks: 7
; VGPRBlocks: 16
; NumSGPRsForWavesPerEU: 64
; NumVGPRsForWavesPerEU: 132
; AccumOffset: 132
; Occupancy: 3
; WaveLimiterHint : 1
; COMPUTE_PGM_RSRC2:SCRATCH_EN: 0
; COMPUTE_PGM_RSRC2:USER_SGPR: 2
; COMPUTE_PGM_RSRC2:TRAP_HANDLER: 0
; COMPUTE_PGM_RSRC2:TGID_X_EN: 1
; COMPUTE_PGM_RSRC2:TGID_Y_EN: 1
; COMPUTE_PGM_RSRC2:TGID_Z_EN: 1
; COMPUTE_PGM_RSRC2:TIDIG_COMP_CNT: 1
; COMPUTE_PGM_RSRC3_GFX90A:ACCUM_OFFSET: 32
; COMPUTE_PGM_RSRC3_GFX90A:TG_SPLIT: 0
	.section	.text._ZL25flash_attn_mask_to_KV_maxILi4EEvPK7__half2Piiii,"axG",@progbits,_ZL25flash_attn_mask_to_KV_maxILi4EEvPK7__half2Piiii,comdat
	.globl	_ZL25flash_attn_mask_to_KV_maxILi4EEvPK7__half2Piiii ; -- Begin function _ZL25flash_attn_mask_to_KV_maxILi4EEvPK7__half2Piiii
	.p2align	8
	.type	_ZL25flash_attn_mask_to_KV_maxILi4EEvPK7__half2Piiii,@function
_ZL25flash_attn_mask_to_KV_maxILi4EEvPK7__half2Piiii: ; @_ZL25flash_attn_mask_to_KV_maxILi4EEvPK7__half2Piiii
; %bb.0:
	s_load_dwordx4 s[4:7], s[0:1], 0x0
	v_cmp_gt_u32_e32 vcc, 32, v0
	s_and_saveexec_b64 s[8:9], vcc
	s_cbranch_execz .LBB6_2
; %bb.1:
	v_lshlrev_b32_e32 v1, 2, v0
	v_mov_b32_e32 v2, 1
	ds_write_b32 v1, v2
.LBB6_2:
	s_or_b64 exec, exec, s[8:9]
	s_load_dwordx4 s[8:11], s[0:1], 0x10
	s_load_dword s26, s[0:1], 0x20
	v_and_b32_e32 v2, 31, v0
	v_lshlrev_b32_e32 v6, 2, v2
	v_lshrrev_b32_e32 v1, 3, v0
	s_waitcnt lgkmcnt(0)
	s_mul_i32 s1, s2, s9
	s_mul_i32 s0, s3, s10
	s_lshl_b32 s1, s1, 2
	s_add_i32 s0, s0, s1
	s_ashr_i32 s1, s0, 31
	s_lshl_b64 s[0:1], s[0:1], 2
	s_add_u32 s10, s4, s0
	s_addc_u32 s11, s5, s1
	v_cmp_eq_u32_e64 s[0:1], 0, v2
	v_mbcnt_lo_u32_b32 v2, -1, 0
	v_mbcnt_hi_u32_b32 v7, -1, v2
	v_and_b32_e32 v2, 0x60, v7
	s_lshl_b32 s8, s8, 8
	s_mov_b64 s[12:13], 0
	v_mov_b32_e32 v3, 0
	s_movk_i32 s27, 0x204
	s_movk_i32 s28, 0x7fff
	;; [unrolled: 1-line block ×3, first 2 shown]
	v_add_u32_e32 v8, 32, v2
	v_xor_b32_e32 v9, 16, v7
	v_xor_b32_e32 v10, 8, v7
	;; [unrolled: 1-line block ×5, first 2 shown]
	s_barrier
	s_waitcnt lgkmcnt(0)
                                        ; implicit-def: $sgpr4_sgpr5
	s_branch .LBB6_5
.LBB6_3:                                ;   in Loop: Header=BB6_5 Depth=1
	s_or_b64 exec, exec, s[14:15]
	s_waitcnt lgkmcnt(0)
	s_barrier
	ds_read_b32 v16, v6
	s_waitcnt lgkmcnt(0)
	s_barrier
	ds_bpermute_b32 v2, v2, v16
	v_cmp_ne_u32_e32 vcc, 0, v16
	s_waitcnt lgkmcnt(0)
	v_cmp_ne_u32_e64 s[4:5], 0, v2
	s_and_b64 s[4:5], vcc, s[4:5]
	s_nop 0
	v_cndmask_b32_e64 v2, 0, 1, s[4:5]
	ds_bpermute_b32 v2, v4, v2
	s_waitcnt lgkmcnt(0)
	v_cmp_ne_u32_e32 vcc, 0, v2
	s_and_b64 s[4:5], vcc, s[4:5]
	v_cndmask_b32_e64 v2, 0, 1, s[4:5]
	ds_bpermute_b32 v2, v5, v2
	s_waitcnt lgkmcnt(0)
	v_cmp_ne_u32_e32 vcc, 0, v2
	s_and_b64 s[4:5], vcc, s[4:5]
	;; [unrolled: 5-line block ×3, first 2 shown]
	v_cndmask_b32_e64 v2, 0, 1, s[4:5]
	ds_bpermute_b32 v2, v15, v2
	s_xor_b64 s[4:5], s[4:5], -1
	s_waitcnt lgkmcnt(0)
	v_cmp_eq_u32_e32 vcc, 0, v2
	s_or_b64 s[4:5], vcc, s[4:5]
.LBB6_4:                                ;   in Loop: Header=BB6_5 Depth=1
	s_and_b64 s[14:15], exec, s[4:5]
	s_or_b64 s[12:13], s[14:15], s[12:13]
	v_mov_b32_e32 v2, s8
	s_mov_b32 s8, s30
	s_andn2_b64 exec, exec, s[12:13]
	s_cbranch_execz .LBB6_20
.LBB6_5:                                ; =>This Inner Loop Header: Depth=1
	s_add_i32 s30, s8, 0xffffff00
	s_or_b64 s[4:5], s[4:5], exec
	s_cmp_lt_i32 s30, 0
	s_cbranch_scc1 .LBB6_4
; %bb.6:                                ;   in Loop: Header=BB6_5 Depth=1
	s_lshr_b32 s4, s30, 1
	v_add_u32_e32 v2, s4, v0
	v_lshl_add_u64 v[4:5], v[2:3], 2, s[10:11]
	global_load_dword v4, v[4:5], off
	s_mov_b64 s[14:15], 0
	s_waitcnt vmcnt(0)
	v_cmp_class_f16_e64 s[4:5], v4, s27
	v_and_b32_sdwa v4, s28, v4 dst_sel:DWORD dst_unused:UNUSED_PAD src0_sel:DWORD src1_sel:WORD_1
	v_cmp_eq_f16_e32 vcc, s29, v4
	s_and_b64 s[16:17], s[4:5], vcc
	s_and_saveexec_b64 s[4:5], s[16:17]
	s_cbranch_execz .LBB6_18
; %bb.7:                                ;   in Loop: Header=BB6_5 Depth=1
	v_add_u32_e32 v4, s9, v2
	v_ashrrev_i32_e32 v5, 31, v4
	v_lshl_add_u64 v[14:15], v[4:5], 2, s[10:11]
	global_load_dword v2, v[14:15], off
	s_mov_b64 s[16:17], 0
	s_waitcnt vmcnt(0)
	v_cmp_class_f16_e64 s[18:19], v2, s27
	s_and_saveexec_b64 s[14:15], s[18:19]
	s_cbranch_execz .LBB6_17
; %bb.8:                                ;   in Loop: Header=BB6_5 Depth=1
	v_cmp_class_f16_sdwa s[20:21], v2, s27 src0_sel:WORD_1 src1_sel:DWORD
	s_mov_b64 s[18:19], 0
	s_and_saveexec_b64 s[16:17], s[20:21]
	s_cbranch_execz .LBB6_16
; %bb.9:                                ;   in Loop: Header=BB6_5 Depth=1
	v_add_u32_e32 v4, s9, v4
	v_ashrrev_i32_e32 v5, 31, v4
	v_lshl_add_u64 v[14:15], v[4:5], 2, s[10:11]
	global_load_dword v2, v[14:15], off
	s_mov_b64 s[20:21], 0
	s_waitcnt vmcnt(0)
	v_cmp_class_f16_e64 s[22:23], v2, s27
	s_and_saveexec_b64 s[18:19], s[22:23]
	s_cbranch_execz .LBB6_15
; %bb.10:                               ;   in Loop: Header=BB6_5 Depth=1
	v_cmp_class_f16_sdwa s[24:25], v2, s27 src0_sel:WORD_1 src1_sel:DWORD
	s_mov_b64 s[22:23], 0
	s_and_saveexec_b64 s[20:21], s[24:25]
	s_cbranch_execz .LBB6_14
; %bb.11:                               ;   in Loop: Header=BB6_5 Depth=1
	v_add_u32_e32 v4, s9, v4
	v_ashrrev_i32_e32 v5, 31, v4
	v_lshl_add_u64 v[4:5], v[4:5], 2, s[10:11]
	global_load_dword v2, v[4:5], off
	s_waitcnt vmcnt(0)
	v_cmp_class_f16_e64 s[34:35], v2, s27
	s_and_saveexec_b64 s[24:25], s[34:35]
; %bb.12:                               ;   in Loop: Header=BB6_5 Depth=1
	v_cmp_class_f16_sdwa s[22:23], v2, s27 src0_sel:WORD_1 src1_sel:DWORD
	s_and_b64 s[22:23], s[22:23], exec
; %bb.13:                               ;   in Loop: Header=BB6_5 Depth=1
	s_or_b64 exec, exec, s[24:25]
	s_and_b64 s[22:23], s[22:23], exec
.LBB6_14:                               ;   in Loop: Header=BB6_5 Depth=1
	s_or_b64 exec, exec, s[20:21]
	s_and_b64 s[20:21], s[22:23], exec
.LBB6_15:                               ;   in Loop: Header=BB6_5 Depth=1
	s_or_b64 exec, exec, s[18:19]
	s_and_b64 s[18:19], s[20:21], exec
.LBB6_16:                               ;   in Loop: Header=BB6_5 Depth=1
	s_or_b64 exec, exec, s[16:17]
	s_and_b64 s[16:17], s[18:19], exec
.LBB6_17:                               ;   in Loop: Header=BB6_5 Depth=1
	s_or_b64 exec, exec, s[14:15]
	s_and_b64 s[14:15], s[16:17], exec
.LBB6_18:                               ;   in Loop: Header=BB6_5 Depth=1
	s_or_b64 exec, exec, s[4:5]
	v_cmp_lt_i32_e32 vcc, v9, v8
	v_cndmask_b32_e64 v4, 0, 1, s[14:15]
	s_nop 0
	v_cndmask_b32_e32 v2, v7, v9, vcc
	v_lshlrev_b32_e32 v2, 2, v2
	ds_bpermute_b32 v4, v2, v4
	s_waitcnt lgkmcnt(0)
	v_cmp_ne_u32_e32 vcc, 0, v4
	s_and_b64 s[4:5], s[14:15], vcc
	v_cmp_lt_i32_e32 vcc, v10, v8
	v_cndmask_b32_e64 v5, 0, 1, s[4:5]
	s_nop 0
	v_cndmask_b32_e32 v4, v7, v10, vcc
	v_lshlrev_b32_e32 v4, 2, v4
	ds_bpermute_b32 v5, v4, v5
	s_waitcnt lgkmcnt(0)
	v_cmp_ne_u32_e32 vcc, 0, v5
	s_and_b64 s[4:5], vcc, s[4:5]
	v_cmp_lt_i32_e32 vcc, v11, v8
	v_cndmask_b32_e64 v14, 0, 1, s[4:5]
	s_nop 0
	v_cndmask_b32_e32 v5, v7, v11, vcc
	v_lshlrev_b32_e32 v5, 2, v5
	ds_bpermute_b32 v14, v5, v14
	s_waitcnt lgkmcnt(0)
	v_cmp_ne_u32_e32 vcc, 0, v14
	s_and_b64 s[4:5], vcc, s[4:5]
	;; [unrolled: 9-line block ×3, first 2 shown]
	v_cmp_lt_i32_e32 vcc, v13, v8
	v_cndmask_b32_e64 v16, 0, 1, s[4:5]
	s_nop 0
	v_cndmask_b32_e32 v15, v7, v13, vcc
	v_lshlrev_b32_e32 v15, 2, v15
	ds_bpermute_b32 v16, v15, v16
	s_and_saveexec_b64 s[14:15], s[0:1]
	s_cbranch_execz .LBB6_3
; %bb.19:                               ;   in Loop: Header=BB6_5 Depth=1
	s_waitcnt lgkmcnt(0)
	v_cmp_ne_u32_e32 vcc, 0, v16
	s_and_b64 s[4:5], vcc, s[4:5]
	v_cndmask_b32_e64 v16, 0, 1, s[4:5]
	ds_write_b32 v1, v16
	s_branch .LBB6_3
.LBB6_20:
	s_or_b64 exec, exec, s[12:13]
	v_cmp_eq_u32_e32 vcc, 0, v0
	s_and_saveexec_b64 s[0:1], vcc
	s_cbranch_execz .LBB6_22
; %bb.21:
	s_mul_i32 s0, s26, s3
	s_add_i32 s0, s0, s2
	s_ashr_i32 s1, s0, 31
	s_lshl_b64 s[0:1], s[0:1], 2
	s_add_u32 s0, s6, s0
	s_addc_u32 s1, s7, s1
	v_mov_b32_e32 v0, 0
	global_store_dword v0, v2, s[0:1]
.LBB6_22:
	s_endpgm
	.section	.rodata,"a",@progbits
	.p2align	6, 0x0
	.amdhsa_kernel _ZL25flash_attn_mask_to_KV_maxILi4EEvPK7__half2Piiii
		.amdhsa_group_segment_fixed_size 128
		.amdhsa_private_segment_fixed_size 0
		.amdhsa_kernarg_size 288
		.amdhsa_user_sgpr_count 2
		.amdhsa_user_sgpr_dispatch_ptr 0
		.amdhsa_user_sgpr_queue_ptr 0
		.amdhsa_user_sgpr_kernarg_segment_ptr 1
		.amdhsa_user_sgpr_dispatch_id 0
		.amdhsa_user_sgpr_kernarg_preload_length 0
		.amdhsa_user_sgpr_kernarg_preload_offset 0
		.amdhsa_user_sgpr_private_segment_size 0
		.amdhsa_uses_dynamic_stack 0
		.amdhsa_enable_private_segment 0
		.amdhsa_system_sgpr_workgroup_id_x 1
		.amdhsa_system_sgpr_workgroup_id_y 1
		.amdhsa_system_sgpr_workgroup_id_z 0
		.amdhsa_system_sgpr_workgroup_info 0
		.amdhsa_system_vgpr_workitem_id 0
		.amdhsa_next_free_vgpr 17
		.amdhsa_next_free_sgpr 36
		.amdhsa_accum_offset 20
		.amdhsa_reserve_vcc 1
		.amdhsa_float_round_mode_32 0
		.amdhsa_float_round_mode_16_64 0
		.amdhsa_float_denorm_mode_32 3
		.amdhsa_float_denorm_mode_16_64 3
		.amdhsa_dx10_clamp 1
		.amdhsa_ieee_mode 1
		.amdhsa_fp16_overflow 0
		.amdhsa_tg_split 0
		.amdhsa_exception_fp_ieee_invalid_op 0
		.amdhsa_exception_fp_denorm_src 0
		.amdhsa_exception_fp_ieee_div_zero 0
		.amdhsa_exception_fp_ieee_overflow 0
		.amdhsa_exception_fp_ieee_underflow 0
		.amdhsa_exception_fp_ieee_inexact 0
		.amdhsa_exception_int_div_zero 0
	.end_amdhsa_kernel
	.section	.text._ZL25flash_attn_mask_to_KV_maxILi4EEvPK7__half2Piiii,"axG",@progbits,_ZL25flash_attn_mask_to_KV_maxILi4EEvPK7__half2Piiii,comdat
.Lfunc_end6:
	.size	_ZL25flash_attn_mask_to_KV_maxILi4EEvPK7__half2Piiii, .Lfunc_end6-_ZL25flash_attn_mask_to_KV_maxILi4EEvPK7__half2Piiii
                                        ; -- End function
	.section	.AMDGPU.csdata,"",@progbits
; Kernel info:
; codeLenInByte = 1016
; NumSgprs: 42
; NumVgprs: 17
; NumAgprs: 0
; TotalNumVgprs: 17
; ScratchSize: 0
; MemoryBound: 0
; FloatMode: 240
; IeeeMode: 1
; LDSByteSize: 128 bytes/workgroup (compile time only)
; SGPRBlocks: 5
; VGPRBlocks: 2
; NumSGPRsForWavesPerEU: 42
; NumVGPRsForWavesPerEU: 17
; AccumOffset: 20
; Occupancy: 8
; WaveLimiterHint : 0
; COMPUTE_PGM_RSRC2:SCRATCH_EN: 0
; COMPUTE_PGM_RSRC2:USER_SGPR: 2
; COMPUTE_PGM_RSRC2:TRAP_HANDLER: 0
; COMPUTE_PGM_RSRC2:TGID_X_EN: 1
; COMPUTE_PGM_RSRC2:TGID_Y_EN: 1
; COMPUTE_PGM_RSRC2:TGID_Z_EN: 0
; COMPUTE_PGM_RSRC2:TIDIG_COMP_CNT: 0
; COMPUTE_PGM_RSRC3_GFX90A:ACCUM_OFFSET: 4
; COMPUTE_PGM_RSRC3_GFX90A:TG_SPLIT: 0
	.section	.text._ZL33flash_attn_stream_k_fixup_uniformILi80ELi4ELi8EEvPfPK15HIP_vector_typeIfLj2EEiiiiiiS1_IjLj3EES5_S5_,"axG",@progbits,_ZL33flash_attn_stream_k_fixup_uniformILi80ELi4ELi8EEvPfPK15HIP_vector_typeIfLj2EEiiiiiiS1_IjLj3EES5_S5_,comdat
	.globl	_ZL33flash_attn_stream_k_fixup_uniformILi80ELi4ELi8EEvPfPK15HIP_vector_typeIfLj2EEiiiiiiS1_IjLj3EES5_S5_ ; -- Begin function _ZL33flash_attn_stream_k_fixup_uniformILi80ELi4ELi8EEvPfPK15HIP_vector_typeIfLj2EEiiiiiiS1_IjLj3EES5_S5_
	.p2align	8
	.type	_ZL33flash_attn_stream_k_fixup_uniformILi80ELi4ELi8EEvPfPK15HIP_vector_typeIfLj2EEiiiiiiS1_IjLj3EES5_S5_,@function
_ZL33flash_attn_stream_k_fixup_uniformILi80ELi4ELi8EEvPfPK15HIP_vector_typeIfLj2EEiiiiiiS1_IjLj3EES5_S5_: ; @_ZL33flash_attn_stream_k_fixup_uniformILi80ELi4ELi8EEvPfPK15HIP_vector_typeIfLj2EEiiiiiiS1_IjLj3EES5_S5_
; %bb.0:
	s_load_dwordx8 s[8:15], s[0:1], 0x1c
	s_load_dwordx2 s[6:7], s[0:1], 0x10
	s_load_dwordx4 s[16:19], s[0:1], 0x3c
	s_waitcnt lgkmcnt(0)
	s_mul_hi_u32 s5, s11, s2
	s_add_i32 s5, s2, s5
	s_lshr_b32 s5, s5, s12
	s_mul_i32 s11, s5, s13
	s_sub_i32 s12, s2, s11
	s_mul_hi_u32 s11, s12, s14
	s_add_i32 s11, s12, s11
	s_lshr_b32 s11, s11, s15
	s_mul_i32 s13, s11, s16
	s_sub_i32 s12, s12, s13
	;; [unrolled: 5-line block ×3, first 2 shown]
	s_lshl_b32 s12, s16, 2
	s_lshl_b32 s17, s13, 3
	s_add_i32 s12, s12, s3
	s_cmp_lt_i32 s12, s6
	s_cselect_b64 s[12:13], -1, 0
	s_add_i32 s17, s17, s4
	s_cmp_lt_i32 s17, s9
	s_cselect_b64 s[14:15], -1, 0
	s_and_b64 s[12:13], s[12:13], s[14:15]
	s_andn2_b64 vcc, exec, s[12:13]
	s_cbranch_vccnz .LBB7_6
; %bb.1:
	s_load_dwordx4 s[12:15], s[0:1], 0x0
	s_mul_i32 s0, s5, s6
	s_mul_i32 s11, s11, s9
	s_add_i32 s0, s0, s3
	s_mul_i32 s0, s0, s7
	s_add_i32 s5, s17, s11
	;; [unrolled: 2-line block ×3, first 2 shown]
	s_mulk_i32 s1, 0x140
	s_mulk_i32 s0, 0x50
	s_add_i32 s0, s0, s1
	v_add_u32_e32 v4, s0, v0
	s_waitcnt lgkmcnt(0)
	v_mov_b32_e32 v2, s12
	v_mov_b32_e32 v3, s13
	v_ashrrev_i32_e32 v5, 31, v4
	v_lshl_add_u64 v[2:3], v[4:5], 2, v[2:3]
	global_load_dword v7, v[2:3], off
	s_mul_i32 s5, s2, s10
	s_lshl_b32 s11, s3, 3
	s_add_i32 s9, s5, s10
	s_add_i32 s0, s11, s4
	s_lshl_b32 s1, s9, 5
	s_add_i32 s0, s0, s1
	s_sub_i32 s0, s0, 32
	s_ashr_i32 s1, s0, 31
	s_lshl_b64 s[0:1], s[0:1], 3
	s_add_u32 s0, s14, s0
	s_addc_u32 s1, s15, s1
	s_load_dword s12, s[0:1], 0x4
	s_add_i32 s6, s9, -2
	s_cmp_lt_i32 s6, s5
	s_cbranch_scc1 .LBB7_4
; %bb.2:
	s_lshl_b32 s6, s8, 7
	s_ashr_i32 s7, s6, 31
	s_lshl_b64 s[6:7], s[6:7], 2
	s_add_u32 s6, s14, s6
	s_addc_u32 s7, s15, s7
	s_add_i32 s2, s2, 1
	s_load_dword s0, s[0:1], 0x0
	s_mul_i32 s1, s10, s2
	s_lshl_b32 s2, s1, 5
	s_add_i32 s2, s4, s2
	s_mulk_i32 s3, 0x280
	s_mulk_i32 s4, 0x50
	s_lshl_b32 s8, s8, 5
	s_mulk_i32 s1, 0xa00
	s_add_i32 s3, s4, s3
	s_add_i32 s2, s2, s8
	;; [unrolled: 1-line block ×4, first 2 shown]
	v_add_u32_e32 v0, s3, v0
	s_add_i32 s9, s9, -1
	s_sub_i32 s2, s2, 64
	v_add_u32_e32 v0, 0xffffec00, v0
	s_waitcnt lgkmcnt(0)
	v_mov_b32_e32 v6, s12
	v_mov_b32_e32 v5, s0
	s_mov_b32 s4, 0x3fb8aa3b
	s_mov_b32 s8, 0xc2ce8ed0
	;; [unrolled: 1-line block ×3, first 2 shown]
	v_mov_b32_e32 v4, 0x7f800000
	s_mov_b32 s11, 0xc1a00000
.LBB7_3:                                ; =>This Inner Loop Header: Depth=1
	v_ashrrev_i32_e32 v1, 31, v0
	v_lshl_add_u64 v[8:9], v[0:1], 2, s[6:7]
	global_load_dword v1, v[8:9], off
	s_ashr_i32 s3, s2, 31
	s_lshl_b64 s[0:1], s[2:3], 3
	s_add_u32 s0, s14, s0
	s_addc_u32 s1, s15, s1
	s_load_dwordx2 s[12:13], s[0:1], 0x0
	s_waitcnt vmcnt(1)
	v_mov_b32_e32 v8, v7
	v_max_f32_e32 v7, v5, v5
	v_mov_b32_e32 v9, v6
	s_add_i32 s9, s9, -1
	s_waitcnt lgkmcnt(0)
	v_max_f32_e64 v6, s12, s12
	v_max_f32_e32 v6, v7, v6
	v_sub_f32_e32 v10, s12, v6
	v_sub_f32_e32 v7, v5, v6
	v_mul_f32_e32 v11, 0x3fb8aa3b, v10
	v_mov_b32_e32 v5, v6
	v_mul_f32_e32 v6, 0x3fb8aa3b, v7
	v_fma_f32 v14, v10, s4, -v11
	v_rndne_f32_e32 v15, v11
	v_fma_f32 v12, v7, s4, -v6
	v_rndne_f32_e32 v13, v6
	v_fmac_f32_e32 v14, 0x32a5705f, v10
	v_sub_f32_e32 v11, v11, v15
	v_fmac_f32_e32 v12, 0x32a5705f, v7
	v_sub_f32_e32 v6, v6, v13
	v_add_f32_e32 v11, v11, v14
	v_cvt_i32_f32_e32 v15, v15
	v_add_f32_e32 v6, v6, v12
	v_exp_f32_e32 v11, v11
	v_cvt_i32_f32_e32 v13, v13
	v_exp_f32_e32 v6, v6
	v_cmp_ngt_f32_e32 vcc, s8, v10
	v_ldexp_f32 v11, v11, v15
	v_cmp_ngt_f32_e64 s[0:1], s8, v7
	v_ldexp_f32 v6, v6, v13
	v_cndmask_b32_e32 v11, 0, v11, vcc
	v_cmp_nlt_f32_e32 vcc, s10, v10
	v_cndmask_b32_e64 v6, 0, v6, s[0:1]
	v_cmp_nlt_f32_e64 s[0:1], s10, v7
	v_cndmask_b32_e32 v11, v4, v11, vcc
	v_cmp_le_f32_e32 vcc, s11, v10
	v_cndmask_b32_e64 v6, v4, v6, s[0:1]
	v_cmp_le_f32_e64 s[0:1], s11, v7
	v_cndmask_b32_e32 v7, 0, v11, vcc
	s_sub_i32 s2, s2, 32
	v_cndmask_b32_e64 v10, 0, v6, s[0:1]
	v_mul_f32_e32 v6, s13, v7
	v_add_u32_e32 v0, 0xfffff600, v0
	s_cmp_le_i32 s9, s5
	v_fmac_f32_e32 v6, v9, v10
	s_waitcnt vmcnt(0)
	v_mul_f32_e32 v7, v1, v7
	v_fmac_f32_e32 v7, v8, v10
	s_cbranch_scc0 .LBB7_3
	s_branch .LBB7_5
.LBB7_4:
	s_waitcnt lgkmcnt(0)
	v_mov_b32_e32 v6, s12
.LBB7_5:
	s_waitcnt vmcnt(0)
	v_div_scale_f32 v0, s[0:1], v6, v6, v7
	v_rcp_f32_e32 v1, v0
	v_div_scale_f32 v4, vcc, v7, v6, v7
	v_fma_f32 v5, -v0, v1, 1.0
	v_fmac_f32_e32 v1, v5, v1
	v_mul_f32_e32 v5, v4, v1
	v_fma_f32 v8, -v0, v5, v4
	v_fmac_f32_e32 v5, v8, v1
	v_fma_f32 v0, -v0, v5, v4
	v_div_fmas_f32 v0, v0, v1, v5
	v_div_fixup_f32 v0, v0, v6, v7
	global_store_dword v[2:3], v0, off
.LBB7_6:
	s_endpgm
	.section	.rodata,"a",@progbits
	.p2align	6, 0x0
	.amdhsa_kernel _ZL33flash_attn_stream_k_fixup_uniformILi80ELi4ELi8EEvPfPK15HIP_vector_typeIfLj2EEiiiiiiS1_IjLj3EES5_S5_
		.amdhsa_group_segment_fixed_size 0
		.amdhsa_private_segment_fixed_size 0
		.amdhsa_kernarg_size 76
		.amdhsa_user_sgpr_count 2
		.amdhsa_user_sgpr_dispatch_ptr 0
		.amdhsa_user_sgpr_queue_ptr 0
		.amdhsa_user_sgpr_kernarg_segment_ptr 1
		.amdhsa_user_sgpr_dispatch_id 0
		.amdhsa_user_sgpr_kernarg_preload_length 0
		.amdhsa_user_sgpr_kernarg_preload_offset 0
		.amdhsa_user_sgpr_private_segment_size 0
		.amdhsa_uses_dynamic_stack 0
		.amdhsa_enable_private_segment 0
		.amdhsa_system_sgpr_workgroup_id_x 1
		.amdhsa_system_sgpr_workgroup_id_y 1
		.amdhsa_system_sgpr_workgroup_id_z 1
		.amdhsa_system_sgpr_workgroup_info 0
		.amdhsa_system_vgpr_workitem_id 0
		.amdhsa_next_free_vgpr 16
		.amdhsa_next_free_sgpr 20
		.amdhsa_accum_offset 16
		.amdhsa_reserve_vcc 1
		.amdhsa_float_round_mode_32 0
		.amdhsa_float_round_mode_16_64 0
		.amdhsa_float_denorm_mode_32 3
		.amdhsa_float_denorm_mode_16_64 3
		.amdhsa_dx10_clamp 1
		.amdhsa_ieee_mode 1
		.amdhsa_fp16_overflow 0
		.amdhsa_tg_split 0
		.amdhsa_exception_fp_ieee_invalid_op 0
		.amdhsa_exception_fp_denorm_src 0
		.amdhsa_exception_fp_ieee_div_zero 0
		.amdhsa_exception_fp_ieee_overflow 0
		.amdhsa_exception_fp_ieee_underflow 0
		.amdhsa_exception_fp_ieee_inexact 0
		.amdhsa_exception_int_div_zero 0
	.end_amdhsa_kernel
	.section	.text._ZL33flash_attn_stream_k_fixup_uniformILi80ELi4ELi8EEvPfPK15HIP_vector_typeIfLj2EEiiiiiiS1_IjLj3EES5_S5_,"axG",@progbits,_ZL33flash_attn_stream_k_fixup_uniformILi80ELi4ELi8EEvPfPK15HIP_vector_typeIfLj2EEiiiiiiS1_IjLj3EES5_S5_,comdat
.Lfunc_end7:
	.size	_ZL33flash_attn_stream_k_fixup_uniformILi80ELi4ELi8EEvPfPK15HIP_vector_typeIfLj2EEiiiiiiS1_IjLj3EES5_S5_, .Lfunc_end7-_ZL33flash_attn_stream_k_fixup_uniformILi80ELi4ELi8EEvPfPK15HIP_vector_typeIfLj2EEiiiiiiS1_IjLj3EES5_S5_
                                        ; -- End function
	.section	.AMDGPU.csdata,"",@progbits
; Kernel info:
; codeLenInByte = 836
; NumSgprs: 26
; NumVgprs: 16
; NumAgprs: 0
; TotalNumVgprs: 16
; ScratchSize: 0
; MemoryBound: 0
; FloatMode: 240
; IeeeMode: 1
; LDSByteSize: 0 bytes/workgroup (compile time only)
; SGPRBlocks: 3
; VGPRBlocks: 1
; NumSGPRsForWavesPerEU: 26
; NumVGPRsForWavesPerEU: 16
; AccumOffset: 16
; Occupancy: 8
; WaveLimiterHint : 0
; COMPUTE_PGM_RSRC2:SCRATCH_EN: 0
; COMPUTE_PGM_RSRC2:USER_SGPR: 2
; COMPUTE_PGM_RSRC2:TRAP_HANDLER: 0
; COMPUTE_PGM_RSRC2:TGID_X_EN: 1
; COMPUTE_PGM_RSRC2:TGID_Y_EN: 1
; COMPUTE_PGM_RSRC2:TGID_Z_EN: 1
; COMPUTE_PGM_RSRC2:TIDIG_COMP_CNT: 0
; COMPUTE_PGM_RSRC3_GFX90A:ACCUM_OFFSET: 3
; COMPUTE_PGM_RSRC3_GFX90A:TG_SPLIT: 0
	.section	.text._ZL33flash_attn_stream_k_fixup_generalILi80ELi4ELi8EEvPfPK15HIP_vector_typeIfLj2EEiiiiS1_IjLj3EES5_S5_S5_,"axG",@progbits,_ZL33flash_attn_stream_k_fixup_generalILi80ELi4ELi8EEvPfPK15HIP_vector_typeIfLj2EEiiiiS1_IjLj3EES5_S5_S5_,comdat
	.globl	_ZL33flash_attn_stream_k_fixup_generalILi80ELi4ELi8EEvPfPK15HIP_vector_typeIfLj2EEiiiiS1_IjLj3EES5_S5_S5_ ; -- Begin function _ZL33flash_attn_stream_k_fixup_generalILi80ELi4ELi8EEvPfPK15HIP_vector_typeIfLj2EEiiiiS1_IjLj3EES5_S5_S5_
	.p2align	8
	.type	_ZL33flash_attn_stream_k_fixup_generalILi80ELi4ELi8EEvPfPK15HIP_vector_typeIfLj2EEiiiiS1_IjLj3EES5_S5_S5_,@function
_ZL33flash_attn_stream_k_fixup_generalILi80ELi4ELi8EEvPfPK15HIP_vector_typeIfLj2EEiiiiS1_IjLj3EES5_S5_S5_: ; @_ZL33flash_attn_stream_k_fixup_generalILi80ELi4ELi8EEvPfPK15HIP_vector_typeIfLj2EEiiiiS1_IjLj3EES5_S5_S5_
; %bb.0:
	s_load_dwordx4 s[12:15], s[0:1], 0x10
	s_load_dword s22, s[0:1], 0x50
	s_mov_b32 s8, 0
	s_waitcnt lgkmcnt(0)
	s_mul_hi_i32 s9, s15, s2
	s_cmp_lg_u64 s[8:9], 0
	s_mul_i32 s5, s15, s2
	s_cbranch_scc0 .LBB8_21
; %bb.1:
	v_cvt_f32_u32_e32 v1, s22
	v_cvt_f32_ubyte0_e32 v2, 0
	s_sub_u32 s8, 0, s22
	s_subb_u32 s10, 0, 0
	v_fmamk_f32 v1, v2, 0x4f800000, v1
	v_rcp_f32_e32 v1, v1
	s_nop 0
	v_mul_f32_e32 v1, 0x5f7ffffc, v1
	v_mul_f32_e32 v2, 0x2f800000, v1
	v_trunc_f32_e32 v2, v2
	v_fmamk_f32 v1, v2, 0xcf800000, v1
	v_cvt_u32_f32_e32 v2, v2
	v_cvt_u32_f32_e32 v1, v1
	v_readfirstlane_b32 s11, v2
	v_readfirstlane_b32 s16, v1
	s_mul_i32 s17, s8, s11
	s_mul_hi_u32 s19, s8, s16
	s_mul_i32 s18, s10, s16
	s_add_i32 s17, s19, s17
	s_add_i32 s17, s17, s18
	s_mul_i32 s20, s8, s16
	s_mul_hi_u32 s18, s16, s17
	s_mul_i32 s19, s16, s17
	s_mul_hi_u32 s16, s16, s20
	s_add_u32 s16, s16, s19
	s_addc_u32 s18, 0, s18
	s_mul_hi_u32 s21, s11, s20
	s_mul_i32 s20, s11, s20
	s_add_u32 s16, s16, s20
	s_mul_hi_u32 s19, s11, s17
	s_addc_u32 s16, s18, s21
	s_addc_u32 s18, s19, 0
	s_mul_i32 s17, s11, s17
	s_add_u32 s16, s16, s17
	s_addc_u32 s17, 0, s18
	v_add_co_u32_e32 v1, vcc, s16, v1
	s_cmp_lg_u64 vcc, 0
	s_addc_u32 s11, s11, s17
	v_readfirstlane_b32 s17, v1
	s_mul_i32 s16, s8, s11
	s_mul_hi_u32 s18, s8, s17
	s_add_i32 s16, s18, s16
	s_mul_i32 s10, s10, s17
	s_add_i32 s16, s16, s10
	s_mul_i32 s8, s8, s17
	s_mul_hi_u32 s18, s11, s8
	s_mul_i32 s19, s11, s8
	s_mul_i32 s21, s17, s16
	s_mul_hi_u32 s8, s17, s8
	s_mul_hi_u32 s20, s17, s16
	s_add_u32 s8, s8, s21
	s_addc_u32 s17, 0, s20
	s_add_u32 s8, s8, s19
	s_mul_hi_u32 s10, s11, s16
	s_addc_u32 s8, s17, s18
	s_addc_u32 s10, s10, 0
	s_mul_i32 s16, s11, s16
	s_add_u32 s8, s8, s16
	s_addc_u32 s10, 0, s10
	v_add_co_u32_e32 v1, vcc, s8, v1
	s_cmp_lg_u64 vcc, 0
	s_addc_u32 s16, s11, s10
	s_ashr_i32 s10, s9, 31
	s_add_u32 s8, s5, s10
	s_mov_b32 s11, s10
	s_addc_u32 s9, s9, s10
	s_xor_b64 s[8:9], s[8:9], s[10:11]
	v_readfirstlane_b32 s19, v1
	s_mul_i32 s18, s8, s16
	s_mul_hi_u32 s20, s8, s19
	s_mul_hi_u32 s17, s8, s16
	s_add_u32 s18, s20, s18
	s_addc_u32 s17, 0, s17
	s_mul_hi_u32 s21, s9, s19
	s_mul_i32 s19, s9, s19
	s_add_u32 s18, s18, s19
	s_mul_hi_u32 s20, s9, s16
	s_addc_u32 s17, s17, s21
	s_addc_u32 s18, s20, 0
	s_mul_i32 s16, s9, s16
	s_add_u32 s16, s17, s16
	s_addc_u32 s17, 0, s18
	s_add_u32 s18, s16, 1
	s_addc_u32 s19, s17, 0
	s_add_u32 s20, s16, 2
	s_mul_i32 s23, s22, s17
	s_mul_hi_u32 s24, s22, s16
	s_addc_u32 s21, s17, 0
	s_add_i32 s24, s24, s23
	s_mul_i32 s23, s22, s16
	v_mov_b32_e32 v1, s23
	v_sub_co_u32_e32 v1, vcc, s8, v1
	s_cmp_lg_u64 vcc, 0
	s_subb_u32 s8, s9, s24
	v_subrev_co_u32_e32 v2, vcc, s22, v1
	s_cmp_lg_u64 vcc, 0
	s_subb_u32 s9, s8, 0
	v_readfirstlane_b32 s23, v2
	s_cmp_ge_u32 s23, s22
	s_cselect_b32 s23, -1, 0
	s_cmp_eq_u32 s9, 0
	s_cselect_b32 s9, s23, -1
	s_cmp_lg_u32 s9, 0
	s_cselect_b32 s9, s21, s19
	v_readfirstlane_b32 s19, v1
	s_cselect_b32 s18, s20, s18
	s_cmp_ge_u32 s19, s22
	s_cselect_b32 s19, -1, 0
	s_cmp_eq_u32 s8, 0
	s_cselect_b32 s8, s19, -1
	s_cmp_lg_u32 s8, 0
	s_cselect_b32 s9, s9, s17
	s_cselect_b32 s8, s18, s16
	s_xor_b64 s[8:9], s[8:9], s[10:11]
	s_sub_u32 s20, s8, s10
	s_load_dwordx4 s[16:19], s[0:1], 0x44
	s_cbranch_execnz .LBB8_3
.LBB8_2:
	v_cvt_f32_u32_e32 v1, s22
	s_sub_i32 s6, 0, s22
	v_rcp_iflag_f32_e32 v1, v1
	s_nop 0
	v_mul_f32_e32 v1, 0x4f7ffffe, v1
	v_cvt_u32_f32_e32 v1, v1
	s_nop 0
	v_readfirstlane_b32 s7, v1
	s_mul_i32 s6, s6, s7
	s_mul_hi_u32 s6, s7, s6
	s_add_i32 s7, s7, s6
	s_mul_hi_u32 s6, s5, s7
	s_mul_i32 s8, s6, s22
	s_sub_i32 s5, s5, s8
	s_add_i32 s7, s6, 1
	s_sub_i32 s8, s5, s22
	s_cmp_ge_u32 s5, s22
	s_cselect_b32 s6, s7, s6
	s_cselect_b32 s5, s8, s5
	s_add_i32 s7, s6, 1
	s_cmp_ge_u32 s5, s22
	s_cselect_b32 s20, s7, s6
.LBB8_3:
	s_add_i32 s5, s2, 1
	s_mul_hi_i32 s9, s15, s5
	s_mov_b32 s8, 0
	s_cmp_lg_u64 s[8:9], 0
	s_mul_i32 s5, s15, s5
	s_cbranch_scc0 .LBB8_22
; %bb.4:
	v_cvt_f32_u32_e32 v1, s22
	v_cvt_f32_ubyte0_e32 v2, 0
	s_sub_u32 s8, 0, s22
	s_subb_u32 s10, 0, 0
	v_fmamk_f32 v1, v2, 0x4f800000, v1
	v_rcp_f32_e32 v1, v1
	s_nop 0
	v_mul_f32_e32 v1, 0x5f7ffffc, v1
	v_mul_f32_e32 v2, 0x2f800000, v1
	v_trunc_f32_e32 v2, v2
	v_fmamk_f32 v1, v2, 0xcf800000, v1
	v_cvt_u32_f32_e32 v2, v2
	v_cvt_u32_f32_e32 v1, v1
	v_readfirstlane_b32 s11, v2
	s_waitcnt lgkmcnt(0)
	v_readfirstlane_b32 s19, v1
	s_mul_i32 s21, s8, s11
	s_mul_hi_u32 s24, s8, s19
	s_mul_i32 s23, s10, s19
	s_add_i32 s21, s24, s21
	s_add_i32 s21, s21, s23
	s_mul_i32 s25, s8, s19
	s_mul_hi_u32 s23, s19, s21
	s_mul_i32 s24, s19, s21
	s_mul_hi_u32 s19, s19, s25
	s_add_u32 s19, s19, s24
	s_addc_u32 s23, 0, s23
	s_mul_hi_u32 s26, s11, s25
	s_mul_i32 s25, s11, s25
	s_add_u32 s19, s19, s25
	s_mul_hi_u32 s24, s11, s21
	s_addc_u32 s19, s23, s26
	s_addc_u32 s23, s24, 0
	s_mul_i32 s21, s11, s21
	s_add_u32 s19, s19, s21
	s_addc_u32 s21, 0, s23
	v_add_co_u32_e32 v1, vcc, s19, v1
	s_cmp_lg_u64 vcc, 0
	s_addc_u32 s11, s11, s21
	v_readfirstlane_b32 s21, v1
	s_mul_i32 s19, s8, s11
	s_mul_hi_u32 s23, s8, s21
	s_add_i32 s19, s23, s19
	s_mul_i32 s10, s10, s21
	s_add_i32 s19, s19, s10
	s_mul_i32 s8, s8, s21
	s_mul_hi_u32 s23, s11, s8
	s_mul_i32 s24, s11, s8
	s_mul_i32 s26, s21, s19
	s_mul_hi_u32 s8, s21, s8
	s_mul_hi_u32 s25, s21, s19
	s_add_u32 s8, s8, s26
	s_addc_u32 s21, 0, s25
	s_add_u32 s8, s8, s24
	s_mul_hi_u32 s10, s11, s19
	s_addc_u32 s8, s21, s23
	s_addc_u32 s10, s10, 0
	s_mul_i32 s19, s11, s19
	s_add_u32 s8, s8, s19
	s_addc_u32 s10, 0, s10
	v_add_co_u32_e32 v1, vcc, s8, v1
	s_cmp_lg_u64 vcc, 0
	s_addc_u32 s19, s11, s10
	s_ashr_i32 s10, s9, 31
	s_add_u32 s8, s5, s10
	s_mov_b32 s11, s10
	s_addc_u32 s9, s9, s10
	s_xor_b64 s[8:9], s[8:9], s[10:11]
	v_readfirstlane_b32 s23, v1
	s_mul_i32 s21, s8, s19
	s_mul_hi_u32 s24, s8, s23
	s_mul_hi_u32 s11, s8, s19
	s_add_u32 s21, s24, s21
	s_addc_u32 s11, 0, s11
	s_mul_hi_u32 s25, s9, s23
	s_mul_i32 s23, s9, s23
	s_add_u32 s21, s21, s23
	s_mul_hi_u32 s24, s9, s19
	s_addc_u32 s11, s11, s25
	s_addc_u32 s21, s24, 0
	s_mul_i32 s19, s9, s19
	s_add_u32 s11, s11, s19
	s_addc_u32 s19, 0, s21
	s_mul_i32 s19, s22, s19
	s_mul_hi_u32 s24, s22, s11
	s_add_i32 s24, s24, s19
	s_mul_i32 s19, s22, s11
	v_mov_b32_e32 v1, s19
	s_add_u32 s21, s11, 1
	s_add_u32 s23, s11, 2
	v_sub_co_u32_e32 v1, vcc, s8, v1
	s_cmp_lg_u64 vcc, 0
	s_subb_u32 s8, s9, s24
	v_subrev_co_u32_e32 v2, vcc, s22, v1
	s_cmp_lg_u64 vcc, 0
	s_subb_u32 s9, s8, 0
	v_cmp_le_u32_e32 vcc, s22, v2
	s_cmp_eq_u32 s9, 0
	v_mov_b32_e32 v3, s21
	v_cndmask_b32_e64 v2, 0, -1, vcc
	s_cselect_b64 vcc, -1, 0
	v_cndmask_b32_e32 v2, -1, v2, vcc
	v_mov_b32_e32 v4, s23
	v_cmp_ne_u32_e32 vcc, 0, v2
	s_cmp_eq_u32 s8, 0
	s_nop 0
	v_cndmask_b32_e32 v2, v3, v4, vcc
	v_cmp_le_u32_e32 vcc, s22, v1
	v_mov_b32_e32 v3, s11
	s_nop 0
	v_cndmask_b32_e64 v1, 0, -1, vcc
	s_cselect_b64 vcc, -1, 0
	v_cndmask_b32_e32 v1, -1, v1, vcc
	v_cmp_ne_u32_e32 vcc, 0, v1
	s_nop 1
	v_cndmask_b32_e32 v1, v3, v2, vcc
	v_xor_b32_e32 v1, s10, v1
	v_subrev_co_u32_e32 v2, vcc, s10, v1
	s_cbranch_execnz .LBB8_6
.LBB8_5:
	v_cvt_f32_u32_e32 v1, s22
	s_sub_i32 s6, 0, s22
	s_mov_b32 s7, 0
	v_rcp_iflag_f32_e32 v1, v1
	s_nop 0
	v_mul_f32_e32 v1, 0x4f7ffffe, v1
	v_cvt_u32_f32_e32 v1, v1
	s_nop 0
	v_readfirstlane_b32 s8, v1
	s_mul_i32 s6, s6, s8
	s_mul_hi_u32 s6, s8, s6
	s_add_i32 s8, s8, s6
	s_mul_hi_u32 s6, s5, s8
	s_mul_i32 s9, s6, s22
	s_sub_i32 s5, s5, s9
	s_add_i32 s8, s6, 1
	s_sub_i32 s9, s5, s22
	s_cmp_ge_u32 s5, s22
	s_cselect_b32 s6, s8, s6
	s_cselect_b32 s5, s9, s5
	s_add_i32 s8, s6, 1
	s_cmp_ge_u32 s5, s22
	s_cselect_b32 s6, s8, s6
	v_mov_b64_e32 v[2:3], s[6:7]
.LBB8_6:
	s_waitcnt lgkmcnt(0)
	s_mul_hi_u32 s5, s20, s16
	s_add_i32 s5, s5, s20
	v_mul_hi_u32 v1, v2, s16
	s_lshr_b32 s19, s5, s17
	v_add_u32_e32 v1, v1, v2
	s_mul_i32 s5, s19, s18
	v_lshrrev_b32_e32 v1, s17, v1
	s_cmp_eq_u32 s5, s20
	v_cmp_eq_u32_e64 s[6:7], s19, v1
	v_mul_lo_u32 v1, v1, s18
	v_cmp_eq_u32_e32 vcc, s20, v2
	s_cselect_b64 s[10:11], -1, 0
	v_cmp_ne_u32_e64 s[8:9], v1, v2
	s_and_b64 s[6:7], s[6:7], s[8:9]
	s_or_b64 s[8:9], vcc, s[10:11]
	s_or_b64 s[6:7], s[8:9], s[6:7]
	s_and_b64 vcc, exec, s[6:7]
	s_cbranch_vccnz .LBB8_24
; %bb.7:
	s_load_dwordx8 s[24:31], s[0:1], 0x20
	s_load_dword s5, s[0:1], 0x40
	s_waitcnt lgkmcnt(0)
	s_mul_hi_u32 s6, s20, s24
	s_add_i32 s6, s6, s20
	s_lshr_b32 s7, s6, s25
	s_mul_i32 s6, s7, s26
	s_sub_i32 s6, s20, s6
	s_mul_hi_u32 s8, s6, s27
	s_add_i32 s8, s6, s8
	s_lshr_b32 s23, s8, s28
	s_mul_i32 s8, s23, s29
	s_sub_i32 s6, s6, s8
	;; [unrolled: 5-line block ×3, first 2 shown]
	s_mul_hi_u32 s6, s5, s16
	s_add_i32 s5, s5, s6
	s_lshr_b32 s24, s5, s17
	s_lshl_b32 s5, s24, 2
	s_lshl_b32 s25, s8, 3
	s_add_i32 s5, s5, s3
	s_cmp_lt_i32 s5, s12
	s_cselect_b64 s[8:9], -1, 0
	s_add_i32 s25, s25, s4
	s_cmp_lt_i32 s25, s14
	s_cselect_b64 s[10:11], -1, 0
	s_and_b64 s[8:9], s[8:9], s[10:11]
	s_andn2_b64 vcc, exec, s[8:9]
	s_mov_b32 s6, 0
	s_cbranch_vccnz .LBB8_24
; %bb.8:
	s_load_dwordx4 s[8:11], s[0:1], 0x0
	s_lshl_b32 s21, s3, 3
	s_lshl_b32 s0, s22, 7
	s_mov_b32 s1, s6
	s_add_i32 s21, s21, s4
	s_lshl_b64 s[0:1], s[0:1], 2
	s_waitcnt lgkmcnt(0)
	s_add_u32 s4, s10, s0
	s_mul_i32 s0, s7, s12
	s_addc_u32 s5, s11, s1
	s_mul_i32 s23, s23, s14
	s_add_i32 s0, s0, s3
	s_mul_i32 s0, s0, s13
	s_add_i32 s3, s25, s23
	;; [unrolled: 2-line block ×3, first 2 shown]
	s_mulk_i32 s1, 0x140
	s_mulk_i32 s0, 0x50
	s_add_i32 s1, s1, s0
	v_add_u32_e32 v4, s1, v0
	v_mov_b32_e32 v2, s8
	v_mov_b32_e32 v3, s9
	v_ashrrev_i32_e32 v5, 31, v4
	v_lshl_add_u64 v[2:3], v[4:5], 2, v[2:3]
	global_load_dword v5, v[2:3], off
	s_lshl_b32 s0, s2, 5
	s_add_i32 s0, s21, s0
	s_ashr_i32 s1, s0, 31
	s_lshl_b64 s[0:1], s[0:1], 3
	s_add_u32 s0, s10, s0
	s_addc_u32 s1, s11, s1
	s_add_i32 s12, s2, -1
	s_mul_i32 s2, s21, 0x50
	v_add_u32_e32 v4, s2, v0
	v_cvt_f32_u32_e32 v0, s22
	v_cvt_f32_ubyte0_e32 v1, 0
	s_load_dwordx2 s[0:1], s[0:1], 0x0
	v_mov_b32_e32 v8, s20
	v_fmac_f32_e32 v0, 0x4f800000, v1
	v_rcp_f32_e32 v0, v0
	v_cvt_f32_u32_e32 v1, s22
	s_waitcnt lgkmcnt(0)
	v_mov_b32_e32 v6, s1
	v_mov_b32_e32 v7, s0
	v_mul_f32_e32 v0, 0x5f7ffffc, v0
	v_rcp_iflag_f32_e32 v1, v1
	v_mul_f32_e32 v9, 0x2f800000, v0
	v_trunc_f32_e32 v10, v9
	v_fmac_f32_e32 v0, 0xcf800000, v10
	v_cvt_u32_f32_e32 v9, v0
	v_mul_f32_e32 v0, 0x4f7ffffe, v1
	v_cvt_u32_f32_e32 v10, v10
	v_cvt_u32_f32_e32 v11, v0
	s_mov_b32 s8, 0x3fb8aa3b
	s_mov_b32 s9, 0xc2ce8ed0
	s_mov_b32 s13, 0x42b17218
	s_mov_b32 s14, 0xc1a00000
	v_mov_b32_e32 v12, 0x7f800000
	s_mul_hi_i32 s7, s12, s15
	s_cmp_lg_u64 s[6:7], 0
	s_mul_i32 s2, s12, s15
	s_cbranch_scc0 .LBB8_15
.LBB8_9:
	s_sub_u32 s0, 0, s22
	v_readfirstlane_b32 s3, v9
	v_readfirstlane_b32 s24, v10
	s_subb_u32 s1, 0, 0
	s_mul_hi_u32 s23, s0, s3
	s_mul_i32 s25, s0, s24
	s_mul_i32 s20, s1, s3
	s_add_i32 s23, s23, s25
	s_add_i32 s23, s23, s20
	s_mul_i32 s26, s0, s3
	s_mul_hi_u32 s20, s3, s23
	s_mul_i32 s25, s3, s23
	s_mul_hi_u32 s3, s3, s26
	s_add_u32 s3, s3, s25
	s_addc_u32 s20, 0, s20
	s_mul_hi_u32 s27, s24, s26
	s_mul_i32 s26, s24, s26
	s_add_u32 s3, s3, s26
	s_mul_hi_u32 s25, s24, s23
	s_addc_u32 s3, s20, s27
	s_addc_u32 s20, s25, 0
	s_mul_i32 s23, s24, s23
	s_add_u32 s3, s3, s23
	s_addc_u32 s20, 0, s20
	v_add_co_u32_e32 v0, vcc, s3, v9
	s_cmp_lg_u64 vcc, 0
	s_addc_u32 s3, s24, s20
	v_readfirstlane_b32 s23, v0
	s_mul_i32 s20, s0, s3
	s_mul_hi_u32 s24, s0, s23
	s_add_i32 s20, s24, s20
	s_mul_i32 s1, s1, s23
	s_add_i32 s20, s20, s1
	s_mul_i32 s0, s0, s23
	s_mul_hi_u32 s24, s3, s0
	s_mul_i32 s25, s3, s0
	s_mul_i32 s27, s23, s20
	s_mul_hi_u32 s0, s23, s0
	s_mul_hi_u32 s26, s23, s20
	s_add_u32 s0, s0, s27
	s_addc_u32 s23, 0, s26
	s_add_u32 s0, s0, s25
	s_mul_hi_u32 s1, s3, s20
	s_addc_u32 s0, s23, s24
	s_addc_u32 s1, s1, 0
	s_mul_i32 s20, s3, s20
	s_add_u32 s0, s0, s20
	s_addc_u32 s1, 0, s1
	v_add_co_u32_e32 v0, vcc, s0, v0
	s_cmp_lg_u64 vcc, 0
	s_addc_u32 s3, s3, s1
	s_ashr_i32 s0, s7, 31
	s_add_u32 s24, s2, s0
	s_mov_b32 s1, s0
	s_addc_u32 s25, s7, s0
	s_xor_b64 s[24:25], s[24:25], s[0:1]
	v_readfirstlane_b32 s20, v0
	s_mul_i32 s7, s24, s3
	s_mul_hi_u32 s23, s24, s20
	s_mul_hi_u32 s1, s24, s3
	s_add_u32 s7, s23, s7
	s_addc_u32 s1, 0, s1
	s_mul_hi_u32 s26, s25, s20
	s_mul_i32 s20, s25, s20
	s_add_u32 s7, s7, s20
	s_mul_hi_u32 s23, s25, s3
	s_addc_u32 s1, s1, s26
	s_addc_u32 s7, s23, 0
	s_mul_i32 s3, s25, s3
	s_add_u32 s1, s1, s3
	s_addc_u32 s3, 0, s7
	s_mul_i32 s3, s22, s3
	s_mul_hi_u32 s23, s22, s1
	s_add_i32 s23, s23, s3
	s_mul_i32 s3, s22, s1
	v_mov_b32_e32 v0, s3
	s_add_u32 s7, s1, 1
	s_add_u32 s20, s1, 2
	v_sub_co_u32_e32 v0, vcc, s24, v0
	s_cmp_lg_u64 vcc, 0
	s_subb_u32 s3, s25, s23
	v_subrev_co_u32_e32 v1, vcc, s22, v0
	s_cmp_lg_u64 vcc, 0
	s_subb_u32 s23, s3, 0
	v_cmp_le_u32_e32 vcc, s22, v1
	s_cmp_eq_u32 s23, 0
	v_mov_b32_e32 v13, s7
	v_cndmask_b32_e64 v1, 0, -1, vcc
	s_cselect_b64 vcc, -1, 0
	v_cndmask_b32_e32 v1, -1, v1, vcc
	v_mov_b32_e32 v14, s20
	v_cmp_ne_u32_e32 vcc, 0, v1
	s_cmp_eq_u32 s3, 0
	s_nop 0
	v_cndmask_b32_e32 v1, v13, v14, vcc
	v_cmp_le_u32_e32 vcc, s22, v0
	v_mov_b32_e32 v13, s1
	s_nop 0
	v_cndmask_b32_e64 v0, 0, -1, vcc
	s_cselect_b64 vcc, -1, 0
	v_cndmask_b32_e32 v0, -1, v0, vcc
	v_cmp_ne_u32_e32 vcc, 0, v0
	s_nop 1
	v_cndmask_b32_e32 v0, v13, v1, vcc
	v_xor_b32_e32 v0, s0, v0
	v_subrev_co_u32_e32 v0, vcc, s0, v0
	s_cbranch_execnz .LBB8_11
.LBB8_10:
	s_sub_i32 s0, 0, s22
	v_mul_lo_u32 v0, s0, v11
	v_mul_hi_u32 v0, v11, v0
	v_add_u32_e32 v0, v11, v0
	v_mul_hi_u32 v0, s2, v0
	v_mul_lo_u32 v13, v0, s22
	v_sub_u32_e32 v13, s2, v13
	v_add_u32_e32 v1, 1, v0
	v_subrev_u32_e32 v14, s22, v13
	v_cmp_le_u32_e32 vcc, s22, v13
	s_nop 1
	v_cndmask_b32_e32 v13, v13, v14, vcc
	v_cndmask_b32_e32 v0, v0, v1, vcc
	v_add_u32_e32 v1, 1, v0
	v_cmp_le_u32_e32 vcc, s22, v13
	s_nop 1
	v_cndmask_b32_e32 v0, v0, v1, vcc
.LBB8_11:
	v_cmp_ne_u32_e32 vcc, v8, v0
	s_cbranch_vccz .LBB8_14
; %bb.12:
	s_add_i32 s0, s12, s22
	s_lshl_b32 s0, s0, 5
	v_mul_hi_u32 v1, v0, s16
	s_add_i32 s0, s0, s21
	s_mov_b32 s1, s6
	v_add_u32_e32 v1, v1, v0
	s_lshl_b64 s[0:1], s[0:1], 3
	v_lshrrev_b32_e32 v1, s17, v1
	s_add_u32 s2, s10, s0
	v_mul_lo_u32 v13, v1, s18
	s_addc_u32 s3, s11, s1
	v_cmp_eq_u32_e32 vcc, v13, v0
	v_cmp_gt_u32_e64 s[0:1], s19, v1
	s_or_b64 s[0:1], s[0:1], vcc
	s_and_b64 vcc, exec, s[0:1]
	s_cbranch_vccnz .LBB8_16
; %bb.13:
	s_add_i32 s7, s12, -1
	s_mov_b64 s[0:1], 0
	s_branch .LBB8_17
.LBB8_14:
                                        ; implicit-def: $sgpr0_sgpr1
                                        ; implicit-def: $vgpr14
                                        ; implicit-def: $vgpr1
                                        ; implicit-def: $vgpr13
                                        ; implicit-def: $sgpr7
                                        ; implicit-def: $vgpr0
	s_branch .LBB8_18
.LBB8_15:
                                        ; implicit-def: $vgpr0_vgpr1
	s_branch .LBB8_10
.LBB8_16:
	s_mov_b64 s[0:1], -1
	s_mov_b32 s7, s12
	v_mov_b32_e32 v0, v8
.LBB8_17:
	s_mul_i32 s20, s12, 0xa00
	v_add_u32_e32 v14, s20, v4
	v_ashrrev_i32_e32 v15, 31, v14
	v_lshl_add_u64 v[14:15], v[14:15], 2, s[4:5]
	global_load_dword v14, v[14:15], off
	s_load_dwordx2 s[2:3], s[2:3], 0x0
	v_max_f32_e32 v1, v7, v7
	s_waitcnt lgkmcnt(0)
	v_max_f32_e64 v13, s2, s2
	v_max_f32_e32 v1, v1, v13
	v_sub_f32_e32 v13, v7, v1
	v_sub_f32_e32 v15, s2, v1
	v_mul_f32_e32 v16, 0x3fb8aa3b, v13
	v_mul_f32_e32 v17, 0x3fb8aa3b, v15
	v_fma_f32 v18, v13, s8, -v16
	v_rndne_f32_e32 v19, v16
	v_fma_f32 v20, v15, s8, -v17
	v_rndne_f32_e32 v21, v17
	v_fmac_f32_e32 v18, 0x32a5705f, v13
	v_sub_f32_e32 v16, v16, v19
	v_fmac_f32_e32 v20, 0x32a5705f, v15
	v_sub_f32_e32 v17, v17, v21
	v_add_f32_e32 v16, v16, v18
	v_cvt_i32_f32_e32 v19, v19
	v_add_f32_e32 v17, v17, v20
	v_exp_f32_e32 v16, v16
	v_cvt_i32_f32_e32 v21, v21
	v_exp_f32_e32 v17, v17
	v_cmp_ngt_f32_e32 vcc, s9, v13
	v_ldexp_f32 v16, v16, v19
	v_ldexp_f32 v17, v17, v21
	v_cndmask_b32_e32 v16, 0, v16, vcc
	v_cmp_ngt_f32_e32 vcc, s9, v15
	s_nop 1
	v_cndmask_b32_e32 v17, 0, v17, vcc
	v_cmp_nlt_f32_e32 vcc, s13, v13
	s_nop 1
	v_cndmask_b32_e32 v16, v12, v16, vcc
	v_cmp_nlt_f32_e32 vcc, s13, v15
	s_nop 1
	v_cndmask_b32_e32 v17, v12, v17, vcc
	v_cmp_le_f32_e32 vcc, s14, v13
	s_nop 1
	v_cndmask_b32_e32 v16, 0, v16, vcc
	v_cmp_le_f32_e32 vcc, s14, v15
	s_nop 1
	v_cndmask_b32_e32 v15, 0, v17, vcc
	v_mul_f32_e32 v13, s3, v15
	v_fmac_f32_e32 v13, v6, v16
	s_waitcnt vmcnt(0)
	v_mul_f32_e32 v14, v14, v15
	v_fmac_f32_e32 v14, v5, v16
	s_cbranch_execnz .LBB8_19
.LBB8_18:
	s_add_i32 s7, s12, -1
	s_mov_b64 s[0:1], 0
	v_mov_b32_e32 v0, v8
	v_mov_b32_e32 v13, v6
	;; [unrolled: 1-line block ×3, first 2 shown]
	s_waitcnt vmcnt(0)
	v_mov_b32_e32 v14, v5
.LBB8_19:
	s_andn2_b64 vcc, exec, s[0:1]
	s_cbranch_vccz .LBB8_23
; %bb.20:
	v_mov_b32_e32 v8, v0
	s_mov_b32 s12, s7
	v_mov_b32_e32 v6, v13
	v_mov_b32_e32 v7, v1
	s_waitcnt vmcnt(0)
	v_mov_b32_e32 v5, v14
	s_mul_hi_i32 s7, s12, s15
	s_cmp_lg_u64 s[6:7], 0
	s_mul_i32 s2, s12, s15
	s_cbranch_scc1 .LBB8_9
	s_branch .LBB8_15
.LBB8_21:
                                        ; implicit-def: $sgpr20_sgpr21
	s_load_dwordx4 s[16:19], s[0:1], 0x44
	s_branch .LBB8_2
.LBB8_22:
                                        ; implicit-def: $vgpr2_vgpr3
	s_branch .LBB8_5
.LBB8_23:
	v_div_scale_f32 v0, s[0:1], v13, v13, v14
	v_rcp_f32_e32 v1, v0
	v_div_scale_f32 v4, vcc, v14, v13, v14
	s_waitcnt vmcnt(0)
	v_fma_f32 v5, -v0, v1, 1.0
	v_fmac_f32_e32 v1, v5, v1
	v_mul_f32_e32 v5, v4, v1
	v_fma_f32 v6, -v0, v5, v4
	v_fmac_f32_e32 v5, v6, v1
	v_fma_f32 v0, -v0, v5, v4
	v_div_fmas_f32 v0, v0, v1, v5
	v_div_fixup_f32 v0, v0, v13, v14
	global_store_dword v[2:3], v0, off
.LBB8_24:
	s_endpgm
	.section	.rodata,"a",@progbits
	.p2align	6, 0x0
	.amdhsa_kernel _ZL33flash_attn_stream_k_fixup_generalILi80ELi4ELi8EEvPfPK15HIP_vector_typeIfLj2EEiiiiS1_IjLj3EES5_S5_S5_
		.amdhsa_group_segment_fixed_size 0
		.amdhsa_private_segment_fixed_size 0
		.amdhsa_kernarg_size 336
		.amdhsa_user_sgpr_count 2
		.amdhsa_user_sgpr_dispatch_ptr 0
		.amdhsa_user_sgpr_queue_ptr 0
		.amdhsa_user_sgpr_kernarg_segment_ptr 1
		.amdhsa_user_sgpr_dispatch_id 0
		.amdhsa_user_sgpr_kernarg_preload_length 0
		.amdhsa_user_sgpr_kernarg_preload_offset 0
		.amdhsa_user_sgpr_private_segment_size 0
		.amdhsa_uses_dynamic_stack 0
		.amdhsa_enable_private_segment 0
		.amdhsa_system_sgpr_workgroup_id_x 1
		.amdhsa_system_sgpr_workgroup_id_y 1
		.amdhsa_system_sgpr_workgroup_id_z 1
		.amdhsa_system_sgpr_workgroup_info 0
		.amdhsa_system_vgpr_workitem_id 0
		.amdhsa_next_free_vgpr 22
		.amdhsa_next_free_sgpr 32
		.amdhsa_accum_offset 24
		.amdhsa_reserve_vcc 1
		.amdhsa_float_round_mode_32 0
		.amdhsa_float_round_mode_16_64 0
		.amdhsa_float_denorm_mode_32 3
		.amdhsa_float_denorm_mode_16_64 3
		.amdhsa_dx10_clamp 1
		.amdhsa_ieee_mode 1
		.amdhsa_fp16_overflow 0
		.amdhsa_tg_split 0
		.amdhsa_exception_fp_ieee_invalid_op 0
		.amdhsa_exception_fp_denorm_src 0
		.amdhsa_exception_fp_ieee_div_zero 0
		.amdhsa_exception_fp_ieee_overflow 0
		.amdhsa_exception_fp_ieee_underflow 0
		.amdhsa_exception_fp_ieee_inexact 0
		.amdhsa_exception_int_div_zero 0
	.end_amdhsa_kernel
	.section	.text._ZL33flash_attn_stream_k_fixup_generalILi80ELi4ELi8EEvPfPK15HIP_vector_typeIfLj2EEiiiiS1_IjLj3EES5_S5_S5_,"axG",@progbits,_ZL33flash_attn_stream_k_fixup_generalILi80ELi4ELi8EEvPfPK15HIP_vector_typeIfLj2EEiiiiS1_IjLj3EES5_S5_S5_,comdat
.Lfunc_end8:
	.size	_ZL33flash_attn_stream_k_fixup_generalILi80ELi4ELi8EEvPfPK15HIP_vector_typeIfLj2EEiiiiS1_IjLj3EES5_S5_S5_, .Lfunc_end8-_ZL33flash_attn_stream_k_fixup_generalILi80ELi4ELi8EEvPfPK15HIP_vector_typeIfLj2EEiiiiS1_IjLj3EES5_S5_S5_
                                        ; -- End function
	.section	.AMDGPU.csdata,"",@progbits
; Kernel info:
; codeLenInByte = 2868
; NumSgprs: 38
; NumVgprs: 22
; NumAgprs: 0
; TotalNumVgprs: 22
; ScratchSize: 0
; MemoryBound: 0
; FloatMode: 240
; IeeeMode: 1
; LDSByteSize: 0 bytes/workgroup (compile time only)
; SGPRBlocks: 4
; VGPRBlocks: 2
; NumSGPRsForWavesPerEU: 38
; NumVGPRsForWavesPerEU: 22
; AccumOffset: 24
; Occupancy: 8
; WaveLimiterHint : 0
; COMPUTE_PGM_RSRC2:SCRATCH_EN: 0
; COMPUTE_PGM_RSRC2:USER_SGPR: 2
; COMPUTE_PGM_RSRC2:TRAP_HANDLER: 0
; COMPUTE_PGM_RSRC2:TGID_X_EN: 1
; COMPUTE_PGM_RSRC2:TGID_Y_EN: 1
; COMPUTE_PGM_RSRC2:TGID_Z_EN: 1
; COMPUTE_PGM_RSRC2:TIDIG_COMP_CNT: 0
; COMPUTE_PGM_RSRC3_GFX90A:ACCUM_OFFSET: 5
; COMPUTE_PGM_RSRC3_GFX90A:TG_SPLIT: 0
	.section	.text._ZL15flash_attn_tileILi80ELi80ELi2ELi8ELb0EEvPKcS1_S1_S1_S1_PKiPfP15HIP_vector_typeIfLj2EEffffjfiS5_IjLj3EEiiiiiiiiiiiliiliiiiil,"axG",@progbits,_ZL15flash_attn_tileILi80ELi80ELi2ELi8ELb0EEvPKcS1_S1_S1_S1_PKiPfP15HIP_vector_typeIfLj2EEffffjfiS5_IjLj3EEiiiiiiiiiiiliiliiiiil,comdat
	.globl	_ZL15flash_attn_tileILi80ELi80ELi2ELi8ELb0EEvPKcS1_S1_S1_S1_PKiPfP15HIP_vector_typeIfLj2EEffffjfiS5_IjLj3EEiiiiiiiiiiiliiliiiiil ; -- Begin function _ZL15flash_attn_tileILi80ELi80ELi2ELi8ELb0EEvPKcS1_S1_S1_S1_PKiPfP15HIP_vector_typeIfLj2EEffffjfiS5_IjLj3EEiiiiiiiiiiiliiliiiiil
	.p2align	8
	.type	_ZL15flash_attn_tileILi80ELi80ELi2ELi8ELb0EEvPKcS1_S1_S1_S1_PKiPfP15HIP_vector_typeIfLj2EEffffjfiS5_IjLj3EEiiiiiiiiiiiliiliiiiil,@function
_ZL15flash_attn_tileILi80ELi80ELi2ELi8ELb0EEvPKcS1_S1_S1_S1_PKiPfP15HIP_vector_typeIfLj2EEffffjfiS5_IjLj3EEiiiiiiiiiiiliiliiiiil: ; @_ZL15flash_attn_tileILi80ELi80ELi2ELi8ELb0EEvPKcS1_S1_S1_S1_PKiPfP15HIP_vector_typeIfLj2EEffffjfiS5_IjLj3EEiiiiiiiiiiiliiliiiiil
; %bb.0:
	s_load_dwordx4 s[28:31], s[0:1], 0x5c
	s_load_dwordx2 s[34:35], s[0:1], 0x80
	s_load_dwordx16 s[12:27], s[0:1], 0x0
	s_mov_b64 s[36:37], 0
	s_waitcnt lgkmcnt(0)
	s_ashr_i32 s5, s31, 31
	s_lshr_b32 s5, s5, 29
	s_add_i32 s5, s31, s5
	s_ashr_i32 s5, s5, 3
	v_cvt_f32_u32_e32 v1, s5
	s_sub_i32 s6, 0, s5
	v_rcp_iflag_f32_e32 v1, v1
	s_nop 0
	v_mul_f32_e32 v1, 0x4f7ffffe, v1
	v_cvt_u32_f32_e32 v1, v1
	s_nop 0
	v_readfirstlane_b32 s7, v1
	s_mul_i32 s6, s6, s7
	s_mul_hi_u32 s6, s7, s6
	s_add_i32 s7, s7, s6
	s_mul_hi_u32 s6, s4, s7
	s_mul_i32 s7, s6, s5
	s_sub_i32 s7, s4, s7
	s_add_i32 s8, s6, 1
	s_sub_i32 s9, s7, s5
	s_cmp_ge_u32 s7, s5
	s_cselect_b32 s6, s8, s6
	s_cselect_b32 s7, s9, s7
	s_add_i32 s8, s6, 1
	s_cmp_ge_u32 s7, s5
	s_cselect_b32 s33, s8, s6
	s_abs_i32 s5, s35
	v_cvt_f32_u32_e32 v1, s5
	s_sub_i32 s8, 0, s5
	s_abs_i32 s7, s31
	s_lshl_b32 s6, s4, 3
	v_rcp_iflag_f32_e32 v1, v1
	s_xor_b32 s4, s31, s35
	s_ashr_i32 s4, s4, 31
	v_mul_f32_e32 v1, 0x4f7ffffe, v1
	v_cvt_u32_f32_e32 v1, v1
	s_nop 0
	v_readfirstlane_b32 s9, v1
	s_mul_i32 s8, s8, s9
	s_mul_hi_u32 s8, s9, s8
	s_add_i32 s9, s9, s8
	s_mul_hi_u32 s8, s7, s9
	s_mul_i32 s9, s8, s5
	s_sub_i32 s7, s7, s9
	s_add_i32 s10, s8, 1
	s_sub_i32 s9, s7, s5
	s_cmp_ge_u32 s7, s5
	s_cselect_b32 s8, s10, s8
	s_cselect_b32 s7, s9, s7
	s_add_i32 s9, s8, 1
	s_cmp_ge_u32 s7, s5
	s_cselect_b32 s5, s9, s8
	s_xor_b32 s5, s5, s4
	s_sub_i32 s11, s5, s4
	s_abs_i32 s10, s11
	v_cvt_f32_u32_e32 v1, s10
	s_load_dwordx2 s[4:5], s[0:1], 0xb8
	s_mul_i32 s7, s33, s31
	s_cmp_eq_u64 s[18:19], 0
	v_rcp_iflag_f32_e32 v1, v1
	s_nop 0
	v_mul_f32_e32 v1, 0x4f7ffffe, v1
	v_cvt_u32_f32_e32 v1, v1
	s_nop 0
	v_readfirstlane_b32 s38, v1
	s_cbranch_scc1 .LBB9_2
; %bb.1:
	s_waitcnt lgkmcnt(0)
	s_abs_i32 s4, s4
	v_cvt_f32_u32_e32 v1, s4
	s_sub_i32 s37, 0, s4
	s_abs_i32 s36, s33
	s_ashr_i32 s35, s33, 31
	v_rcp_iflag_f32_e32 v1, v1
	s_load_dwordx2 s[8:9], s[0:1], 0xc8
	v_mul_f32_e32 v1, 0x4f7ffffe, v1
	v_cvt_u32_f32_e32 v1, v1
	s_nop 0
	v_readfirstlane_b32 s39, v1
	s_mul_i32 s37, s37, s39
	s_mul_hi_u32 s37, s39, s37
	s_add_i32 s39, s39, s37
	s_mul_hi_u32 s37, s36, s39
	s_mul_i32 s37, s37, s4
	s_sub_i32 s36, s36, s37
	s_sub_i32 s37, s36, s4
	s_cmp_ge_u32 s36, s4
	s_cselect_b32 s36, s37, s36
	s_sub_i32 s37, s36, s4
	s_cmp_ge_u32 s36, s4
	s_cselect_b32 s4, s37, s36
	s_xor_b32 s4, s4, s35
	s_sub_i32 s4, s4, s35
	s_ashr_i32 s35, s4, 31
	s_waitcnt lgkmcnt(0)
	s_mul_i32 s9, s4, s9
	s_mul_hi_u32 s36, s4, s8
	s_add_i32 s9, s36, s9
	s_mul_i32 s35, s35, s8
	s_add_i32 s9, s9, s35
	s_mul_i32 s4, s4, s8
	s_add_u32 s36, s18, s4
	s_addc_u32 s37, s19, s9
.LBB9_2:
	v_bfe_u32 v1, v0, 10, 10
	v_and_b32_e32 v50, 0x3ff, v0
	v_lshrrev_b32_e32 v0, 2, v1
	v_lshl_add_u32 v49, s2, 1, v0
	v_mul_hi_u32 v0, s28, v49
	v_add_u32_e32 v0, v49, v0
	v_lshrrev_b32_e32 v0, s29, v0
	v_lshlrev_b32_e32 v3, 1, v1
	v_mul_lo_u32 v0, v0, s30
	s_sub_i32 s35, s6, s7
	v_cmp_gt_u32_e64 s[18:19], 20, v50
	v_sub_u32_e32 v2, v49, v0
	v_lshlrev_b32_e32 v48, 2, v50
	v_lshlrev_b32_e32 v0, 1, v50
	v_and_b32_e32 v51, 6, v3
	s_and_saveexec_b64 s[6:7], s[18:19]
	s_cbranch_execz .LBB9_4
; %bb.3:
	s_load_dwordx4 s[40:43], s[0:1], 0x70
	v_or_b32_e32 v3, 1, v3
	v_mul_u32_u24_e32 v12, 0x50, v1
	v_add_lshl_u32 v12, v12, v0, 2
	s_waitcnt lgkmcnt(0)
	s_mul_i32 s4, s33, s42
	s_ashr_i32 s9, s4, 31
	s_mul_i32 s8, s35, s41
	s_add_u32 s4, s12, s4
	s_addc_u32 s9, s13, s9
	s_ashr_i32 s12, s8, 31
	s_add_u32 s8, s4, s8
	v_mov_b32_e32 v4, s40
	s_addc_u32 s9, s9, s12
	s_ashr_i32 s4, s40, 31
	v_alignbit_b32 v4, s4, v4, 2
	v_mad_u64_u32 v[4:5], s[12:13], v4, v2, 0
	v_mov_b32_e32 v6, v5
	s_lshr_b32 s4, s4, 2
	v_mad_u64_u32 v[6:7], s[12:13], s4, v2, v[6:7]
	v_mov_b32_e32 v5, v6
	v_lshl_add_u64 v[4:5], v[4:5], 2, s[8:9]
	v_lshlrev_b32_e32 v6, 2, v48
	v_mov_b32_e32 v7, 0
	v_lshl_add_u64 v[8:9], v[4:5], 0, v[6:7]
	s_ashr_i32 s4, s41, 31
	v_mov_b32_e32 v4, s41
	v_alignbit_b32 v10, s4, v4, 2
	v_mad_u64_u32 v[4:5], s[8:9], v10, v51, 0
	v_mov_b32_e32 v6, v5
	s_lshr_b32 s4, s4, 2
	v_mad_u64_u32 v[6:7], s[8:9], s4, v51, v[6:7]
	v_and_b32_e32 v7, 7, v3
	v_mad_u64_u32 v[10:11], s[8:9], v10, v7, 0
	v_mov_b32_e32 v5, v6
	v_mov_b32_e32 v6, v11
	v_mad_u64_u32 v[6:7], s[8:9], s4, v7, v[6:7]
	v_lshl_add_u64 v[4:5], v[4:5], 2, v[8:9]
	v_mov_b32_e32 v11, v6
	global_load_dwordx4 v[4:7], v[4:5], off
	v_lshl_add_u64 v[8:9], v[10:11], 2, v[8:9]
	global_load_dwordx4 v[8:11], v[8:9], off
	s_load_dword s4, s[0:1], 0x40
	v_mul_u32_u24_e32 v3, 40, v3
	v_add_lshl_u32 v3, v3, v0, 2
	s_waitcnt vmcnt(1) lgkmcnt(0)
	v_pk_mul_f32 v[4:5], v[4:5], s[4:5] op_sel_hi:[1,0]
	v_pk_mul_f32 v[6:7], v[6:7], s[4:5] op_sel_hi:[1,0]
	s_waitcnt vmcnt(0)
	v_pk_mul_f32 v[8:9], v[8:9], s[4:5] op_sel_hi:[1,0]
	v_pk_mul_f32 v[10:11], v[10:11], s[4:5] op_sel_hi:[1,0]
	v_cvt_f16_f32_e32 v13, v5
	v_cvt_f16_f32_e32 v4, v4
	;; [unrolled: 1-line block ×8, first 2 shown]
	v_pack_b32_f16 v5, v6, v5
	v_pack_b32_f16 v4, v4, v13
	;; [unrolled: 1-line block ×4, first 2 shown]
	ds_write_b64 v12, v[4:5] offset:3264
	ds_write_b64 v3, v[6:7] offset:3264
.LBB9_4:
	s_or_b64 exec, exec, s[6:7]
	s_cmp_eq_u64 s[22:23], 0
	s_waitcnt lgkmcnt(0)
	s_barrier
	s_cbranch_scc1 .LBB9_6
; %bb.5:
	s_load_dword s4, s[0:1], 0xd0
	s_mov_b32 s7, 0
	s_waitcnt lgkmcnt(0)
	s_mul_i32 s4, s4, s33
	s_add_i32 s6, s4, s2
	s_lshl_b64 s[6:7], s[6:7], 2
	s_add_u32 s6, s22, s6
	s_addc_u32 s7, s23, s7
	s_load_dword s34, s[6:7], 0x0
.LBB9_6:
	s_lshl_b32 s40, s3, 5
	s_waitcnt lgkmcnt(0)
	s_cmp_lt_i32 s40, s34
	v_mbcnt_lo_u32_b32 v3, -1, 0
	s_cbranch_scc1 .LBB9_8
; %bb.7:
	v_mbcnt_hi_u32_b32 v65, -1, v3
	v_and_b32_e32 v4, 0x60, v65
	s_mov_b32 s6, 0xfeffffff
	s_mov_b32 s2, 0
	v_add_u32_e32 v95, 32, v4
	v_xor_b32_e32 v96, 16, v65
	v_xor_b32_e32 v94, 8, v65
	;; [unrolled: 1-line block ×5, first 2 shown]
	s_mov_b32 s7, s6
	s_mov_b64 s[8:9], 0
	s_branch .LBB9_9
.LBB9_8:
	s_mov_b64 s[8:9], -1
                                        ; implicit-def: $sgpr2
                                        ; implicit-def: $sgpr6_sgpr7
                                        ; implicit-def: $vgpr65
                                        ; implicit-def: $vgpr95
                                        ; implicit-def: $vgpr96
                                        ; implicit-def: $vgpr94
                                        ; implicit-def: $vgpr93
                                        ; implicit-def: $vgpr92
                                        ; implicit-def: $vgpr91
.LBB9_9:
	s_andn2_b64 vcc, exec, s[8:9]
	v_mov_b32_e32 v55, s2
	v_mov_b32_e32 v53, s2
	v_mov_b64_e32 v[74:75], s[6:7]
	v_mov_b32_e32 v67, s2
	v_mov_b32_e32 v54, s2
	;; [unrolled: 1-line block ×4, first 2 shown]
	s_cbranch_vccnz .LBB9_29
; %bb.10:
	s_load_dwordx2 s[6:7], s[0:1], 0x8c
	s_load_dwordx4 s[44:47], s[0:1], 0x98
	s_sub_i32 s2, 0, s10
	s_mul_i32 s2, s2, s38
	s_ashr_i32 s13, s5, 1
	s_waitcnt lgkmcnt(0)
	s_ashr_i32 s42, s6, 2
	s_ashr_i32 s5, s33, 31
	s_mul_i32 s6, s33, s45
	s_mul_hi_u32 s22, s33, s44
	s_mul_hi_u32 s2, s38, s2
	s_add_i32 s6, s22, s6
	s_mul_i32 s22, s5, s44
	s_abs_i32 s4, s35
	s_add_i32 s38, s38, s2
	s_ashr_i32 s12, s35, 31
	s_ashr_i32 s11, s11, 31
	;; [unrolled: 1-line block ×3, first 2 shown]
	s_add_i32 s6, s6, s22
	s_mul_i32 s22, s33, s44
	s_mul_hi_u32 s2, s4, s38
	s_add_u32 s14, s14, s22
	s_addc_u32 s6, s15, s6
	s_xor_b32 s11, s12, s11
	s_mul_i32 s12, s2, s10
	s_sub_i32 s4, s4, s12
	s_add_i32 s12, s2, 1
	s_sub_i32 s15, s4, s10
	s_cmp_ge_u32 s4, s10
	s_cselect_b32 s2, s12, s2
	s_cselect_b32 s4, s15, s4
	s_add_i32 s12, s2, 1
	s_cmp_ge_u32 s4, s10
	s_cselect_b32 s2, s12, s2
	s_load_dwordx2 s[8:9], s[0:1], 0xa8
	s_xor_b32 s2, s2, s11
	s_sub_i32 s2, s2, s11
	s_mul_i32 s4, s2, s7
	s_ashr_i32 s7, s4, 31
	s_add_u32 s43, s14, s4
	s_addc_u32 s44, s6, s7
	s_waitcnt lgkmcnt(0)
	s_mul_i32 s4, s33, s9
	s_mul_hi_u32 s6, s33, s8
	s_add_i32 s4, s6, s4
	s_mul_i32 s5, s5, s8
	s_add_i32 s4, s4, s5
	s_mul_i32 s5, s33, s8
	s_add_u32 s5, s16, s5
	s_mul_i32 s2, s2, s47
	s_addc_u32 s4, s17, s4
	s_ashr_i32 s6, s2, 31
	s_add_u32 s45, s5, s2
	s_addc_u32 s46, s4, s6
	v_mad_u64_u32 v[64:65], s[6:7], v2, s13, v[50:51]
	v_mov_b32_e32 v2, 0x16c0
	v_lshl_add_u32 v85, v1, 7, v2
	v_lshrrev_b32_e32 v2, 1, v50
	v_lshl_add_u32 v4, v1, 5, v50
	v_lshrrev_b32_e32 v5, 2, v50
	s_movk_i32 s2, 0x60
	v_and_b32_e32 v58, 12, v48
	v_lshl_add_u32 v2, v1, 4, v2
	v_cmp_gt_u32_e32 vcc, 32, v4
	v_lshl_add_u32 v5, v1, 3, v5
	v_mad_u32_u24 v83, v4, s2, 64
	v_mul_lo_u32 v56, s42, v4
	v_lshlrev_b32_e32 v4, 2, v58
	v_lshl_add_u32 v86, v0, 1, v85
	v_lshlrev_b32_e32 v87, 2, v0
	v_and_b32_e32 v66, 4, v48
	v_mul_u32_u24_e32 v0, 0xa0, v2
	v_mad_u32_u24 v84, v5, s2, v4
	v_lshrrev_b32_e32 v4, 3, v50
	v_lshl_or_b32 v0, v66, 2, v0
	v_and_b32_e32 v70, 28, v48
	v_mul_u32_u24_e32 v82, 0x140, v1
	v_lshl_add_u32 v1, v1, 2, v4
	s_movk_i32 s2, 0xa0
	v_add_u32_e32 v88, 0x80, v0
	v_lshlrev_b32_e32 v0, 2, v70
	v_mov_b32_e32 v61, 0
	v_mul_lo_u32 v62, s42, v5
	v_mul_lo_u32 v68, s41, v2
	v_mad_u32_u24 v89, v1, s2, v0
	v_mul_lo_u32 v72, s41, v1
	s_add_u32 s22, s0, 0xd0
	v_mov_b32_e32 v0, 0xfeffffff
	v_cmp_gt_u32_e64 s[4:5], 32, v5
	v_mul_u32_u24_e32 v71, 0x60, v50
	v_ashrrev_i32_e32 v57, 31, v56
	v_ashrrev_i32_e32 v63, 31, v62
	v_cmp_gt_u32_e64 s[6:7], 16, v2
	v_cmp_gt_u32_e64 s[8:9], 16, v1
	v_ashrrev_i32_e32 v69, 31, v68
	v_ashrrev_i32_e32 v73, 31, v72
	s_addc_u32 s23, s1, 0
	v_mbcnt_hi_u32_b32 v65, -1, v3
	s_mov_b32 s2, 0x40051340
	s_mov_b32 s47, 0x3fb8aa3b
	;; [unrolled: 1-line block ×4, first 2 shown]
	v_mov_b32_e32 v90, 0x7f800000
	v_mov_b32_e32 v59, 0
	;; [unrolled: 1-line block ×8, first 2 shown]
.LBB9_11:                               ; =>This Inner Loop Header: Depth=1
	s_mul_hi_i32 s11, s40, s42
	s_mul_i32 s10, s40, s42
	s_lshl_b64 s[10:11], s[10:11], 2
	s_add_u32 s10, s43, s10
	s_addc_u32 s11, s44, s11
	v_lshl_add_u64 v[6:7], v[56:57], 2, s[10:11]
	s_and_saveexec_b64 s[12:13], vcc
	s_cbranch_execz .LBB9_13
; %bb.12:                               ;   in Loop: Header=BB9_11 Depth=1
	global_load_dwordx4 v[2:5], v[6:7], off offset:64
	s_waitcnt vmcnt(0)
	ds_write_b128 v83, v[2:5]
.LBB9_13:                               ;   in Loop: Header=BB9_11 Depth=1
	s_or_b64 exec, exec, s[12:13]
	v_lshl_add_u64 v[4:5], v[62:63], 2, s[10:11]
	v_lshlrev_b32_e32 v60, 2, v58
	s_and_saveexec_b64 s[10:11], s[4:5]
	s_cbranch_execz .LBB9_15
; %bb.14:                               ;   in Loop: Header=BB9_11 Depth=1
	v_lshl_add_u64 v[2:3], v[4:5], 0, v[60:61]
	global_load_dwordx4 v[8:11], v[2:3], off
	s_waitcnt vmcnt(0)
	ds_write_b128 v84, v[8:11]
.LBB9_15:                               ;   in Loop: Header=BB9_11 Depth=1
	s_or_b64 exec, exec, s[10:11]
	s_waitcnt lgkmcnt(0)
	s_barrier
	ds_read_b128 v[8:11], v71
	ds_read_b128 v[12:15], v82 offset:3264
	ds_read_b128 v[16:19], v82 offset:3424
	v_mov_b32_e32 v2, 0
	s_waitcnt lgkmcnt(1)
	;;#ASMSTART
	v_dot2_f32_f16 v2, v8, v12, v2
	;;#ASMEND
	s_nop 0
	;;#ASMSTART
	v_dot2_f32_f16 v2, v9, v13, v2
	;;#ASMEND
	v_mov_b32_e32 v3, 0
	;;#ASMSTART
	v_dot2_f32_f16 v2, v10, v14, v2
	;;#ASMEND
	s_nop 0
	;;#ASMSTART
	v_dot2_f32_f16 v2, v11, v15, v2
	;;#ASMEND
	s_waitcnt lgkmcnt(0)
	;;#ASMSTART
	v_dot2_f32_f16 v3, v8, v16, v3
	;;#ASMEND
	s_nop 0
	;;#ASMSTART
	v_dot2_f32_f16 v3, v9, v17, v3
	;;#ASMEND
	s_nop 0
	;;#ASMSTART
	v_dot2_f32_f16 v3, v10, v18, v3
	;;#ASMEND
	s_nop 0
	;;#ASMSTART
	v_dot2_f32_f16 v3, v11, v19, v3
	;;#ASMEND
	ds_read_b128 v[8:11], v71 offset:16
	ds_read_b128 v[12:15], v82 offset:3280
	ds_read_b128 v[16:19], v82 offset:3440
	s_waitcnt lgkmcnt(1)
	;;#ASMSTART
	v_dot2_f32_f16 v2, v8, v12, v2
	;;#ASMEND
	s_nop 0
	;;#ASMSTART
	v_dot2_f32_f16 v2, v9, v13, v2
	;;#ASMEND
	s_nop 0
	;;#ASMSTART
	v_dot2_f32_f16 v2, v10, v14, v2
	;;#ASMEND
	s_nop 0
	;;#ASMSTART
	v_dot2_f32_f16 v2, v11, v15, v2
	;;#ASMEND
	s_waitcnt lgkmcnt(0)
	;;#ASMSTART
	v_dot2_f32_f16 v3, v8, v16, v3
	;;#ASMEND
	s_nop 0
	;;#ASMSTART
	v_dot2_f32_f16 v3, v9, v17, v3
	;;#ASMEND
	s_nop 0
	;;#ASMSTART
	v_dot2_f32_f16 v3, v10, v18, v3
	;;#ASMEND
	s_nop 0
	;;#ASMSTART
	v_dot2_f32_f16 v3, v11, v19, v3
	;;#ASMEND
	ds_read_b128 v[8:11], v71 offset:32
	ds_read_b128 v[12:15], v82 offset:3296
	ds_read_b128 v[16:19], v82 offset:3456
	s_waitcnt lgkmcnt(1)
	;;#ASMSTART
	v_dot2_f32_f16 v2, v8, v12, v2
	;;#ASMEND
	s_nop 0
	;;#ASMSTART
	v_dot2_f32_f16 v2, v9, v13, v2
	;;#ASMEND
	s_nop 0
	;; [unrolled: 35-line block ×4, first 2 shown]
	;;#ASMSTART
	v_dot2_f32_f16 v2, v10, v14, v2
	;;#ASMEND
	s_nop 0
	;;#ASMSTART
	v_dot2_f32_f16 v2, v11, v15, v2
	;;#ASMEND
	s_waitcnt lgkmcnt(0)
	;;#ASMSTART
	v_dot2_f32_f16 v3, v8, v16, v3
	;;#ASMEND
	s_nop 0
	;;#ASMSTART
	v_dot2_f32_f16 v3, v9, v17, v3
	;;#ASMEND
	s_nop 0
	;; [unrolled: 4-line block ×3, first 2 shown]
	;;#ASMSTART
	v_dot2_f32_f16 v3, v11, v19, v3
	;;#ASMEND
	s_barrier
	s_and_saveexec_b64 s[10:11], vcc
	s_cbranch_execz .LBB9_17
; %bb.16:                               ;   in Loop: Header=BB9_11 Depth=1
	global_load_dwordx4 v[6:9], v[6:7], off offset:144
	s_waitcnt vmcnt(0)
	ds_write_b128 v83, v[6:9]
.LBB9_17:                               ;   in Loop: Header=BB9_11 Depth=1
	s_or_b64 exec, exec, s[10:11]
	s_and_saveexec_b64 s[10:11], s[4:5]
	s_cbranch_execz .LBB9_19
; %bb.18:                               ;   in Loop: Header=BB9_11 Depth=1
	v_lshl_add_u64 v[4:5], v[4:5], 0, v[60:61]
	global_load_dwordx4 v[4:7], v[4:5], off offset:80
	s_waitcnt vmcnt(0)
	ds_write_b128 v84, v[4:7]
.LBB9_19:                               ;   in Loop: Header=BB9_11 Depth=1
	s_or_b64 exec, exec, s[10:11]
	s_waitcnt lgkmcnt(0)
	s_barrier
	ds_read_b128 v[4:7], v71
	ds_read_b128 v[8:11], v82 offset:3344
	ds_read_b128 v[12:15], v82 offset:3504
	s_waitcnt lgkmcnt(1)
	;;#ASMSTART
	v_dot2_f32_f16 v2, v4, v8, v2
	;;#ASMEND
	s_nop 0
	;;#ASMSTART
	v_dot2_f32_f16 v2, v5, v9, v2
	;;#ASMEND
	v_xor_b32_e32 v96, 16, v65
	;;#ASMSTART
	v_dot2_f32_f16 v2, v6, v10, v2
	;;#ASMEND
	v_xor_b32_e32 v94, 8, v65
	;;#ASMSTART
	v_dot2_f32_f16 v2, v7, v11, v2
	;;#ASMEND
	s_waitcnt lgkmcnt(0)
	;;#ASMSTART
	v_dot2_f32_f16 v3, v4, v12, v3
	;;#ASMEND
	v_xor_b32_e32 v93, 4, v65
	;;#ASMSTART
	v_dot2_f32_f16 v3, v5, v13, v3
	;;#ASMEND
	v_xor_b32_e32 v92, 2, v65
	;;#ASMSTART
	v_dot2_f32_f16 v3, v6, v14, v3
	;;#ASMEND
	v_xor_b32_e32 v91, 1, v65
	;;#ASMSTART
	v_dot2_f32_f16 v3, v7, v15, v3
	;;#ASMEND
	ds_read_b128 v[4:7], v71 offset:16
	ds_read_b128 v[8:11], v82 offset:3360
	;; [unrolled: 1-line block ×3, first 2 shown]
	s_waitcnt lgkmcnt(1)
	;;#ASMSTART
	v_dot2_f32_f16 v2, v4, v8, v2
	;;#ASMEND
	s_nop 0
	;;#ASMSTART
	v_dot2_f32_f16 v2, v5, v9, v2
	;;#ASMEND
	v_lshlrev_b32_e32 v60, 2, v66
	;;#ASMSTART
	v_dot2_f32_f16 v2, v6, v10, v2
	;;#ASMEND
	s_nop 0
	;;#ASMSTART
	v_dot2_f32_f16 v2, v7, v11, v2
	;;#ASMEND
	s_waitcnt lgkmcnt(0)
	;;#ASMSTART
	v_dot2_f32_f16 v3, v4, v12, v3
	;;#ASMEND
	s_nop 0
	;;#ASMSTART
	v_dot2_f32_f16 v3, v5, v13, v3
	;;#ASMEND
	s_nop 0
	;;#ASMSTART
	v_dot2_f32_f16 v3, v6, v14, v3
	;;#ASMEND
	s_nop 0
	;;#ASMSTART
	v_dot2_f32_f16 v3, v7, v15, v3
	;;#ASMEND
	ds_read_b128 v[4:7], v71 offset:32
	ds_read_b128 v[8:11], v82 offset:3376
	ds_read_b128 v[12:15], v82 offset:3536
	s_waitcnt lgkmcnt(1)
	;;#ASMSTART
	v_dot2_f32_f16 v2, v4, v8, v2
	;;#ASMEND
	s_nop 0
	;;#ASMSTART
	v_dot2_f32_f16 v2, v5, v9, v2
	;;#ASMEND
	s_nop 0
	;;#ASMSTART
	v_dot2_f32_f16 v2, v6, v10, v2
	;;#ASMEND
	s_nop 0
	;;#ASMSTART
	v_dot2_f32_f16 v2, v7, v11, v2
	;;#ASMEND
	s_waitcnt lgkmcnt(0)
	;;#ASMSTART
	v_dot2_f32_f16 v3, v4, v12, v3
	;;#ASMEND
	s_nop 0
	;;#ASMSTART
	v_dot2_f32_f16 v3, v5, v13, v3
	;;#ASMEND
	s_nop 0
	;;#ASMSTART
	v_dot2_f32_f16 v3, v6, v14, v3
	;;#ASMEND
	s_nop 0
	;;#ASMSTART
	v_dot2_f32_f16 v3, v7, v15, v3
	;;#ASMEND
	ds_read_b128 v[4:7], v71 offset:48
	ds_read_b128 v[8:11], v82 offset:3392
	ds_read_b128 v[12:15], v82 offset:3552
	s_waitcnt lgkmcnt(1)
	;;#ASMSTART
	v_dot2_f32_f16 v2, v4, v8, v2
	;;#ASMEND
	s_nop 0
	;;#ASMSTART
	v_dot2_f32_f16 v2, v5, v9, v2
	;;#ASMEND
	s_nop 0
	;; [unrolled: 35-line block ×3, first 2 shown]
	;;#ASMSTART
	v_dot2_f32_f16 v2, v6, v10, v2
	;;#ASMEND
	s_nop 0
	;;#ASMSTART
	v_dot2_f32_f16 v2, v7, v11, v2
	;;#ASMEND
	s_waitcnt lgkmcnt(0)
	;;#ASMSTART
	v_dot2_f32_f16 v3, v4, v12, v3
	;;#ASMEND
	v_add_u32_e32 v4, s40, v64
	;;#ASMSTART
	v_dot2_f32_f16 v3, v5, v13, v3
	;;#ASMEND
	v_ashrrev_i32_e32 v5, 31, v4
	;;#ASMSTART
	v_dot2_f32_f16 v3, v6, v14, v3
	;;#ASMEND
	v_lshl_add_u64 v[4:5], v[4:5], 1, s[36:37]
	;;#ASMSTART
	v_dot2_f32_f16 v3, v7, v15, v3
	;;#ASMEND
	flat_load_ushort v4, v[4:5]
	v_and_b32_e32 v5, 0x60, v65
	v_add_u32_e32 v95, 32, v5
	v_cmp_lt_i32_e64 s[10:11], v96, v95
	v_max_f32_e32 v6, v1, v1
	v_max_f32_e32 v7, v0, v0
	v_cndmask_b32_e64 v5, v65, v96, s[10:11]
	v_lshlrev_b32_e32 v8, 2, v5
	v_cmp_lt_i32_e64 s[10:11], v94, v95
	s_waitcnt lgkmcnt(0)
	s_barrier
	s_waitcnt vmcnt(0)
	v_cvt_f32_f16_e32 v4, v4
	v_pk_add_f32 v[2:3], v[2:3], v[4:5] op_sel_hi:[1,0]
	s_nop 0
	v_pk_add_f32 v[4:5], v[2:3], s[2:3] op_sel_hi:[1,0]
	s_nop 0
	v_max_f32_e32 v5, v6, v5
	v_max_f32_e32 v4, v7, v4
	ds_bpermute_b32 v6, v8, v5
	ds_bpermute_b32 v7, v8, v4
	v_cndmask_b32_e64 v8, v65, v94, s[10:11]
	v_lshlrev_b32_e32 v8, 2, v8
	v_cmp_lt_i32_e64 s[10:11], v93, v95
	s_waitcnt lgkmcnt(1)
	v_max_f32_e32 v6, v6, v6
	s_waitcnt lgkmcnt(0)
	v_max_f32_e32 v7, v7, v7
	v_max_f32_e32 v5, v5, v6
	v_max_f32_e32 v4, v4, v7
	ds_bpermute_b32 v6, v8, v5
	ds_bpermute_b32 v7, v8, v4
	v_cndmask_b32_e64 v8, v65, v93, s[10:11]
	v_lshlrev_b32_e32 v8, 2, v8
	v_cmp_lt_i32_e64 s[10:11], v92, v95
	s_waitcnt lgkmcnt(1)
	v_max_f32_e32 v6, v6, v6
	s_waitcnt lgkmcnt(0)
	v_max_f32_e32 v7, v7, v7
	;; [unrolled: 11-line block ×3, first 2 shown]
	v_max_f32_e32 v5, v5, v6
	v_max_f32_e32 v4, v4, v7
	ds_bpermute_b32 v6, v8, v5
	ds_bpermute_b32 v7, v8, v4
	v_cndmask_b32_e64 v8, v65, v91, s[10:11]
	v_lshlrev_b32_e32 v8, 2, v8
	s_mul_hi_i32 s11, s40, s41
	s_waitcnt lgkmcnt(1)
	v_max_f32_e32 v6, v6, v6
	s_waitcnt lgkmcnt(0)
	v_max_f32_e32 v7, v7, v7
	v_max_f32_e32 v5, v5, v6
	;; [unrolled: 1-line block ×3, first 2 shown]
	ds_bpermute_b32 v6, v8, v5
	ds_bpermute_b32 v7, v8, v4
	s_mul_i32 s10, s40, s41
	s_lshl_b64 s[10:11], s[10:11], 2
	s_add_u32 s12, s45, s10
	s_waitcnt lgkmcnt(1)
	v_max_f32_e32 v6, v6, v6
	s_waitcnt lgkmcnt(0)
	v_max_f32_e32 v7, v7, v7
	v_max_f32_e32 v75, v5, v6
	;; [unrolled: 1-line block ×3, first 2 shown]
	v_pk_add_f32 v[2:3], v[2:3], v[74:75] neg_lo:[0,1] neg_hi:[0,1]
	s_addc_u32 s13, s46, s11
	v_mul_f32_e32 v4, 0x3fb8aa3b, v3
	v_mul_f32_e32 v5, 0x3fb8aa3b, v2
	v_fma_f32 v6, v3, s47, -v4
	v_rndne_f32_e32 v7, v4
	v_fma_f32 v8, v2, s47, -v5
	v_rndne_f32_e32 v9, v5
	v_fmac_f32_e32 v6, 0x32a5705f, v3
	v_sub_f32_e32 v4, v4, v7
	v_fmac_f32_e32 v8, 0x32a5705f, v2
	v_sub_f32_e32 v5, v5, v9
	v_add_f32_e32 v4, v4, v6
	v_cvt_i32_f32_e32 v7, v7
	v_add_f32_e32 v5, v5, v8
	v_exp_f32_e32 v4, v4
	v_cvt_i32_f32_e32 v9, v9
	v_exp_f32_e32 v5, v5
	v_cmp_ngt_f32_e64 s[10:11], s48, v3
	v_ldexp_f32 v4, v4, v7
	v_ldexp_f32 v5, v5, v9
	v_cndmask_b32_e64 v4, 0, v4, s[10:11]
	v_cmp_ngt_f32_e64 s[10:11], s48, v2
	s_nop 1
	v_cndmask_b32_e64 v5, 0, v5, s[10:11]
	v_cmp_nlt_f32_e64 s[10:11], s49, v3
	s_nop 1
	v_cndmask_b32_e64 v77, v90, v4, s[10:11]
	v_cmp_nlt_f32_e64 s[10:11], s49, v2
	v_cvt_f16_f32_e32 v2, v77
	s_nop 0
	v_cndmask_b32_e64 v76, v90, v5, s[10:11]
	v_cvt_f16_f32_e32 v3, v76
	v_pack_b32_f16 v2, v3, v2
	ds_write_b32 v86, v2
	s_and_saveexec_b64 s[10:11], s[6:7]
	s_cbranch_execz .LBB9_21
; %bb.20:                               ;   in Loop: Header=BB9_11 Depth=1
	v_lshl_add_u64 v[2:3], v[68:69], 2, s[12:13]
	v_lshl_add_u64 v[2:3], v[2:3], 0, v[60:61]
	global_load_dwordx4 v[2:5], v[2:3], off offset:128
	s_waitcnt vmcnt(0)
	ds_write_b128 v88, v[2:5]
.LBB9_21:                               ;   in Loop: Header=BB9_11 Depth=1
	s_or_b64 exec, exec, s[10:11]
	v_lshlrev_b32_e32 v78, 2, v70
	s_and_saveexec_b64 s[10:11], s[8:9]
	s_cbranch_execz .LBB9_23
; %bb.22:                               ;   in Loop: Header=BB9_11 Depth=1
	v_lshl_add_u64 v[2:3], v[72:73], 2, s[12:13]
	v_mov_b32_e32 v79, v61
	v_lshl_add_u64 v[2:3], v[2:3], 0, v[78:79]
	global_load_dwordx4 v[2:5], v[2:3], off
	s_waitcnt vmcnt(0)
	ds_write_b128 v89, v[2:5]
.LBB9_23:                               ;   in Loop: Header=BB9_11 Depth=1
	s_or_b64 exec, exec, s[10:11]
	v_pk_add_f32 v[80:81], v[0:1], v[74:75] neg_lo:[0,1] neg_hi:[0,1]
	s_waitcnt lgkmcnt(0)
	s_barrier
	ds_read2_b64 v[44:47], v87 offset1:20
	ds_read_b128 v[36:39], v85
	ds_read_b128 v[20:23], v85 offset:16
	ds_read_b128 v[4:7], v85 offset:32
	;; [unrolled: 1-line block ×3, first 2 shown]
	ds_read2_b64 v[40:43], v87 offset0:40 offset1:60
	ds_read2_b64 v[32:35], v87 offset0:80 offset1:100
	ds_read2_b64 v[28:31], v87 offset0:120 offset1:140
	ds_read2_b64 v[24:27], v87 offset0:160 offset1:180
	ds_read2_b64 v[16:19], v87 offset0:200 offset1:220
	v_add_u32_e32 v98, 0x400, v87
	v_add_u32_e32 v97, 0x800, v87
	ds_read2_b64 v[12:15], v98 offset0:112 offset1:132
	ds_read2_b64 v[8:11], v97 offset0:24 offset1:44
	s_or_b32 s28, s40, 16
	s_mul_hi_i32 s29, s28, s41
	s_mul_i32 s28, s28, s41
	s_lshl_b64 s[28:29], s[28:29], 2
	s_add_u32 s28, s45, s28
	v_cmp_ngt_f32_e64 s[14:15], s48, v81
	v_cmp_nlt_f32_e64 s[16:17], s49, v81
	v_cmp_ngt_f32_e64 s[10:11], s48, v80
	v_cmp_nlt_f32_e64 s[12:13], s49, v80
	s_addc_u32 s29, s46, s29
	s_waitcnt lgkmcnt(0)
	s_barrier
	s_and_saveexec_b64 s[38:39], s[6:7]
	s_cbranch_execz .LBB9_25
; %bb.24:                               ;   in Loop: Header=BB9_11 Depth=1
	v_lshl_add_u64 v[100:101], v[68:69], 2, s[28:29]
	v_lshl_add_u64 v[100:101], v[100:101], 0, v[60:61]
	global_load_dwordx4 v[100:103], v[100:101], off offset:128
	s_waitcnt vmcnt(0)
	ds_write_b128 v88, v[100:103]
.LBB9_25:                               ;   in Loop: Header=BB9_11 Depth=1
	s_or_b64 exec, exec, s[38:39]
	v_mul_f32_e32 v60, 0x3fb8aa3b, v81
	v_fma_f32 v79, v81, s47, -v60
	v_fmac_f32_e32 v79, 0x32a5705f, v81
	v_rndne_f32_e32 v81, v60
	v_sub_f32_e32 v60, v60, v81
	v_add_f32_e32 v60, v60, v79
	v_cvt_i32_f32_e32 v79, v81
	v_mul_f32_e32 v81, 0x3fb8aa3b, v80
	v_fma_f32 v99, v80, s47, -v81
	v_fmac_f32_e32 v99, 0x32a5705f, v80
	v_rndne_f32_e32 v80, v81
	v_exp_f32_e32 v60, v60
	v_sub_f32_e32 v81, v81, v80
	v_add_f32_e32 v81, v81, v99
	v_exp_f32_e32 v99, v81
	v_cvt_i32_f32_e32 v80, v80
	v_ldexp_f32 v60, v60, v79
	v_cndmask_b32_e64 v60, 0, v60, s[14:15]
	v_cndmask_b32_e64 v81, v90, v60, s[16:17]
	v_ldexp_f32 v60, v99, v80
	v_cndmask_b32_e64 v60, 0, v60, s[10:11]
	v_cndmask_b32_e64 v80, v90, v60, s[12:13]
	s_and_saveexec_b64 s[10:11], s[8:9]
	s_cbranch_execz .LBB9_27
; %bb.26:                               ;   in Loop: Header=BB9_11 Depth=1
	v_lshl_add_u64 v[100:101], v[72:73], 2, s[28:29]
	v_mov_b32_e32 v79, v61
	v_lshl_add_u64 v[78:79], v[100:101], 0, v[78:79]
	global_load_dwordx4 v[100:103], v[78:79], off
	s_waitcnt vmcnt(0)
	ds_write_b128 v89, v[100:103]
.LBB9_27:                               ;   in Loop: Header=BB9_11 Depth=1
	s_or_b64 exec, exec, s[10:11]
	v_cvt_f16_f32_e32 v60, v81
	v_cvt_f16_f32_e32 v78, v80
	v_pk_mul_f16 v79, v44, v36 op_sel_hi:[1,0]
	v_pk_mul_f16 v44, v44, v36 op_sel:[0,1]
	v_pk_mul_f16 v59, v60, v59 op_sel_hi:[0,1]
	v_pk_fma_f16 v44, v60, v53, v44 op_sel_hi:[0,1,1]
	v_pk_mul_f16 v53, v45, v36 op_sel_hi:[1,0]
	v_pk_fma_f16 v67, v78, v67, v79 op_sel_hi:[0,1,1]
	v_pk_fma_f16 v52, v78, v52, v53 op_sel_hi:[0,1,1]
	v_pk_fma_f16 v36, v45, v36, v59 op_sel:[0,1,0]
	v_pk_fma_f16 v45, v46, v37, v67 op_sel_hi:[1,0,1]
	v_pk_fma_f16 v44, v46, v37, v44 op_sel:[0,1,0]
	;; [unrolled: 2-line block ×31, first 2 shown]
	s_waitcnt lgkmcnt(0)
	s_barrier
	ds_read2_b64 v[0:3], v87 offset1:20
	ds_read_b128 v[4:7], v85 offset:64
	ds_read_b128 v[8:11], v85 offset:80
	;; [unrolled: 1-line block ×4, first 2 shown]
	v_pk_fma_f32 v[54:55], v[54:55], v[80:81], v[76:77]
	s_waitcnt lgkmcnt(3)
	v_pk_fma_f16 v24, v0, v4, v20 op_sel_hi:[1,0,1]
	v_pk_fma_f16 v0, v0, v4, v21 op_sel:[0,1,0]
	v_pk_fma_f16 v25, v1, v4, v22 op_sel_hi:[1,0,1]
	v_pk_fma_f16 v1, v1, v4, v23 op_sel:[0,1,0]
	ds_read2_b64 v[20:23], v87 offset0:40 offset1:60
	v_pk_fma_f16 v4, v2, v5, v24 op_sel_hi:[1,0,1]
	v_pk_fma_f16 v0, v2, v5, v0 op_sel:[0,1,0]
	v_pk_fma_f16 v2, v3, v5, v25 op_sel_hi:[1,0,1]
	v_pk_fma_f16 v1, v3, v5, v1 op_sel:[0,1,0]
	s_waitcnt lgkmcnt(0)
	v_pk_fma_f16 v4, v20, v6, v4 op_sel_hi:[1,0,1]
	v_pk_fma_f16 v5, v20, v6, v0 op_sel:[0,1,0]
	v_pk_fma_f16 v20, v21, v6, v2 op_sel_hi:[1,0,1]
	v_pk_fma_f16 v6, v21, v6, v1 op_sel:[0,1,0]
	ds_read2_b64 v[0:3], v87 offset0:80 offset1:100
	v_pk_fma_f16 v4, v22, v7, v4 op_sel_hi:[1,0,1]
	v_pk_fma_f16 v5, v22, v7, v5 op_sel:[0,1,0]
	v_pk_fma_f16 v20, v23, v7, v20 op_sel_hi:[1,0,1]
	v_pk_fma_f16 v6, v23, v7, v6 op_sel:[0,1,0]
	s_waitcnt lgkmcnt(0)
	v_pk_fma_f16 v21, v0, v8, v4 op_sel_hi:[1,0,1]
	v_pk_fma_f16 v0, v0, v8, v5 op_sel:[0,1,0]
	v_pk_fma_f16 v20, v1, v8, v20 op_sel_hi:[1,0,1]
	v_pk_fma_f16 v1, v1, v8, v6 op_sel:[0,1,0]
	ds_read2_b64 v[4:7], v87 offset0:120 offset1:140
	v_pk_fma_f16 v8, v2, v9, v21 op_sel_hi:[1,0,1]
	v_pk_fma_f16 v0, v2, v9, v0 op_sel:[0,1,0]
	v_pk_fma_f16 v2, v3, v9, v20 op_sel_hi:[1,0,1]
	v_pk_fma_f16 v1, v3, v9, v1 op_sel:[0,1,0]
	s_waitcnt lgkmcnt(0)
	v_pk_fma_f16 v8, v4, v10, v8 op_sel_hi:[1,0,1]
	v_pk_fma_f16 v4, v4, v10, v0 op_sel:[0,1,0]
	v_pk_fma_f16 v9, v5, v10, v2 op_sel_hi:[1,0,1]
	v_pk_fma_f16 v5, v5, v10, v1 op_sel:[0,1,0]
	ds_read2_b64 v[0:3], v87 offset0:160 offset1:180
	v_pk_fma_f16 v8, v6, v11, v8 op_sel_hi:[1,0,1]
	v_pk_fma_f16 v4, v6, v11, v4 op_sel:[0,1,0]
	v_pk_fma_f16 v6, v7, v11, v9 op_sel_hi:[1,0,1]
	v_pk_fma_f16 v5, v7, v11, v5 op_sel:[0,1,0]
	s_waitcnt lgkmcnt(0)
	v_pk_fma_f16 v8, v0, v12, v8 op_sel_hi:[1,0,1]
	v_pk_fma_f16 v0, v0, v12, v4 op_sel:[0,1,0]
	v_pk_fma_f16 v9, v1, v12, v6 op_sel_hi:[1,0,1]
	v_pk_fma_f16 v1, v1, v12, v5 op_sel:[0,1,0]
	ds_read2_b64 v[4:7], v87 offset0:200 offset1:220
	v_pk_fma_f16 v8, v2, v13, v8 op_sel_hi:[1,0,1]
	v_pk_fma_f16 v0, v2, v13, v0 op_sel:[0,1,0]
	v_pk_fma_f16 v2, v3, v13, v9 op_sel_hi:[1,0,1]
	v_pk_fma_f16 v1, v3, v13, v1 op_sel:[0,1,0]
	s_waitcnt lgkmcnt(0)
	v_pk_fma_f16 v8, v4, v14, v8 op_sel_hi:[1,0,1]
	v_pk_fma_f16 v4, v4, v14, v0 op_sel:[0,1,0]
	v_pk_fma_f16 v9, v5, v14, v2 op_sel_hi:[1,0,1]
	v_pk_fma_f16 v5, v5, v14, v1 op_sel:[0,1,0]
	ds_read2_b64 v[0:3], v98 offset0:112 offset1:132
	v_pk_fma_f16 v8, v6, v15, v8 op_sel_hi:[1,0,1]
	v_pk_fma_f16 v4, v6, v15, v4 op_sel:[0,1,0]
	v_pk_fma_f16 v6, v7, v15, v9 op_sel_hi:[1,0,1]
	v_pk_fma_f16 v5, v7, v15, v5 op_sel:[0,1,0]
	s_waitcnt lgkmcnt(0)
	v_pk_fma_f16 v8, v0, v16, v8 op_sel_hi:[1,0,1]
	v_pk_fma_f16 v0, v0, v16, v4 op_sel:[0,1,0]
	v_pk_fma_f16 v9, v1, v16, v6 op_sel_hi:[1,0,1]
	v_pk_fma_f16 v1, v1, v16, v5 op_sel:[0,1,0]
	ds_read2_b64 v[4:7], v97 offset0:24 offset1:44
	s_waitcnt lgkmcnt(0)
	s_barrier
	s_load_dword s10, s[22:23], 0x4
	v_pk_fma_f16 v8, v2, v17, v8 op_sel_hi:[1,0,1]
	v_pk_fma_f16 v0, v2, v17, v0 op_sel:[0,1,0]
	v_pk_fma_f16 v2, v3, v17, v9 op_sel_hi:[1,0,1]
	v_pk_fma_f16 v1, v3, v17, v1 op_sel:[0,1,0]
	s_waitcnt lgkmcnt(0)
	s_lshl_b32 s10, s10, 5
	v_pk_fma_f16 v3, v4, v18, v8 op_sel_hi:[1,0,1]
	v_pk_fma_f16 v0, v4, v18, v0 op_sel:[0,1,0]
	v_pk_fma_f16 v2, v5, v18, v2 op_sel_hi:[1,0,1]
	v_pk_fma_f16 v1, v5, v18, v1 op_sel:[0,1,0]
	s_add_i32 s40, s10, s40
	v_pk_fma_f16 v67, v6, v19, v3 op_sel_hi:[1,0,1]
	v_pk_fma_f16 v53, v6, v19, v0 op_sel:[0,1,0]
	v_pk_fma_f16 v52, v7, v19, v2 op_sel_hi:[1,0,1]
	s_cmp_ge_i32 s40, s34
	v_pk_fma_f16 v59, v7, v19, v1 op_sel:[0,1,0]
	s_cbranch_scc1 .LBB9_29
; %bb.28:                               ;   in Loop: Header=BB9_11 Depth=1
	v_mov_b32_e32 v0, v74
	v_mov_b32_e32 v1, v75
	s_branch .LBB9_11
.LBB9_29:
	v_cmp_lt_i32_e32 vcc, v96, v95
	s_cmp_lg_u64 s[20:21], 0
	s_cselect_b64 s[4:5], -1, 0
	v_cndmask_b32_e32 v0, v65, v96, vcc
	v_lshlrev_b32_e32 v1, 2, v0
	ds_bpermute_b32 v0, v1, v54
	ds_bpermute_b32 v1, v1, v55
	v_cmp_lt_i32_e32 vcc, v94, v95
	s_cmp_eq_u32 s3, 0
	s_cselect_b64 s[6:7], -1, 0
	v_cndmask_b32_e32 v2, v65, v94, vcc
	v_lshlrev_b32_e32 v3, 2, v2
	s_waitcnt lgkmcnt(0)
	v_pk_add_f32 v[0:1], v[54:55], v[0:1]
	ds_bpermute_b32 v2, v3, v0
	ds_bpermute_b32 v3, v3, v1
	v_cmp_lt_i32_e32 vcc, v93, v95
	s_and_b64 s[4:5], s[6:7], s[4:5]
	s_waitcnt lgkmcnt(0)
	v_pk_add_f32 v[0:1], v[0:1], v[2:3]
	v_cndmask_b32_e32 v4, v65, v93, vcc
	v_lshlrev_b32_e32 v4, 2, v4
	ds_bpermute_b32 v2, v4, v0
	ds_bpermute_b32 v3, v4, v1
	v_cmp_lt_i32_e32 vcc, v92, v95
	s_waitcnt lgkmcnt(0)
	v_pk_add_f32 v[0:1], v[0:1], v[2:3]
	v_cndmask_b32_e32 v4, v65, v92, vcc
	v_lshlrev_b32_e32 v4, 2, v4
	ds_bpermute_b32 v2, v4, v0
	ds_bpermute_b32 v3, v4, v1
	v_cmp_lt_i32_e32 vcc, v91, v95
	s_waitcnt lgkmcnt(0)
	v_pk_add_f32 v[0:1], v[0:1], v[2:3]
	v_cndmask_b32_e32 v4, v65, v91, vcc
	v_lshlrev_b32_e32 v4, 2, v4
	ds_bpermute_b32 v2, v4, v0
	ds_bpermute_b32 v3, v4, v1
	s_and_b64 vcc, exec, s[4:5]
	s_waitcnt lgkmcnt(0)
	v_pk_add_f32 v[0:1], v[0:1], v[2:3]
	s_cbranch_vccz .LBB9_31
; %bb.30:
	v_add_u32_e32 v2, s35, v51
	v_ashrrev_i32_e32 v3, 31, v2
	v_lshl_add_u64 v[2:3], v[2:3], 2, s[20:21]
	global_load_dwordx2 v[2:3], v[2:3], off
	v_max_f32_e32 v4, v75, v75
	v_max_f32_e32 v6, v74, v74
	s_mov_b32 s2, 0x3fb8aa3b
	s_mov_b32 s4, 0xc2ce8ed0
	;; [unrolled: 1-line block ×3, first 2 shown]
	v_mov_b32_e32 v8, 0x7f800000
	s_waitcnt vmcnt(0)
	v_max_f32_e32 v5, v3, v3
	v_max_f32_e32 v7, v2, v2
	;; [unrolled: 1-line block ×4, first 2 shown]
	v_pk_add_f32 v[6:7], v[74:75], v[4:5] neg_lo:[0,1] neg_hi:[0,1]
	v_pk_add_f32 v[2:3], v[2:3], v[4:5] neg_lo:[0,1] neg_hi:[0,1]
	v_mul_f32_e32 v9, 0x3fb8aa3b, v7
	v_mul_f32_e32 v10, 0x3fb8aa3b, v6
	v_fma_f32 v13, v7, s2, -v9
	v_rndne_f32_e32 v14, v9
	v_mul_f32_e32 v11, 0x3fb8aa3b, v3
	v_fma_f32 v15, v6, s2, -v10
	v_rndne_f32_e32 v16, v10
	v_fmac_f32_e32 v13, 0x32a5705f, v7
	v_sub_f32_e32 v9, v9, v14
	v_mul_f32_e32 v12, 0x3fb8aa3b, v2
	v_fma_f32 v17, v3, s2, -v11
	v_rndne_f32_e32 v18, v11
	v_fmac_f32_e32 v15, 0x32a5705f, v6
	v_sub_f32_e32 v10, v10, v16
	v_add_f32_e32 v9, v9, v13
	v_fma_f32 v19, v2, s2, -v12
	v_rndne_f32_e32 v20, v12
	v_cvt_i32_f32_e32 v14, v14
	v_fmac_f32_e32 v17, 0x32a5705f, v3
	v_sub_f32_e32 v11, v11, v18
	v_add_f32_e32 v10, v10, v15
	v_exp_f32_e32 v9, v9
	v_cvt_i32_f32_e32 v16, v16
	v_fmac_f32_e32 v19, 0x32a5705f, v2
	v_sub_f32_e32 v12, v12, v20
	v_add_f32_e32 v11, v11, v17
	v_exp_f32_e32 v10, v10
	v_cvt_i32_f32_e32 v18, v18
	v_add_f32_e32 v12, v12, v19
	v_exp_f32_e32 v11, v11
	v_cvt_i32_f32_e32 v20, v20
	v_exp_f32_e32 v12, v12
	v_ldexp_f32 v9, v9, v14
	v_cmp_ngt_f32_e32 vcc, s4, v7
	v_ldexp_f32 v10, v10, v16
	v_ldexp_f32 v11, v11, v18
	v_cndmask_b32_e32 v9, 0, v9, vcc
	v_cmp_ngt_f32_e32 vcc, s4, v6
	v_ldexp_f32 v12, v12, v20
	v_mov_b64_e32 v[74:75], v[4:5]
	v_cndmask_b32_e32 v10, 0, v10, vcc
	v_cmp_ngt_f32_e32 vcc, s4, v3
	s_nop 1
	v_cndmask_b32_e32 v11, 0, v11, vcc
	v_cmp_ngt_f32_e32 vcc, s4, v2
	s_nop 1
	v_cndmask_b32_e32 v12, 0, v12, vcc
	v_cmp_nlt_f32_e32 vcc, s5, v7
	s_nop 1
	v_cndmask_b32_e32 v7, v8, v9, vcc
	v_cmp_nlt_f32_e32 vcc, s5, v6
	;; [unrolled: 3-line block ×3, first 2 shown]
	v_cvt_f16_f32_e32 v9, v6
	v_pk_mul_f16 v67, v9, v67 op_sel_hi:[0,1]
	v_cndmask_b32_e32 v3, v8, v11, vcc
	v_cmp_nlt_f32_e32 vcc, s5, v2
	v_pk_mul_f16 v52, v9, v52 op_sel_hi:[0,1]
	s_nop 0
	v_cndmask_b32_e32 v2, v8, v12, vcc
	v_cvt_f16_f32_e32 v8, v7
	v_pk_fma_f32 v[0:1], v[0:1], v[6:7], v[2:3]
	v_pk_mul_f16 v53, v8, v53 op_sel_hi:[0,1]
	v_pk_mul_f16 v59, v8, v59 op_sel_hi:[0,1]
.LBB9_31:
	v_cmp_gt_i32_e32 vcc, s30, v49
	s_and_saveexec_b64 s[4:5], vcc
	s_cbranch_execz .LBB9_41
; %bb.32:
	s_load_dword s2, s[0:1], 0xd4
	v_mov_b32_e32 v4, 1.0
	s_waitcnt lgkmcnt(0)
	s_cmp_lg_u32 s2, 1
	s_cselect_b64 s[4:5], -1, 0
	s_cmp_eq_u32 s2, 1
	s_cselect_b64 s[0:1], -1, 0
	s_and_b64 vcc, exec, s[4:5]
	s_cbranch_vccnz .LBB9_34
; %bb.33:
	v_div_scale_f32 v2, s[6:7], v0, v0, 1.0
	v_rcp_f32_e32 v3, v2
	v_div_scale_f32 v4, vcc, 1.0, v0, 1.0
	v_fma_f32 v5, -v2, v3, 1.0
	v_fmac_f32_e32 v3, v5, v3
	v_mul_f32_e32 v5, v4, v3
	v_fma_f32 v6, -v2, v5, v4
	v_fmac_f32_e32 v5, v6, v3
	v_fma_f32 v2, -v2, v5, v4
	v_div_fmas_f32 v2, v2, v3, v5
	v_div_fixup_f32 v4, v2, v0, 1.0
.LBB9_34:
	s_mul_i32 s33, s33, s30
	v_add_u32_e32 v2, s33, v49
	v_mul_lo_u32 v2, v2, s31
	v_add3_u32 v2, s35, v51, v2
	v_mul_lo_u32 v5, s2, v2
	v_add_u32_e32 v2, s3, v5
	s_and_saveexec_b64 s[6:7], s[18:19]
	s_cbranch_execz .LBB9_36
; %bb.35:
	v_cvt_f32_f16_sdwa v9, v67 dst_sel:DWORD dst_unused:UNUSED_PAD src0_sel:WORD_1
	v_cvt_f32_f16_e32 v8, v67
	v_cvt_f32_f16_sdwa v11, v52 dst_sel:DWORD dst_unused:UNUSED_PAD src0_sel:WORD_1
	v_cvt_f32_f16_e32 v10, v52
	s_movk_i32 s8, 0x50
	v_mad_u64_u32 v[6:7], s[8:9], v2, s8, v[48:49]
	v_mov_b32_e32 v7, 0
	v_lshl_add_u64 v[12:13], v[6:7], 2, s[24:25]
	v_pk_mul_f32 v[6:7], v[4:5], v[8:9] op_sel_hi:[0,1]
	v_pk_mul_f32 v[8:9], v[4:5], v[10:11] op_sel_hi:[0,1]
	global_store_dwordx4 v[12:13], v[6:9], off
.LBB9_36:
	s_or_b64 exec, exec, s[6:7]
	v_cmp_eq_u32_e32 vcc, 0, v50
	s_and_b64 s[4:5], vcc, s[4:5]
	s_and_saveexec_b64 s[6:7], s[4:5]
	s_cbranch_execnz .LBB9_42
; %bb.37:
	s_or_b64 exec, exec, s[6:7]
	s_andn2_b64 vcc, exec, s[0:1]
	v_mov_b32_e32 v0, 1.0
	s_cbranch_vccz .LBB9_43
.LBB9_38:
	s_add_i32 s3, s3, s2
	v_add_u32_e32 v2, s3, v5
	s_and_saveexec_b64 s[0:1], s[18:19]
	s_cbranch_execnz .LBB9_44
.LBB9_39:
	s_or_b64 exec, exec, s[0:1]
	s_and_b64 exec, exec, s[4:5]
	s_cbranch_execz .LBB9_41
.LBB9_40:
	v_ashrrev_i32_e32 v3, 31, v2
	v_lshl_add_u64 v[2:3], v[2:3], 3, s[26:27]
	v_mov_b32_e32 v0, v75
	global_store_dwordx2 v[2:3], v[0:1], off
.LBB9_41:
	s_endpgm
.LBB9_42:
	v_ashrrev_i32_e32 v3, 31, v2
	v_lshl_add_u64 v[2:3], v[2:3], 3, s[26:27]
	v_mov_b32_e32 v6, v74
	v_mov_b32_e32 v7, v0
	global_store_dwordx2 v[2:3], v[6:7], off
	s_or_b64 exec, exec, s[6:7]
	s_andn2_b64 vcc, exec, s[0:1]
	v_mov_b32_e32 v0, 1.0
	s_cbranch_vccnz .LBB9_38
.LBB9_43:
	v_div_scale_f32 v0, s[0:1], v1, v1, 1.0
	v_rcp_f32_e32 v2, v0
	v_div_scale_f32 v3, vcc, 1.0, v1, 1.0
	v_fma_f32 v4, -v0, v2, 1.0
	v_fmac_f32_e32 v2, v4, v2
	v_mul_f32_e32 v4, v3, v2
	v_fma_f32 v6, -v0, v4, v3
	v_fmac_f32_e32 v4, v6, v2
	v_fma_f32 v0, -v0, v4, v3
	v_div_fmas_f32 v0, v0, v2, v4
	v_div_fixup_f32 v0, v0, v1, 1.0
	s_add_i32 s3, s3, s2
	v_add_u32_e32 v2, s3, v5
	s_and_saveexec_b64 s[0:1], s[18:19]
	s_cbranch_execz .LBB9_39
.LBB9_44:
	v_cvt_f32_f16_sdwa v7, v53 dst_sel:DWORD dst_unused:UNUSED_PAD src0_sel:WORD_1
	v_cvt_f32_f16_e32 v6, v53
	v_cvt_f32_f16_sdwa v9, v59 dst_sel:DWORD dst_unused:UNUSED_PAD src0_sel:WORD_1
	v_cvt_f32_f16_e32 v8, v59
	s_movk_i32 s2, 0x50
	v_mad_u64_u32 v[4:5], s[2:3], v2, s2, v[48:49]
	v_mov_b32_e32 v5, 0
	v_lshl_add_u64 v[10:11], v[4:5], 2, s[24:25]
	v_pk_mul_f32 v[4:5], v[0:1], v[6:7] op_sel_hi:[0,1]
	v_pk_mul_f32 v[6:7], v[0:1], v[8:9] op_sel_hi:[0,1]
	global_store_dwordx4 v[10:11], v[4:7], off
	s_or_b64 exec, exec, s[0:1]
	s_and_b64 exec, exec, s[4:5]
	s_cbranch_execnz .LBB9_40
	s_branch .LBB9_41
	.section	.rodata,"a",@progbits
	.p2align	6, 0x0
	.amdhsa_kernel _ZL15flash_attn_tileILi80ELi80ELi2ELi8ELb0EEvPKcS1_S1_S1_S1_PKiPfP15HIP_vector_typeIfLj2EEffffjfiS5_IjLj3EEiiiiiiiiiiiliiliiiiil
		.amdhsa_group_segment_fixed_size 6848
		.amdhsa_private_segment_fixed_size 0
		.amdhsa_kernarg_size 464
		.amdhsa_user_sgpr_count 2
		.amdhsa_user_sgpr_dispatch_ptr 0
		.amdhsa_user_sgpr_queue_ptr 0
		.amdhsa_user_sgpr_kernarg_segment_ptr 1
		.amdhsa_user_sgpr_dispatch_id 0
		.amdhsa_user_sgpr_kernarg_preload_length 0
		.amdhsa_user_sgpr_kernarg_preload_offset 0
		.amdhsa_user_sgpr_private_segment_size 0
		.amdhsa_uses_dynamic_stack 0
		.amdhsa_enable_private_segment 0
		.amdhsa_system_sgpr_workgroup_id_x 1
		.amdhsa_system_sgpr_workgroup_id_y 1
		.amdhsa_system_sgpr_workgroup_id_z 1
		.amdhsa_system_sgpr_workgroup_info 0
		.amdhsa_system_vgpr_workitem_id 1
		.amdhsa_next_free_vgpr 104
		.amdhsa_next_free_sgpr 50
		.amdhsa_accum_offset 104
		.amdhsa_reserve_vcc 1
		.amdhsa_float_round_mode_32 0
		.amdhsa_float_round_mode_16_64 0
		.amdhsa_float_denorm_mode_32 3
		.amdhsa_float_denorm_mode_16_64 3
		.amdhsa_dx10_clamp 1
		.amdhsa_ieee_mode 1
		.amdhsa_fp16_overflow 0
		.amdhsa_tg_split 0
		.amdhsa_exception_fp_ieee_invalid_op 0
		.amdhsa_exception_fp_denorm_src 0
		.amdhsa_exception_fp_ieee_div_zero 0
		.amdhsa_exception_fp_ieee_overflow 0
		.amdhsa_exception_fp_ieee_underflow 0
		.amdhsa_exception_fp_ieee_inexact 0
		.amdhsa_exception_int_div_zero 0
	.end_amdhsa_kernel
	.section	.text._ZL15flash_attn_tileILi80ELi80ELi2ELi8ELb0EEvPKcS1_S1_S1_S1_PKiPfP15HIP_vector_typeIfLj2EEffffjfiS5_IjLj3EEiiiiiiiiiiiliiliiiiil,"axG",@progbits,_ZL15flash_attn_tileILi80ELi80ELi2ELi8ELb0EEvPKcS1_S1_S1_S1_PKiPfP15HIP_vector_typeIfLj2EEffffjfiS5_IjLj3EEiiiiiiiiiiiliiliiiiil,comdat
.Lfunc_end9:
	.size	_ZL15flash_attn_tileILi80ELi80ELi2ELi8ELb0EEvPKcS1_S1_S1_S1_PKiPfP15HIP_vector_typeIfLj2EEffffjfiS5_IjLj3EEiiiiiiiiiiiliiliiiiil, .Lfunc_end9-_ZL15flash_attn_tileILi80ELi80ELi2ELi8ELb0EEvPKcS1_S1_S1_S1_PKiPfP15HIP_vector_typeIfLj2EEffffjfiS5_IjLj3EEiiiiiiiiiiiliiliiiiil
                                        ; -- End function
	.section	.AMDGPU.csdata,"",@progbits
; Kernel info:
; codeLenInByte = 6728
; NumSgprs: 56
; NumVgprs: 104
; NumAgprs: 0
; TotalNumVgprs: 104
; ScratchSize: 0
; MemoryBound: 0
; FloatMode: 240
; IeeeMode: 1
; LDSByteSize: 6848 bytes/workgroup (compile time only)
; SGPRBlocks: 6
; VGPRBlocks: 12
; NumSGPRsForWavesPerEU: 56
; NumVGPRsForWavesPerEU: 104
; AccumOffset: 104
; Occupancy: 4
; WaveLimiterHint : 1
; COMPUTE_PGM_RSRC2:SCRATCH_EN: 0
; COMPUTE_PGM_RSRC2:USER_SGPR: 2
; COMPUTE_PGM_RSRC2:TRAP_HANDLER: 0
; COMPUTE_PGM_RSRC2:TGID_X_EN: 1
; COMPUTE_PGM_RSRC2:TGID_Y_EN: 1
; COMPUTE_PGM_RSRC2:TGID_Z_EN: 1
; COMPUTE_PGM_RSRC2:TIDIG_COMP_CNT: 1
; COMPUTE_PGM_RSRC3_GFX90A:ACCUM_OFFSET: 25
; COMPUTE_PGM_RSRC3_GFX90A:TG_SPLIT: 0
	.section	.text._ZL25flash_attn_mask_to_KV_maxILi2EEvPK7__half2Piiii,"axG",@progbits,_ZL25flash_attn_mask_to_KV_maxILi2EEvPK7__half2Piiii,comdat
	.globl	_ZL25flash_attn_mask_to_KV_maxILi2EEvPK7__half2Piiii ; -- Begin function _ZL25flash_attn_mask_to_KV_maxILi2EEvPK7__half2Piiii
	.p2align	8
	.type	_ZL25flash_attn_mask_to_KV_maxILi2EEvPK7__half2Piiii,@function
_ZL25flash_attn_mask_to_KV_maxILi2EEvPK7__half2Piiii: ; @_ZL25flash_attn_mask_to_KV_maxILi2EEvPK7__half2Piiii
; %bb.0:
	s_load_dwordx4 s[4:7], s[0:1], 0x0
	v_cmp_gt_u32_e32 vcc, 32, v0
	s_and_saveexec_b64 s[8:9], vcc
	s_cbranch_execz .LBB10_2
; %bb.1:
	v_lshlrev_b32_e32 v1, 2, v0
	v_mov_b32_e32 v2, 1
	ds_write_b32 v1, v2
.LBB10_2:
	s_or_b64 exec, exec, s[8:9]
	s_load_dwordx4 s[8:11], s[0:1], 0x10
	s_load_dword s18, s[0:1], 0x20
	v_and_b32_e32 v2, 31, v0
	v_lshlrev_b32_e32 v4, 2, v2
	v_lshrrev_b32_e32 v1, 3, v0
	s_waitcnt lgkmcnt(0)
	s_mul_i32 s1, s2, s9
	s_mul_i32 s0, s3, s10
	s_lshl_b32 s1, s1, 1
	s_add_i32 s0, s0, s1
	s_ashr_i32 s1, s0, 31
	s_lshl_b64 s[0:1], s[0:1], 2
	s_add_u32 s10, s4, s0
	s_addc_u32 s11, s5, s1
	v_cmp_eq_u32_e64 s[0:1], 0, v2
	v_mbcnt_lo_u32_b32 v2, -1, 0
	v_mbcnt_hi_u32_b32 v5, -1, v2
	v_and_b32_e32 v2, 0x60, v5
	s_lshl_b32 s8, s8, 8
	s_mov_b64 s[12:13], 0
	v_mov_b32_e32 v3, 0
	s_movk_i32 s19, 0x204
	s_movk_i32 s20, 0x7fff
	;; [unrolled: 1-line block ×3, first 2 shown]
	v_add_u32_e32 v6, 32, v2
	v_xor_b32_e32 v7, 16, v5
	v_xor_b32_e32 v8, 8, v5
	;; [unrolled: 1-line block ×5, first 2 shown]
	s_barrier
	s_waitcnt lgkmcnt(0)
                                        ; implicit-def: $sgpr4_sgpr5
	s_branch .LBB10_5
.LBB10_3:                               ;   in Loop: Header=BB10_5 Depth=1
	s_or_b64 exec, exec, s[14:15]
	s_waitcnt lgkmcnt(0)
	s_barrier
	ds_read_b32 v16, v4
	s_waitcnt lgkmcnt(0)
	s_barrier
	ds_bpermute_b32 v2, v2, v16
	v_cmp_ne_u32_e32 vcc, 0, v16
	s_waitcnt lgkmcnt(0)
	v_cmp_ne_u32_e64 s[4:5], 0, v2
	s_and_b64 s[4:5], vcc, s[4:5]
	s_nop 0
	v_cndmask_b32_e64 v2, 0, 1, s[4:5]
	ds_bpermute_b32 v2, v12, v2
	s_waitcnt lgkmcnt(0)
	v_cmp_ne_u32_e32 vcc, 0, v2
	s_and_b64 s[4:5], vcc, s[4:5]
	v_cndmask_b32_e64 v2, 0, 1, s[4:5]
	ds_bpermute_b32 v2, v13, v2
	s_waitcnt lgkmcnt(0)
	v_cmp_ne_u32_e32 vcc, 0, v2
	s_and_b64 s[4:5], vcc, s[4:5]
	;; [unrolled: 5-line block ×3, first 2 shown]
	v_cndmask_b32_e64 v2, 0, 1, s[4:5]
	ds_bpermute_b32 v2, v15, v2
	s_xor_b64 s[4:5], s[4:5], -1
	s_waitcnt lgkmcnt(0)
	v_cmp_eq_u32_e32 vcc, 0, v2
	s_or_b64 s[4:5], vcc, s[4:5]
.LBB10_4:                               ;   in Loop: Header=BB10_5 Depth=1
	s_and_b64 s[14:15], exec, s[4:5]
	s_or_b64 s[12:13], s[14:15], s[12:13]
	v_mov_b32_e32 v2, s8
	s_mov_b32 s8, s22
	s_andn2_b64 exec, exec, s[12:13]
	s_cbranch_execz .LBB10_12
.LBB10_5:                               ; =>This Inner Loop Header: Depth=1
	s_add_i32 s22, s8, 0xffffff00
	s_or_b64 s[4:5], s[4:5], exec
	s_cmp_lt_i32 s22, 0
	s_cbranch_scc1 .LBB10_4
; %bb.6:                                ;   in Loop: Header=BB10_5 Depth=1
	s_lshr_b32 s4, s22, 1
	v_add_u32_e32 v2, s4, v0
	v_lshl_add_u64 v[12:13], v[2:3], 2, s[10:11]
	global_load_dword v12, v[12:13], off
	s_mov_b64 s[14:15], 0
	s_waitcnt vmcnt(0)
	v_cmp_class_f16_e64 s[4:5], v12, s19
	v_and_b32_sdwa v12, s20, v12 dst_sel:DWORD dst_unused:UNUSED_PAD src0_sel:DWORD src1_sel:WORD_1
	v_cmp_eq_f16_e32 vcc, s21, v12
	s_and_b64 s[16:17], s[4:5], vcc
	s_and_saveexec_b64 s[4:5], s[16:17]
	s_cbranch_execz .LBB10_10
; %bb.7:                                ;   in Loop: Header=BB10_5 Depth=1
	v_add_u32_e32 v12, s9, v2
	v_ashrrev_i32_e32 v13, 31, v12
	v_lshl_add_u64 v[12:13], v[12:13], 2, s[10:11]
	global_load_dword v2, v[12:13], off
	s_waitcnt vmcnt(0)
	v_cmp_class_f16_e64 s[24:25], v2, s19
	s_and_saveexec_b64 s[16:17], s[24:25]
; %bb.8:                                ;   in Loop: Header=BB10_5 Depth=1
	v_cmp_class_f16_sdwa s[14:15], v2, s19 src0_sel:WORD_1 src1_sel:DWORD
	s_and_b64 s[14:15], s[14:15], exec
; %bb.9:                                ;   in Loop: Header=BB10_5 Depth=1
	s_or_b64 exec, exec, s[16:17]
	s_and_b64 s[14:15], s[14:15], exec
.LBB10_10:                              ;   in Loop: Header=BB10_5 Depth=1
	s_or_b64 exec, exec, s[4:5]
	v_cmp_lt_i32_e32 vcc, v7, v6
	v_cndmask_b32_e64 v12, 0, 1, s[14:15]
	s_nop 0
	v_cndmask_b32_e32 v2, v5, v7, vcc
	v_lshlrev_b32_e32 v2, 2, v2
	ds_bpermute_b32 v12, v2, v12
	s_waitcnt lgkmcnt(0)
	v_cmp_ne_u32_e32 vcc, 0, v12
	s_and_b64 s[4:5], s[14:15], vcc
	v_cmp_lt_i32_e32 vcc, v8, v6
	v_cndmask_b32_e64 v13, 0, 1, s[4:5]
	s_nop 0
	v_cndmask_b32_e32 v12, v5, v8, vcc
	v_lshlrev_b32_e32 v12, 2, v12
	ds_bpermute_b32 v13, v12, v13
	s_waitcnt lgkmcnt(0)
	v_cmp_ne_u32_e32 vcc, 0, v13
	s_and_b64 s[4:5], vcc, s[4:5]
	v_cmp_lt_i32_e32 vcc, v9, v6
	v_cndmask_b32_e64 v14, 0, 1, s[4:5]
	s_nop 0
	v_cndmask_b32_e32 v13, v5, v9, vcc
	v_lshlrev_b32_e32 v13, 2, v13
	ds_bpermute_b32 v14, v13, v14
	s_waitcnt lgkmcnt(0)
	v_cmp_ne_u32_e32 vcc, 0, v14
	s_and_b64 s[4:5], vcc, s[4:5]
	;; [unrolled: 9-line block ×3, first 2 shown]
	v_cmp_lt_i32_e32 vcc, v11, v6
	v_cndmask_b32_e64 v16, 0, 1, s[4:5]
	s_nop 0
	v_cndmask_b32_e32 v15, v5, v11, vcc
	v_lshlrev_b32_e32 v15, 2, v15
	ds_bpermute_b32 v16, v15, v16
	s_and_saveexec_b64 s[14:15], s[0:1]
	s_cbranch_execz .LBB10_3
; %bb.11:                               ;   in Loop: Header=BB10_5 Depth=1
	s_waitcnt lgkmcnt(0)
	v_cmp_ne_u32_e32 vcc, 0, v16
	s_and_b64 s[4:5], vcc, s[4:5]
	v_cndmask_b32_e64 v16, 0, 1, s[4:5]
	ds_write_b32 v1, v16
	s_branch .LBB10_3
.LBB10_12:
	s_or_b64 exec, exec, s[12:13]
	v_cmp_eq_u32_e32 vcc, 0, v0
	s_and_saveexec_b64 s[0:1], vcc
	s_cbranch_execz .LBB10_14
; %bb.13:
	s_mul_i32 s0, s18, s3
	s_add_i32 s0, s0, s2
	s_ashr_i32 s1, s0, 31
	s_lshl_b64 s[0:1], s[0:1], 2
	s_add_u32 s0, s6, s0
	s_addc_u32 s1, s7, s1
	v_mov_b32_e32 v0, 0
	global_store_dword v0, v2, s[0:1]
.LBB10_14:
	s_endpgm
	.section	.rodata,"a",@progbits
	.p2align	6, 0x0
	.amdhsa_kernel _ZL25flash_attn_mask_to_KV_maxILi2EEvPK7__half2Piiii
		.amdhsa_group_segment_fixed_size 128
		.amdhsa_private_segment_fixed_size 0
		.amdhsa_kernarg_size 288
		.amdhsa_user_sgpr_count 2
		.amdhsa_user_sgpr_dispatch_ptr 0
		.amdhsa_user_sgpr_queue_ptr 0
		.amdhsa_user_sgpr_kernarg_segment_ptr 1
		.amdhsa_user_sgpr_dispatch_id 0
		.amdhsa_user_sgpr_kernarg_preload_length 0
		.amdhsa_user_sgpr_kernarg_preload_offset 0
		.amdhsa_user_sgpr_private_segment_size 0
		.amdhsa_uses_dynamic_stack 0
		.amdhsa_enable_private_segment 0
		.amdhsa_system_sgpr_workgroup_id_x 1
		.amdhsa_system_sgpr_workgroup_id_y 1
		.amdhsa_system_sgpr_workgroup_id_z 0
		.amdhsa_system_sgpr_workgroup_info 0
		.amdhsa_system_vgpr_workitem_id 0
		.amdhsa_next_free_vgpr 17
		.amdhsa_next_free_sgpr 26
		.amdhsa_accum_offset 20
		.amdhsa_reserve_vcc 1
		.amdhsa_float_round_mode_32 0
		.amdhsa_float_round_mode_16_64 0
		.amdhsa_float_denorm_mode_32 3
		.amdhsa_float_denorm_mode_16_64 3
		.amdhsa_dx10_clamp 1
		.amdhsa_ieee_mode 1
		.amdhsa_fp16_overflow 0
		.amdhsa_tg_split 0
		.amdhsa_exception_fp_ieee_invalid_op 0
		.amdhsa_exception_fp_denorm_src 0
		.amdhsa_exception_fp_ieee_div_zero 0
		.amdhsa_exception_fp_ieee_overflow 0
		.amdhsa_exception_fp_ieee_underflow 0
		.amdhsa_exception_fp_ieee_inexact 0
		.amdhsa_exception_int_div_zero 0
	.end_amdhsa_kernel
	.section	.text._ZL25flash_attn_mask_to_KV_maxILi2EEvPK7__half2Piiii,"axG",@progbits,_ZL25flash_attn_mask_to_KV_maxILi2EEvPK7__half2Piiii,comdat
.Lfunc_end10:
	.size	_ZL25flash_attn_mask_to_KV_maxILi2EEvPK7__half2Piiii, .Lfunc_end10-_ZL25flash_attn_mask_to_KV_maxILi2EEvPK7__half2Piiii
                                        ; -- End function
	.section	.AMDGPU.csdata,"",@progbits
; Kernel info:
; codeLenInByte = 848
; NumSgprs: 32
; NumVgprs: 17
; NumAgprs: 0
; TotalNumVgprs: 17
; ScratchSize: 0
; MemoryBound: 0
; FloatMode: 240
; IeeeMode: 1
; LDSByteSize: 128 bytes/workgroup (compile time only)
; SGPRBlocks: 3
; VGPRBlocks: 2
; NumSGPRsForWavesPerEU: 32
; NumVGPRsForWavesPerEU: 17
; AccumOffset: 20
; Occupancy: 8
; WaveLimiterHint : 0
; COMPUTE_PGM_RSRC2:SCRATCH_EN: 0
; COMPUTE_PGM_RSRC2:USER_SGPR: 2
; COMPUTE_PGM_RSRC2:TRAP_HANDLER: 0
; COMPUTE_PGM_RSRC2:TGID_X_EN: 1
; COMPUTE_PGM_RSRC2:TGID_Y_EN: 1
; COMPUTE_PGM_RSRC2:TGID_Z_EN: 0
; COMPUTE_PGM_RSRC2:TIDIG_COMP_CNT: 0
; COMPUTE_PGM_RSRC3_GFX90A:ACCUM_OFFSET: 4
; COMPUTE_PGM_RSRC3_GFX90A:TG_SPLIT: 0
	.section	.text._ZL33flash_attn_stream_k_fixup_uniformILi80ELi2ELi8EEvPfPK15HIP_vector_typeIfLj2EEiiiiiiS1_IjLj3EES5_S5_,"axG",@progbits,_ZL33flash_attn_stream_k_fixup_uniformILi80ELi2ELi8EEvPfPK15HIP_vector_typeIfLj2EEiiiiiiS1_IjLj3EES5_S5_,comdat
	.globl	_ZL33flash_attn_stream_k_fixup_uniformILi80ELi2ELi8EEvPfPK15HIP_vector_typeIfLj2EEiiiiiiS1_IjLj3EES5_S5_ ; -- Begin function _ZL33flash_attn_stream_k_fixup_uniformILi80ELi2ELi8EEvPfPK15HIP_vector_typeIfLj2EEiiiiiiS1_IjLj3EES5_S5_
	.p2align	8
	.type	_ZL33flash_attn_stream_k_fixup_uniformILi80ELi2ELi8EEvPfPK15HIP_vector_typeIfLj2EEiiiiiiS1_IjLj3EES5_S5_,@function
_ZL33flash_attn_stream_k_fixup_uniformILi80ELi2ELi8EEvPfPK15HIP_vector_typeIfLj2EEiiiiiiS1_IjLj3EES5_S5_: ; @_ZL33flash_attn_stream_k_fixup_uniformILi80ELi2ELi8EEvPfPK15HIP_vector_typeIfLj2EEiiiiiiS1_IjLj3EES5_S5_
; %bb.0:
	s_load_dwordx8 s[8:15], s[0:1], 0x1c
	s_load_dwordx2 s[6:7], s[0:1], 0x10
	s_load_dwordx4 s[16:19], s[0:1], 0x3c
	s_waitcnt lgkmcnt(0)
	s_mul_hi_u32 s5, s11, s2
	s_add_i32 s5, s2, s5
	s_lshr_b32 s5, s5, s12
	s_mul_i32 s11, s5, s13
	s_sub_i32 s12, s2, s11
	s_mul_hi_u32 s11, s12, s14
	s_add_i32 s11, s12, s11
	s_lshr_b32 s11, s11, s15
	s_mul_i32 s13, s11, s16
	s_sub_i32 s12, s12, s13
	;; [unrolled: 5-line block ×3, first 2 shown]
	s_lshl_b32 s12, s16, 1
	s_lshl_b32 s17, s13, 3
	s_add_i32 s12, s12, s3
	s_cmp_lt_i32 s12, s6
	s_cselect_b64 s[12:13], -1, 0
	s_add_i32 s17, s17, s4
	s_cmp_lt_i32 s17, s9
	s_cselect_b64 s[14:15], -1, 0
	s_and_b64 s[12:13], s[12:13], s[14:15]
	s_andn2_b64 vcc, exec, s[12:13]
	s_cbranch_vccnz .LBB11_6
; %bb.1:
	s_load_dwordx4 s[12:15], s[0:1], 0x0
	s_mul_i32 s0, s5, s6
	s_mul_i32 s11, s11, s9
	s_add_i32 s0, s0, s3
	s_mul_i32 s0, s0, s7
	s_add_i32 s5, s17, s11
	;; [unrolled: 2-line block ×3, first 2 shown]
	s_mulk_i32 s1, 0xa0
	s_mulk_i32 s0, 0x50
	s_add_i32 s0, s0, s1
	v_add_u32_e32 v4, s0, v0
	s_waitcnt lgkmcnt(0)
	v_mov_b32_e32 v2, s12
	v_mov_b32_e32 v3, s13
	v_ashrrev_i32_e32 v5, 31, v4
	v_lshl_add_u64 v[2:3], v[4:5], 2, v[2:3]
	global_load_dword v7, v[2:3], off
	s_mul_i32 s5, s2, s10
	s_lshl_b32 s11, s3, 3
	s_add_i32 s9, s5, s10
	s_add_i32 s0, s11, s4
	s_lshl_b32 s1, s9, 4
	s_add_i32 s0, s0, s1
	s_add_i32 s0, s0, -16
	s_ashr_i32 s1, s0, 31
	s_lshl_b64 s[0:1], s[0:1], 3
	s_add_u32 s0, s14, s0
	s_addc_u32 s1, s15, s1
	s_load_dword s12, s[0:1], 0x4
	s_add_i32 s6, s9, -2
	s_cmp_lt_i32 s6, s5
	s_cbranch_scc1 .LBB11_4
; %bb.2:
	s_lshl_b32 s6, s8, 6
	s_ashr_i32 s7, s6, 31
	s_lshl_b64 s[6:7], s[6:7], 2
	s_add_u32 s6, s14, s6
	s_addc_u32 s7, s15, s7
	s_add_i32 s2, s2, 1
	s_load_dword s0, s[0:1], 0x0
	s_mul_i32 s1, s10, s2
	s_lshl_b32 s2, s1, 4
	s_add_i32 s2, s4, s2
	s_mulk_i32 s3, 0x280
	s_mulk_i32 s4, 0x50
	s_lshl_b32 s8, s8, 4
	s_mulk_i32 s1, 0x500
	s_add_i32 s3, s4, s3
	s_add_i32 s2, s2, s8
	;; [unrolled: 1-line block ×4, first 2 shown]
	v_add_u32_e32 v0, s3, v0
	s_add_i32 s9, s9, -1
	s_sub_i32 s2, s2, 32
	v_add_u32_e32 v0, 0xfffff600, v0
	s_waitcnt lgkmcnt(0)
	v_mov_b32_e32 v6, s12
	v_mov_b32_e32 v5, s0
	s_mov_b32 s4, 0x3fb8aa3b
	s_mov_b32 s8, 0xc2ce8ed0
	;; [unrolled: 1-line block ×3, first 2 shown]
	v_mov_b32_e32 v4, 0x7f800000
	s_mov_b32 s11, 0xc1a00000
.LBB11_3:                               ; =>This Inner Loop Header: Depth=1
	v_ashrrev_i32_e32 v1, 31, v0
	v_lshl_add_u64 v[8:9], v[0:1], 2, s[6:7]
	global_load_dword v1, v[8:9], off
	s_ashr_i32 s3, s2, 31
	s_lshl_b64 s[0:1], s[2:3], 3
	s_add_u32 s0, s14, s0
	s_addc_u32 s1, s15, s1
	s_load_dwordx2 s[12:13], s[0:1], 0x0
	s_waitcnt vmcnt(1)
	v_mov_b32_e32 v8, v7
	v_max_f32_e32 v7, v5, v5
	v_mov_b32_e32 v9, v6
	s_add_i32 s9, s9, -1
	s_waitcnt lgkmcnt(0)
	v_max_f32_e64 v6, s12, s12
	v_max_f32_e32 v6, v7, v6
	v_sub_f32_e32 v10, s12, v6
	v_sub_f32_e32 v7, v5, v6
	v_mul_f32_e32 v11, 0x3fb8aa3b, v10
	v_mov_b32_e32 v5, v6
	v_mul_f32_e32 v6, 0x3fb8aa3b, v7
	v_fma_f32 v14, v10, s4, -v11
	v_rndne_f32_e32 v15, v11
	v_fma_f32 v12, v7, s4, -v6
	v_rndne_f32_e32 v13, v6
	v_fmac_f32_e32 v14, 0x32a5705f, v10
	v_sub_f32_e32 v11, v11, v15
	v_fmac_f32_e32 v12, 0x32a5705f, v7
	v_sub_f32_e32 v6, v6, v13
	v_add_f32_e32 v11, v11, v14
	v_cvt_i32_f32_e32 v15, v15
	v_add_f32_e32 v6, v6, v12
	v_exp_f32_e32 v11, v11
	v_cvt_i32_f32_e32 v13, v13
	v_exp_f32_e32 v6, v6
	v_cmp_ngt_f32_e32 vcc, s8, v10
	v_ldexp_f32 v11, v11, v15
	v_cmp_ngt_f32_e64 s[0:1], s8, v7
	v_ldexp_f32 v6, v6, v13
	v_cndmask_b32_e32 v11, 0, v11, vcc
	v_cmp_nlt_f32_e32 vcc, s10, v10
	v_cndmask_b32_e64 v6, 0, v6, s[0:1]
	v_cmp_nlt_f32_e64 s[0:1], s10, v7
	v_cndmask_b32_e32 v11, v4, v11, vcc
	v_cmp_le_f32_e32 vcc, s11, v10
	v_cndmask_b32_e64 v6, v4, v6, s[0:1]
	v_cmp_le_f32_e64 s[0:1], s11, v7
	v_cndmask_b32_e32 v7, 0, v11, vcc
	s_add_i32 s2, s2, -16
	v_cndmask_b32_e64 v10, 0, v6, s[0:1]
	v_mul_f32_e32 v6, s13, v7
	v_add_u32_e32 v0, 0xfffffb00, v0
	s_cmp_le_i32 s9, s5
	v_fmac_f32_e32 v6, v9, v10
	s_waitcnt vmcnt(0)
	v_mul_f32_e32 v7, v1, v7
	v_fmac_f32_e32 v7, v8, v10
	s_cbranch_scc0 .LBB11_3
	s_branch .LBB11_5
.LBB11_4:
	s_waitcnt lgkmcnt(0)
	v_mov_b32_e32 v6, s12
.LBB11_5:
	s_waitcnt vmcnt(0)
	v_div_scale_f32 v0, s[0:1], v6, v6, v7
	v_rcp_f32_e32 v1, v0
	v_div_scale_f32 v4, vcc, v7, v6, v7
	v_fma_f32 v5, -v0, v1, 1.0
	v_fmac_f32_e32 v1, v5, v1
	v_mul_f32_e32 v5, v4, v1
	v_fma_f32 v8, -v0, v5, v4
	v_fmac_f32_e32 v5, v8, v1
	v_fma_f32 v0, -v0, v5, v4
	v_div_fmas_f32 v0, v0, v1, v5
	v_div_fixup_f32 v0, v0, v6, v7
	global_store_dword v[2:3], v0, off
.LBB11_6:
	s_endpgm
	.section	.rodata,"a",@progbits
	.p2align	6, 0x0
	.amdhsa_kernel _ZL33flash_attn_stream_k_fixup_uniformILi80ELi2ELi8EEvPfPK15HIP_vector_typeIfLj2EEiiiiiiS1_IjLj3EES5_S5_
		.amdhsa_group_segment_fixed_size 0
		.amdhsa_private_segment_fixed_size 0
		.amdhsa_kernarg_size 76
		.amdhsa_user_sgpr_count 2
		.amdhsa_user_sgpr_dispatch_ptr 0
		.amdhsa_user_sgpr_queue_ptr 0
		.amdhsa_user_sgpr_kernarg_segment_ptr 1
		.amdhsa_user_sgpr_dispatch_id 0
		.amdhsa_user_sgpr_kernarg_preload_length 0
		.amdhsa_user_sgpr_kernarg_preload_offset 0
		.amdhsa_user_sgpr_private_segment_size 0
		.amdhsa_uses_dynamic_stack 0
		.amdhsa_enable_private_segment 0
		.amdhsa_system_sgpr_workgroup_id_x 1
		.amdhsa_system_sgpr_workgroup_id_y 1
		.amdhsa_system_sgpr_workgroup_id_z 1
		.amdhsa_system_sgpr_workgroup_info 0
		.amdhsa_system_vgpr_workitem_id 0
		.amdhsa_next_free_vgpr 16
		.amdhsa_next_free_sgpr 20
		.amdhsa_accum_offset 16
		.amdhsa_reserve_vcc 1
		.amdhsa_float_round_mode_32 0
		.amdhsa_float_round_mode_16_64 0
		.amdhsa_float_denorm_mode_32 3
		.amdhsa_float_denorm_mode_16_64 3
		.amdhsa_dx10_clamp 1
		.amdhsa_ieee_mode 1
		.amdhsa_fp16_overflow 0
		.amdhsa_tg_split 0
		.amdhsa_exception_fp_ieee_invalid_op 0
		.amdhsa_exception_fp_denorm_src 0
		.amdhsa_exception_fp_ieee_div_zero 0
		.amdhsa_exception_fp_ieee_overflow 0
		.amdhsa_exception_fp_ieee_underflow 0
		.amdhsa_exception_fp_ieee_inexact 0
		.amdhsa_exception_int_div_zero 0
	.end_amdhsa_kernel
	.section	.text._ZL33flash_attn_stream_k_fixup_uniformILi80ELi2ELi8EEvPfPK15HIP_vector_typeIfLj2EEiiiiiiS1_IjLj3EES5_S5_,"axG",@progbits,_ZL33flash_attn_stream_k_fixup_uniformILi80ELi2ELi8EEvPfPK15HIP_vector_typeIfLj2EEiiiiiiS1_IjLj3EES5_S5_,comdat
.Lfunc_end11:
	.size	_ZL33flash_attn_stream_k_fixup_uniformILi80ELi2ELi8EEvPfPK15HIP_vector_typeIfLj2EEiiiiiiS1_IjLj3EES5_S5_, .Lfunc_end11-_ZL33flash_attn_stream_k_fixup_uniformILi80ELi2ELi8EEvPfPK15HIP_vector_typeIfLj2EEiiiiiiS1_IjLj3EES5_S5_
                                        ; -- End function
	.section	.AMDGPU.csdata,"",@progbits
; Kernel info:
; codeLenInByte = 836
; NumSgprs: 26
; NumVgprs: 16
; NumAgprs: 0
; TotalNumVgprs: 16
; ScratchSize: 0
; MemoryBound: 0
; FloatMode: 240
; IeeeMode: 1
; LDSByteSize: 0 bytes/workgroup (compile time only)
; SGPRBlocks: 3
; VGPRBlocks: 1
; NumSGPRsForWavesPerEU: 26
; NumVGPRsForWavesPerEU: 16
; AccumOffset: 16
; Occupancy: 8
; WaveLimiterHint : 0
; COMPUTE_PGM_RSRC2:SCRATCH_EN: 0
; COMPUTE_PGM_RSRC2:USER_SGPR: 2
; COMPUTE_PGM_RSRC2:TRAP_HANDLER: 0
; COMPUTE_PGM_RSRC2:TGID_X_EN: 1
; COMPUTE_PGM_RSRC2:TGID_Y_EN: 1
; COMPUTE_PGM_RSRC2:TGID_Z_EN: 1
; COMPUTE_PGM_RSRC2:TIDIG_COMP_CNT: 0
; COMPUTE_PGM_RSRC3_GFX90A:ACCUM_OFFSET: 3
; COMPUTE_PGM_RSRC3_GFX90A:TG_SPLIT: 0
	.section	.text._ZL33flash_attn_stream_k_fixup_generalILi80ELi2ELi8EEvPfPK15HIP_vector_typeIfLj2EEiiiiS1_IjLj3EES5_S5_S5_,"axG",@progbits,_ZL33flash_attn_stream_k_fixup_generalILi80ELi2ELi8EEvPfPK15HIP_vector_typeIfLj2EEiiiiS1_IjLj3EES5_S5_S5_,comdat
	.globl	_ZL33flash_attn_stream_k_fixup_generalILi80ELi2ELi8EEvPfPK15HIP_vector_typeIfLj2EEiiiiS1_IjLj3EES5_S5_S5_ ; -- Begin function _ZL33flash_attn_stream_k_fixup_generalILi80ELi2ELi8EEvPfPK15HIP_vector_typeIfLj2EEiiiiS1_IjLj3EES5_S5_S5_
	.p2align	8
	.type	_ZL33flash_attn_stream_k_fixup_generalILi80ELi2ELi8EEvPfPK15HIP_vector_typeIfLj2EEiiiiS1_IjLj3EES5_S5_S5_,@function
_ZL33flash_attn_stream_k_fixup_generalILi80ELi2ELi8EEvPfPK15HIP_vector_typeIfLj2EEiiiiS1_IjLj3EES5_S5_S5_: ; @_ZL33flash_attn_stream_k_fixup_generalILi80ELi2ELi8EEvPfPK15HIP_vector_typeIfLj2EEiiiiS1_IjLj3EES5_S5_S5_
; %bb.0:
	s_load_dwordx4 s[12:15], s[0:1], 0x10
	s_load_dword s22, s[0:1], 0x50
	s_mov_b32 s8, 0
	s_waitcnt lgkmcnt(0)
	s_mul_hi_i32 s9, s15, s2
	s_cmp_lg_u64 s[8:9], 0
	s_mul_i32 s5, s15, s2
	s_cbranch_scc0 .LBB12_21
; %bb.1:
	v_cvt_f32_u32_e32 v1, s22
	v_cvt_f32_ubyte0_e32 v2, 0
	s_sub_u32 s8, 0, s22
	s_subb_u32 s10, 0, 0
	v_fmamk_f32 v1, v2, 0x4f800000, v1
	v_rcp_f32_e32 v1, v1
	s_nop 0
	v_mul_f32_e32 v1, 0x5f7ffffc, v1
	v_mul_f32_e32 v2, 0x2f800000, v1
	v_trunc_f32_e32 v2, v2
	v_fmamk_f32 v1, v2, 0xcf800000, v1
	v_cvt_u32_f32_e32 v2, v2
	v_cvt_u32_f32_e32 v1, v1
	v_readfirstlane_b32 s11, v2
	v_readfirstlane_b32 s16, v1
	s_mul_i32 s17, s8, s11
	s_mul_hi_u32 s19, s8, s16
	s_mul_i32 s18, s10, s16
	s_add_i32 s17, s19, s17
	s_add_i32 s17, s17, s18
	s_mul_i32 s20, s8, s16
	s_mul_hi_u32 s18, s16, s17
	s_mul_i32 s19, s16, s17
	s_mul_hi_u32 s16, s16, s20
	s_add_u32 s16, s16, s19
	s_addc_u32 s18, 0, s18
	s_mul_hi_u32 s21, s11, s20
	s_mul_i32 s20, s11, s20
	s_add_u32 s16, s16, s20
	s_mul_hi_u32 s19, s11, s17
	s_addc_u32 s16, s18, s21
	s_addc_u32 s18, s19, 0
	s_mul_i32 s17, s11, s17
	s_add_u32 s16, s16, s17
	s_addc_u32 s17, 0, s18
	v_add_co_u32_e32 v1, vcc, s16, v1
	s_cmp_lg_u64 vcc, 0
	s_addc_u32 s11, s11, s17
	v_readfirstlane_b32 s17, v1
	s_mul_i32 s16, s8, s11
	s_mul_hi_u32 s18, s8, s17
	s_add_i32 s16, s18, s16
	s_mul_i32 s10, s10, s17
	s_add_i32 s16, s16, s10
	s_mul_i32 s8, s8, s17
	s_mul_hi_u32 s18, s11, s8
	s_mul_i32 s19, s11, s8
	s_mul_i32 s21, s17, s16
	s_mul_hi_u32 s8, s17, s8
	s_mul_hi_u32 s20, s17, s16
	s_add_u32 s8, s8, s21
	s_addc_u32 s17, 0, s20
	s_add_u32 s8, s8, s19
	s_mul_hi_u32 s10, s11, s16
	s_addc_u32 s8, s17, s18
	s_addc_u32 s10, s10, 0
	s_mul_i32 s16, s11, s16
	s_add_u32 s8, s8, s16
	s_addc_u32 s10, 0, s10
	v_add_co_u32_e32 v1, vcc, s8, v1
	s_cmp_lg_u64 vcc, 0
	s_addc_u32 s16, s11, s10
	s_ashr_i32 s10, s9, 31
	s_add_u32 s8, s5, s10
	s_mov_b32 s11, s10
	s_addc_u32 s9, s9, s10
	s_xor_b64 s[8:9], s[8:9], s[10:11]
	v_readfirstlane_b32 s19, v1
	s_mul_i32 s18, s8, s16
	s_mul_hi_u32 s20, s8, s19
	s_mul_hi_u32 s17, s8, s16
	s_add_u32 s18, s20, s18
	s_addc_u32 s17, 0, s17
	s_mul_hi_u32 s21, s9, s19
	s_mul_i32 s19, s9, s19
	s_add_u32 s18, s18, s19
	s_mul_hi_u32 s20, s9, s16
	s_addc_u32 s17, s17, s21
	s_addc_u32 s18, s20, 0
	s_mul_i32 s16, s9, s16
	s_add_u32 s16, s17, s16
	s_addc_u32 s17, 0, s18
	s_add_u32 s18, s16, 1
	s_addc_u32 s19, s17, 0
	s_add_u32 s20, s16, 2
	s_mul_i32 s23, s22, s17
	s_mul_hi_u32 s24, s22, s16
	s_addc_u32 s21, s17, 0
	s_add_i32 s24, s24, s23
	s_mul_i32 s23, s22, s16
	v_mov_b32_e32 v1, s23
	v_sub_co_u32_e32 v1, vcc, s8, v1
	s_cmp_lg_u64 vcc, 0
	s_subb_u32 s8, s9, s24
	v_subrev_co_u32_e32 v2, vcc, s22, v1
	s_cmp_lg_u64 vcc, 0
	s_subb_u32 s9, s8, 0
	v_readfirstlane_b32 s23, v2
	s_cmp_ge_u32 s23, s22
	s_cselect_b32 s23, -1, 0
	s_cmp_eq_u32 s9, 0
	s_cselect_b32 s9, s23, -1
	s_cmp_lg_u32 s9, 0
	s_cselect_b32 s9, s21, s19
	v_readfirstlane_b32 s19, v1
	s_cselect_b32 s18, s20, s18
	s_cmp_ge_u32 s19, s22
	s_cselect_b32 s19, -1, 0
	s_cmp_eq_u32 s8, 0
	s_cselect_b32 s8, s19, -1
	s_cmp_lg_u32 s8, 0
	s_cselect_b32 s9, s9, s17
	s_cselect_b32 s8, s18, s16
	s_xor_b64 s[8:9], s[8:9], s[10:11]
	s_sub_u32 s20, s8, s10
	s_load_dwordx4 s[16:19], s[0:1], 0x44
	s_cbranch_execnz .LBB12_3
.LBB12_2:
	v_cvt_f32_u32_e32 v1, s22
	s_sub_i32 s6, 0, s22
	v_rcp_iflag_f32_e32 v1, v1
	s_nop 0
	v_mul_f32_e32 v1, 0x4f7ffffe, v1
	v_cvt_u32_f32_e32 v1, v1
	s_nop 0
	v_readfirstlane_b32 s7, v1
	s_mul_i32 s6, s6, s7
	s_mul_hi_u32 s6, s7, s6
	s_add_i32 s7, s7, s6
	s_mul_hi_u32 s6, s5, s7
	s_mul_i32 s8, s6, s22
	s_sub_i32 s5, s5, s8
	s_add_i32 s7, s6, 1
	s_sub_i32 s8, s5, s22
	s_cmp_ge_u32 s5, s22
	s_cselect_b32 s6, s7, s6
	s_cselect_b32 s5, s8, s5
	s_add_i32 s7, s6, 1
	s_cmp_ge_u32 s5, s22
	s_cselect_b32 s20, s7, s6
.LBB12_3:
	s_add_i32 s5, s2, 1
	s_mul_hi_i32 s9, s15, s5
	s_mov_b32 s8, 0
	s_cmp_lg_u64 s[8:9], 0
	s_mul_i32 s5, s15, s5
	s_cbranch_scc0 .LBB12_22
; %bb.4:
	v_cvt_f32_u32_e32 v1, s22
	v_cvt_f32_ubyte0_e32 v2, 0
	s_sub_u32 s8, 0, s22
	s_subb_u32 s10, 0, 0
	v_fmamk_f32 v1, v2, 0x4f800000, v1
	v_rcp_f32_e32 v1, v1
	s_nop 0
	v_mul_f32_e32 v1, 0x5f7ffffc, v1
	v_mul_f32_e32 v2, 0x2f800000, v1
	v_trunc_f32_e32 v2, v2
	v_fmamk_f32 v1, v2, 0xcf800000, v1
	v_cvt_u32_f32_e32 v2, v2
	v_cvt_u32_f32_e32 v1, v1
	v_readfirstlane_b32 s11, v2
	s_waitcnt lgkmcnt(0)
	v_readfirstlane_b32 s19, v1
	s_mul_i32 s21, s8, s11
	s_mul_hi_u32 s24, s8, s19
	s_mul_i32 s23, s10, s19
	s_add_i32 s21, s24, s21
	s_add_i32 s21, s21, s23
	s_mul_i32 s25, s8, s19
	s_mul_hi_u32 s23, s19, s21
	s_mul_i32 s24, s19, s21
	s_mul_hi_u32 s19, s19, s25
	s_add_u32 s19, s19, s24
	s_addc_u32 s23, 0, s23
	s_mul_hi_u32 s26, s11, s25
	s_mul_i32 s25, s11, s25
	s_add_u32 s19, s19, s25
	s_mul_hi_u32 s24, s11, s21
	s_addc_u32 s19, s23, s26
	s_addc_u32 s23, s24, 0
	s_mul_i32 s21, s11, s21
	s_add_u32 s19, s19, s21
	s_addc_u32 s21, 0, s23
	v_add_co_u32_e32 v1, vcc, s19, v1
	s_cmp_lg_u64 vcc, 0
	s_addc_u32 s11, s11, s21
	v_readfirstlane_b32 s21, v1
	s_mul_i32 s19, s8, s11
	s_mul_hi_u32 s23, s8, s21
	s_add_i32 s19, s23, s19
	s_mul_i32 s10, s10, s21
	s_add_i32 s19, s19, s10
	s_mul_i32 s8, s8, s21
	s_mul_hi_u32 s23, s11, s8
	s_mul_i32 s24, s11, s8
	s_mul_i32 s26, s21, s19
	s_mul_hi_u32 s8, s21, s8
	s_mul_hi_u32 s25, s21, s19
	s_add_u32 s8, s8, s26
	s_addc_u32 s21, 0, s25
	s_add_u32 s8, s8, s24
	s_mul_hi_u32 s10, s11, s19
	s_addc_u32 s8, s21, s23
	s_addc_u32 s10, s10, 0
	s_mul_i32 s19, s11, s19
	s_add_u32 s8, s8, s19
	s_addc_u32 s10, 0, s10
	v_add_co_u32_e32 v1, vcc, s8, v1
	s_cmp_lg_u64 vcc, 0
	s_addc_u32 s19, s11, s10
	s_ashr_i32 s10, s9, 31
	s_add_u32 s8, s5, s10
	s_mov_b32 s11, s10
	s_addc_u32 s9, s9, s10
	s_xor_b64 s[8:9], s[8:9], s[10:11]
	v_readfirstlane_b32 s23, v1
	s_mul_i32 s21, s8, s19
	s_mul_hi_u32 s24, s8, s23
	s_mul_hi_u32 s11, s8, s19
	s_add_u32 s21, s24, s21
	s_addc_u32 s11, 0, s11
	s_mul_hi_u32 s25, s9, s23
	s_mul_i32 s23, s9, s23
	s_add_u32 s21, s21, s23
	s_mul_hi_u32 s24, s9, s19
	s_addc_u32 s11, s11, s25
	s_addc_u32 s21, s24, 0
	s_mul_i32 s19, s9, s19
	s_add_u32 s11, s11, s19
	s_addc_u32 s19, 0, s21
	s_mul_i32 s19, s22, s19
	s_mul_hi_u32 s24, s22, s11
	s_add_i32 s24, s24, s19
	s_mul_i32 s19, s22, s11
	v_mov_b32_e32 v1, s19
	s_add_u32 s21, s11, 1
	s_add_u32 s23, s11, 2
	v_sub_co_u32_e32 v1, vcc, s8, v1
	s_cmp_lg_u64 vcc, 0
	s_subb_u32 s8, s9, s24
	v_subrev_co_u32_e32 v2, vcc, s22, v1
	s_cmp_lg_u64 vcc, 0
	s_subb_u32 s9, s8, 0
	v_cmp_le_u32_e32 vcc, s22, v2
	s_cmp_eq_u32 s9, 0
	v_mov_b32_e32 v3, s21
	v_cndmask_b32_e64 v2, 0, -1, vcc
	s_cselect_b64 vcc, -1, 0
	v_cndmask_b32_e32 v2, -1, v2, vcc
	v_mov_b32_e32 v4, s23
	v_cmp_ne_u32_e32 vcc, 0, v2
	s_cmp_eq_u32 s8, 0
	s_nop 0
	v_cndmask_b32_e32 v2, v3, v4, vcc
	v_cmp_le_u32_e32 vcc, s22, v1
	v_mov_b32_e32 v3, s11
	s_nop 0
	v_cndmask_b32_e64 v1, 0, -1, vcc
	s_cselect_b64 vcc, -1, 0
	v_cndmask_b32_e32 v1, -1, v1, vcc
	v_cmp_ne_u32_e32 vcc, 0, v1
	s_nop 1
	v_cndmask_b32_e32 v1, v3, v2, vcc
	v_xor_b32_e32 v1, s10, v1
	v_subrev_co_u32_e32 v2, vcc, s10, v1
	s_cbranch_execnz .LBB12_6
.LBB12_5:
	v_cvt_f32_u32_e32 v1, s22
	s_sub_i32 s6, 0, s22
	s_mov_b32 s7, 0
	v_rcp_iflag_f32_e32 v1, v1
	s_nop 0
	v_mul_f32_e32 v1, 0x4f7ffffe, v1
	v_cvt_u32_f32_e32 v1, v1
	s_nop 0
	v_readfirstlane_b32 s8, v1
	s_mul_i32 s6, s6, s8
	s_mul_hi_u32 s6, s8, s6
	s_add_i32 s8, s8, s6
	s_mul_hi_u32 s6, s5, s8
	s_mul_i32 s9, s6, s22
	s_sub_i32 s5, s5, s9
	s_add_i32 s8, s6, 1
	s_sub_i32 s9, s5, s22
	s_cmp_ge_u32 s5, s22
	s_cselect_b32 s6, s8, s6
	s_cselect_b32 s5, s9, s5
	s_add_i32 s8, s6, 1
	s_cmp_ge_u32 s5, s22
	s_cselect_b32 s6, s8, s6
	v_mov_b64_e32 v[2:3], s[6:7]
.LBB12_6:
	s_waitcnt lgkmcnt(0)
	s_mul_hi_u32 s5, s20, s16
	s_add_i32 s5, s5, s20
	v_mul_hi_u32 v1, v2, s16
	s_lshr_b32 s19, s5, s17
	v_add_u32_e32 v1, v1, v2
	s_mul_i32 s5, s19, s18
	v_lshrrev_b32_e32 v1, s17, v1
	s_cmp_eq_u32 s5, s20
	v_cmp_eq_u32_e64 s[6:7], s19, v1
	v_mul_lo_u32 v1, v1, s18
	v_cmp_eq_u32_e32 vcc, s20, v2
	s_cselect_b64 s[10:11], -1, 0
	v_cmp_ne_u32_e64 s[8:9], v1, v2
	s_and_b64 s[6:7], s[6:7], s[8:9]
	s_or_b64 s[8:9], vcc, s[10:11]
	s_or_b64 s[6:7], s[8:9], s[6:7]
	s_and_b64 vcc, exec, s[6:7]
	s_cbranch_vccnz .LBB12_24
; %bb.7:
	s_load_dwordx8 s[24:31], s[0:1], 0x20
	s_load_dword s5, s[0:1], 0x40
	s_waitcnt lgkmcnt(0)
	s_mul_hi_u32 s6, s20, s24
	s_add_i32 s6, s6, s20
	s_lshr_b32 s7, s6, s25
	s_mul_i32 s6, s7, s26
	s_sub_i32 s6, s20, s6
	s_mul_hi_u32 s8, s6, s27
	s_add_i32 s8, s6, s8
	s_lshr_b32 s23, s8, s28
	s_mul_i32 s8, s23, s29
	s_sub_i32 s6, s6, s8
	;; [unrolled: 5-line block ×3, first 2 shown]
	s_mul_hi_u32 s6, s5, s16
	s_add_i32 s5, s5, s6
	s_lshr_b32 s24, s5, s17
	s_lshl_b32 s5, s24, 1
	s_lshl_b32 s25, s8, 3
	s_add_i32 s5, s5, s3
	s_cmp_lt_i32 s5, s12
	s_cselect_b64 s[8:9], -1, 0
	s_add_i32 s25, s25, s4
	s_cmp_lt_i32 s25, s14
	s_cselect_b64 s[10:11], -1, 0
	s_and_b64 s[8:9], s[8:9], s[10:11]
	s_andn2_b64 vcc, exec, s[8:9]
	s_mov_b32 s6, 0
	s_cbranch_vccnz .LBB12_24
; %bb.8:
	s_load_dwordx4 s[8:11], s[0:1], 0x0
	s_lshl_b32 s21, s3, 3
	s_lshl_b32 s0, s22, 6
	s_mov_b32 s1, s6
	s_add_i32 s21, s21, s4
	s_lshl_b64 s[0:1], s[0:1], 2
	s_waitcnt lgkmcnt(0)
	s_add_u32 s4, s10, s0
	s_mul_i32 s0, s7, s12
	s_addc_u32 s5, s11, s1
	s_mul_i32 s23, s23, s14
	s_add_i32 s0, s0, s3
	s_mul_i32 s0, s0, s13
	s_add_i32 s3, s25, s23
	;; [unrolled: 2-line block ×3, first 2 shown]
	s_mulk_i32 s1, 0xa0
	s_mulk_i32 s0, 0x50
	s_add_i32 s1, s1, s0
	v_add_u32_e32 v4, s1, v0
	v_mov_b32_e32 v2, s8
	v_mov_b32_e32 v3, s9
	v_ashrrev_i32_e32 v5, 31, v4
	v_lshl_add_u64 v[2:3], v[4:5], 2, v[2:3]
	global_load_dword v5, v[2:3], off
	s_lshl_b32 s0, s2, 4
	s_add_i32 s0, s21, s0
	s_ashr_i32 s1, s0, 31
	s_lshl_b64 s[0:1], s[0:1], 3
	s_add_u32 s0, s10, s0
	s_addc_u32 s1, s11, s1
	s_add_i32 s12, s2, -1
	s_mul_i32 s2, s21, 0x50
	v_add_u32_e32 v4, s2, v0
	v_cvt_f32_u32_e32 v0, s22
	v_cvt_f32_ubyte0_e32 v1, 0
	s_load_dwordx2 s[0:1], s[0:1], 0x0
	v_mov_b32_e32 v8, s20
	v_fmac_f32_e32 v0, 0x4f800000, v1
	v_rcp_f32_e32 v0, v0
	v_cvt_f32_u32_e32 v1, s22
	s_waitcnt lgkmcnt(0)
	v_mov_b32_e32 v6, s1
	v_mov_b32_e32 v7, s0
	v_mul_f32_e32 v0, 0x5f7ffffc, v0
	v_rcp_iflag_f32_e32 v1, v1
	v_mul_f32_e32 v9, 0x2f800000, v0
	v_trunc_f32_e32 v10, v9
	v_fmac_f32_e32 v0, 0xcf800000, v10
	v_cvt_u32_f32_e32 v9, v0
	v_mul_f32_e32 v0, 0x4f7ffffe, v1
	v_cvt_u32_f32_e32 v10, v10
	v_cvt_u32_f32_e32 v11, v0
	s_mov_b32 s8, 0x3fb8aa3b
	s_mov_b32 s9, 0xc2ce8ed0
	;; [unrolled: 1-line block ×4, first 2 shown]
	v_mov_b32_e32 v12, 0x7f800000
	s_mul_hi_i32 s7, s12, s15
	s_cmp_lg_u64 s[6:7], 0
	s_mul_i32 s2, s12, s15
	s_cbranch_scc0 .LBB12_15
.LBB12_9:
	s_sub_u32 s0, 0, s22
	v_readfirstlane_b32 s3, v9
	v_readfirstlane_b32 s24, v10
	s_subb_u32 s1, 0, 0
	s_mul_hi_u32 s23, s0, s3
	s_mul_i32 s25, s0, s24
	s_mul_i32 s20, s1, s3
	s_add_i32 s23, s23, s25
	s_add_i32 s23, s23, s20
	s_mul_i32 s26, s0, s3
	s_mul_hi_u32 s20, s3, s23
	s_mul_i32 s25, s3, s23
	s_mul_hi_u32 s3, s3, s26
	s_add_u32 s3, s3, s25
	s_addc_u32 s20, 0, s20
	s_mul_hi_u32 s27, s24, s26
	s_mul_i32 s26, s24, s26
	s_add_u32 s3, s3, s26
	s_mul_hi_u32 s25, s24, s23
	s_addc_u32 s3, s20, s27
	s_addc_u32 s20, s25, 0
	s_mul_i32 s23, s24, s23
	s_add_u32 s3, s3, s23
	s_addc_u32 s20, 0, s20
	v_add_co_u32_e32 v0, vcc, s3, v9
	s_cmp_lg_u64 vcc, 0
	s_addc_u32 s3, s24, s20
	v_readfirstlane_b32 s23, v0
	s_mul_i32 s20, s0, s3
	s_mul_hi_u32 s24, s0, s23
	s_add_i32 s20, s24, s20
	s_mul_i32 s1, s1, s23
	s_add_i32 s20, s20, s1
	s_mul_i32 s0, s0, s23
	s_mul_hi_u32 s24, s3, s0
	s_mul_i32 s25, s3, s0
	s_mul_i32 s27, s23, s20
	s_mul_hi_u32 s0, s23, s0
	s_mul_hi_u32 s26, s23, s20
	s_add_u32 s0, s0, s27
	s_addc_u32 s23, 0, s26
	s_add_u32 s0, s0, s25
	s_mul_hi_u32 s1, s3, s20
	s_addc_u32 s0, s23, s24
	s_addc_u32 s1, s1, 0
	s_mul_i32 s20, s3, s20
	s_add_u32 s0, s0, s20
	s_addc_u32 s1, 0, s1
	v_add_co_u32_e32 v0, vcc, s0, v0
	s_cmp_lg_u64 vcc, 0
	s_addc_u32 s3, s3, s1
	s_ashr_i32 s0, s7, 31
	s_add_u32 s24, s2, s0
	s_mov_b32 s1, s0
	s_addc_u32 s25, s7, s0
	s_xor_b64 s[24:25], s[24:25], s[0:1]
	v_readfirstlane_b32 s20, v0
	s_mul_i32 s7, s24, s3
	s_mul_hi_u32 s23, s24, s20
	s_mul_hi_u32 s1, s24, s3
	s_add_u32 s7, s23, s7
	s_addc_u32 s1, 0, s1
	s_mul_hi_u32 s26, s25, s20
	s_mul_i32 s20, s25, s20
	s_add_u32 s7, s7, s20
	s_mul_hi_u32 s23, s25, s3
	s_addc_u32 s1, s1, s26
	s_addc_u32 s7, s23, 0
	s_mul_i32 s3, s25, s3
	s_add_u32 s1, s1, s3
	s_addc_u32 s3, 0, s7
	s_mul_i32 s3, s22, s3
	s_mul_hi_u32 s23, s22, s1
	s_add_i32 s23, s23, s3
	s_mul_i32 s3, s22, s1
	v_mov_b32_e32 v0, s3
	s_add_u32 s7, s1, 1
	s_add_u32 s20, s1, 2
	v_sub_co_u32_e32 v0, vcc, s24, v0
	s_cmp_lg_u64 vcc, 0
	s_subb_u32 s3, s25, s23
	v_subrev_co_u32_e32 v1, vcc, s22, v0
	s_cmp_lg_u64 vcc, 0
	s_subb_u32 s23, s3, 0
	v_cmp_le_u32_e32 vcc, s22, v1
	s_cmp_eq_u32 s23, 0
	v_mov_b32_e32 v13, s7
	v_cndmask_b32_e64 v1, 0, -1, vcc
	s_cselect_b64 vcc, -1, 0
	v_cndmask_b32_e32 v1, -1, v1, vcc
	v_mov_b32_e32 v14, s20
	v_cmp_ne_u32_e32 vcc, 0, v1
	s_cmp_eq_u32 s3, 0
	s_nop 0
	v_cndmask_b32_e32 v1, v13, v14, vcc
	v_cmp_le_u32_e32 vcc, s22, v0
	v_mov_b32_e32 v13, s1
	s_nop 0
	v_cndmask_b32_e64 v0, 0, -1, vcc
	s_cselect_b64 vcc, -1, 0
	v_cndmask_b32_e32 v0, -1, v0, vcc
	v_cmp_ne_u32_e32 vcc, 0, v0
	s_nop 1
	v_cndmask_b32_e32 v0, v13, v1, vcc
	v_xor_b32_e32 v0, s0, v0
	v_subrev_co_u32_e32 v0, vcc, s0, v0
	s_cbranch_execnz .LBB12_11
.LBB12_10:
	s_sub_i32 s0, 0, s22
	v_mul_lo_u32 v0, s0, v11
	v_mul_hi_u32 v0, v11, v0
	v_add_u32_e32 v0, v11, v0
	v_mul_hi_u32 v0, s2, v0
	v_mul_lo_u32 v13, v0, s22
	v_sub_u32_e32 v13, s2, v13
	v_add_u32_e32 v1, 1, v0
	v_subrev_u32_e32 v14, s22, v13
	v_cmp_le_u32_e32 vcc, s22, v13
	s_nop 1
	v_cndmask_b32_e32 v13, v13, v14, vcc
	v_cndmask_b32_e32 v0, v0, v1, vcc
	v_add_u32_e32 v1, 1, v0
	v_cmp_le_u32_e32 vcc, s22, v13
	s_nop 1
	v_cndmask_b32_e32 v0, v0, v1, vcc
.LBB12_11:
	v_cmp_ne_u32_e32 vcc, v8, v0
	s_cbranch_vccz .LBB12_14
; %bb.12:
	s_add_i32 s0, s12, s22
	s_lshl_b32 s0, s0, 4
	v_mul_hi_u32 v1, v0, s16
	s_add_i32 s0, s0, s21
	s_mov_b32 s1, s6
	v_add_u32_e32 v1, v1, v0
	s_lshl_b64 s[0:1], s[0:1], 3
	v_lshrrev_b32_e32 v1, s17, v1
	s_add_u32 s2, s10, s0
	v_mul_lo_u32 v13, v1, s18
	s_addc_u32 s3, s11, s1
	v_cmp_eq_u32_e32 vcc, v13, v0
	v_cmp_gt_u32_e64 s[0:1], s19, v1
	s_or_b64 s[0:1], s[0:1], vcc
	s_and_b64 vcc, exec, s[0:1]
	s_cbranch_vccnz .LBB12_16
; %bb.13:
	s_add_i32 s7, s12, -1
	s_mov_b64 s[0:1], 0
	s_branch .LBB12_17
.LBB12_14:
                                        ; implicit-def: $sgpr0_sgpr1
                                        ; implicit-def: $vgpr14
                                        ; implicit-def: $vgpr1
                                        ; implicit-def: $vgpr13
                                        ; implicit-def: $sgpr7
                                        ; implicit-def: $vgpr0
	s_branch .LBB12_18
.LBB12_15:
                                        ; implicit-def: $vgpr0_vgpr1
	s_branch .LBB12_10
.LBB12_16:
	s_mov_b64 s[0:1], -1
	s_mov_b32 s7, s12
	v_mov_b32_e32 v0, v8
.LBB12_17:
	s_mul_i32 s20, s12, 0x500
	v_add_u32_e32 v14, s20, v4
	v_ashrrev_i32_e32 v15, 31, v14
	v_lshl_add_u64 v[14:15], v[14:15], 2, s[4:5]
	global_load_dword v14, v[14:15], off
	s_load_dwordx2 s[2:3], s[2:3], 0x0
	v_max_f32_e32 v1, v7, v7
	s_waitcnt lgkmcnt(0)
	v_max_f32_e64 v13, s2, s2
	v_max_f32_e32 v1, v1, v13
	v_sub_f32_e32 v13, v7, v1
	v_sub_f32_e32 v15, s2, v1
	v_mul_f32_e32 v16, 0x3fb8aa3b, v13
	v_mul_f32_e32 v17, 0x3fb8aa3b, v15
	v_fma_f32 v18, v13, s8, -v16
	v_rndne_f32_e32 v19, v16
	v_fma_f32 v20, v15, s8, -v17
	v_rndne_f32_e32 v21, v17
	v_fmac_f32_e32 v18, 0x32a5705f, v13
	v_sub_f32_e32 v16, v16, v19
	v_fmac_f32_e32 v20, 0x32a5705f, v15
	v_sub_f32_e32 v17, v17, v21
	v_add_f32_e32 v16, v16, v18
	v_cvt_i32_f32_e32 v19, v19
	v_add_f32_e32 v17, v17, v20
	v_exp_f32_e32 v16, v16
	v_cvt_i32_f32_e32 v21, v21
	v_exp_f32_e32 v17, v17
	v_cmp_ngt_f32_e32 vcc, s9, v13
	v_ldexp_f32 v16, v16, v19
	v_ldexp_f32 v17, v17, v21
	v_cndmask_b32_e32 v16, 0, v16, vcc
	v_cmp_ngt_f32_e32 vcc, s9, v15
	s_nop 1
	v_cndmask_b32_e32 v17, 0, v17, vcc
	v_cmp_nlt_f32_e32 vcc, s13, v13
	s_nop 1
	v_cndmask_b32_e32 v16, v12, v16, vcc
	v_cmp_nlt_f32_e32 vcc, s13, v15
	s_nop 1
	v_cndmask_b32_e32 v17, v12, v17, vcc
	v_cmp_le_f32_e32 vcc, s14, v13
	s_nop 1
	v_cndmask_b32_e32 v16, 0, v16, vcc
	v_cmp_le_f32_e32 vcc, s14, v15
	s_nop 1
	v_cndmask_b32_e32 v15, 0, v17, vcc
	v_mul_f32_e32 v13, s3, v15
	v_fmac_f32_e32 v13, v6, v16
	s_waitcnt vmcnt(0)
	v_mul_f32_e32 v14, v14, v15
	v_fmac_f32_e32 v14, v5, v16
	s_cbranch_execnz .LBB12_19
.LBB12_18:
	s_add_i32 s7, s12, -1
	s_mov_b64 s[0:1], 0
	v_mov_b32_e32 v0, v8
	v_mov_b32_e32 v13, v6
	;; [unrolled: 1-line block ×3, first 2 shown]
	s_waitcnt vmcnt(0)
	v_mov_b32_e32 v14, v5
.LBB12_19:
	s_andn2_b64 vcc, exec, s[0:1]
	s_cbranch_vccz .LBB12_23
; %bb.20:
	v_mov_b32_e32 v8, v0
	s_mov_b32 s12, s7
	v_mov_b32_e32 v6, v13
	v_mov_b32_e32 v7, v1
	s_waitcnt vmcnt(0)
	v_mov_b32_e32 v5, v14
	s_mul_hi_i32 s7, s12, s15
	s_cmp_lg_u64 s[6:7], 0
	s_mul_i32 s2, s12, s15
	s_cbranch_scc1 .LBB12_9
	s_branch .LBB12_15
.LBB12_21:
                                        ; implicit-def: $sgpr20_sgpr21
	s_load_dwordx4 s[16:19], s[0:1], 0x44
	s_branch .LBB12_2
.LBB12_22:
                                        ; implicit-def: $vgpr2_vgpr3
	s_branch .LBB12_5
.LBB12_23:
	v_div_scale_f32 v0, s[0:1], v13, v13, v14
	v_rcp_f32_e32 v1, v0
	v_div_scale_f32 v4, vcc, v14, v13, v14
	s_waitcnt vmcnt(0)
	v_fma_f32 v5, -v0, v1, 1.0
	v_fmac_f32_e32 v1, v5, v1
	v_mul_f32_e32 v5, v4, v1
	v_fma_f32 v6, -v0, v5, v4
	v_fmac_f32_e32 v5, v6, v1
	v_fma_f32 v0, -v0, v5, v4
	v_div_fmas_f32 v0, v0, v1, v5
	v_div_fixup_f32 v0, v0, v13, v14
	global_store_dword v[2:3], v0, off
.LBB12_24:
	s_endpgm
	.section	.rodata,"a",@progbits
	.p2align	6, 0x0
	.amdhsa_kernel _ZL33flash_attn_stream_k_fixup_generalILi80ELi2ELi8EEvPfPK15HIP_vector_typeIfLj2EEiiiiS1_IjLj3EES5_S5_S5_
		.amdhsa_group_segment_fixed_size 0
		.amdhsa_private_segment_fixed_size 0
		.amdhsa_kernarg_size 336
		.amdhsa_user_sgpr_count 2
		.amdhsa_user_sgpr_dispatch_ptr 0
		.amdhsa_user_sgpr_queue_ptr 0
		.amdhsa_user_sgpr_kernarg_segment_ptr 1
		.amdhsa_user_sgpr_dispatch_id 0
		.amdhsa_user_sgpr_kernarg_preload_length 0
		.amdhsa_user_sgpr_kernarg_preload_offset 0
		.amdhsa_user_sgpr_private_segment_size 0
		.amdhsa_uses_dynamic_stack 0
		.amdhsa_enable_private_segment 0
		.amdhsa_system_sgpr_workgroup_id_x 1
		.amdhsa_system_sgpr_workgroup_id_y 1
		.amdhsa_system_sgpr_workgroup_id_z 1
		.amdhsa_system_sgpr_workgroup_info 0
		.amdhsa_system_vgpr_workitem_id 0
		.amdhsa_next_free_vgpr 22
		.amdhsa_next_free_sgpr 32
		.amdhsa_accum_offset 24
		.amdhsa_reserve_vcc 1
		.amdhsa_float_round_mode_32 0
		.amdhsa_float_round_mode_16_64 0
		.amdhsa_float_denorm_mode_32 3
		.amdhsa_float_denorm_mode_16_64 3
		.amdhsa_dx10_clamp 1
		.amdhsa_ieee_mode 1
		.amdhsa_fp16_overflow 0
		.amdhsa_tg_split 0
		.amdhsa_exception_fp_ieee_invalid_op 0
		.amdhsa_exception_fp_denorm_src 0
		.amdhsa_exception_fp_ieee_div_zero 0
		.amdhsa_exception_fp_ieee_overflow 0
		.amdhsa_exception_fp_ieee_underflow 0
		.amdhsa_exception_fp_ieee_inexact 0
		.amdhsa_exception_int_div_zero 0
	.end_amdhsa_kernel
	.section	.text._ZL33flash_attn_stream_k_fixup_generalILi80ELi2ELi8EEvPfPK15HIP_vector_typeIfLj2EEiiiiS1_IjLj3EES5_S5_S5_,"axG",@progbits,_ZL33flash_attn_stream_k_fixup_generalILi80ELi2ELi8EEvPfPK15HIP_vector_typeIfLj2EEiiiiS1_IjLj3EES5_S5_S5_,comdat
.Lfunc_end12:
	.size	_ZL33flash_attn_stream_k_fixup_generalILi80ELi2ELi8EEvPfPK15HIP_vector_typeIfLj2EEiiiiS1_IjLj3EES5_S5_S5_, .Lfunc_end12-_ZL33flash_attn_stream_k_fixup_generalILi80ELi2ELi8EEvPfPK15HIP_vector_typeIfLj2EEiiiiS1_IjLj3EES5_S5_S5_
                                        ; -- End function
	.section	.AMDGPU.csdata,"",@progbits
; Kernel info:
; codeLenInByte = 2868
; NumSgprs: 38
; NumVgprs: 22
; NumAgprs: 0
; TotalNumVgprs: 22
; ScratchSize: 0
; MemoryBound: 0
; FloatMode: 240
; IeeeMode: 1
; LDSByteSize: 0 bytes/workgroup (compile time only)
; SGPRBlocks: 4
; VGPRBlocks: 2
; NumSGPRsForWavesPerEU: 38
; NumVGPRsForWavesPerEU: 22
; AccumOffset: 24
; Occupancy: 8
; WaveLimiterHint : 0
; COMPUTE_PGM_RSRC2:SCRATCH_EN: 0
; COMPUTE_PGM_RSRC2:USER_SGPR: 2
; COMPUTE_PGM_RSRC2:TRAP_HANDLER: 0
; COMPUTE_PGM_RSRC2:TGID_X_EN: 1
; COMPUTE_PGM_RSRC2:TGID_Y_EN: 1
; COMPUTE_PGM_RSRC2:TGID_Z_EN: 1
; COMPUTE_PGM_RSRC2:TIDIG_COMP_CNT: 0
; COMPUTE_PGM_RSRC3_GFX90A:ACCUM_OFFSET: 5
; COMPUTE_PGM_RSRC3_GFX90A:TG_SPLIT: 0
	.section	.text._ZL15flash_attn_tileILi80ELi80ELi1ELi8ELb0EEvPKcS1_S1_S1_S1_PKiPfP15HIP_vector_typeIfLj2EEffffjfiS5_IjLj3EEiiiiiiiiiiiliiliiiiil,"axG",@progbits,_ZL15flash_attn_tileILi80ELi80ELi1ELi8ELb0EEvPKcS1_S1_S1_S1_PKiPfP15HIP_vector_typeIfLj2EEffffjfiS5_IjLj3EEiiiiiiiiiiiliiliiiiil,comdat
	.globl	_ZL15flash_attn_tileILi80ELi80ELi1ELi8ELb0EEvPKcS1_S1_S1_S1_PKiPfP15HIP_vector_typeIfLj2EEffffjfiS5_IjLj3EEiiiiiiiiiiiliiliiiiil ; -- Begin function _ZL15flash_attn_tileILi80ELi80ELi1ELi8ELb0EEvPKcS1_S1_S1_S1_PKiPfP15HIP_vector_typeIfLj2EEffffjfiS5_IjLj3EEiiiiiiiiiiiliiliiiiil
	.p2align	8
	.type	_ZL15flash_attn_tileILi80ELi80ELi1ELi8ELb0EEvPKcS1_S1_S1_S1_PKiPfP15HIP_vector_typeIfLj2EEffffjfiS5_IjLj3EEiiiiiiiiiiiliiliiiiil,@function
_ZL15flash_attn_tileILi80ELi80ELi1ELi8ELb0EEvPKcS1_S1_S1_S1_PKiPfP15HIP_vector_typeIfLj2EEffffjfiS5_IjLj3EEiiiiiiiiiiiliiliiiiil: ; @_ZL15flash_attn_tileILi80ELi80ELi1ELi8ELb0EEvPKcS1_S1_S1_S1_PKiPfP15HIP_vector_typeIfLj2EEffffjfiS5_IjLj3EEiiiiiiiiiiiliiliiiiil
; %bb.0:
	s_load_dwordx4 s[24:27], s[0:1], 0x5c
	s_load_dwordx2 s[28:29], s[0:1], 0x80
	s_mov_b64 s[30:31], 0
	s_waitcnt lgkmcnt(0)
	s_ashr_i32 s5, s27, 31
	s_lshr_b32 s5, s5, 29
	s_add_i32 s5, s27, s5
	s_ashr_i32 s5, s5, 3
	v_cvt_f32_u32_e32 v1, s5
	s_sub_i32 s6, 0, s5
	v_rcp_iflag_f32_e32 v1, v1
	s_nop 0
	v_mul_f32_e32 v1, 0x4f7ffffe, v1
	v_cvt_u32_f32_e32 v1, v1
	s_nop 0
	v_readfirstlane_b32 s7, v1
	s_mul_i32 s6, s6, s7
	s_mul_hi_u32 s6, s7, s6
	s_add_i32 s7, s7, s6
	s_mul_hi_u32 s6, s4, s7
	s_mul_i32 s7, s6, s5
	s_sub_i32 s7, s4, s7
	s_add_i32 s8, s6, 1
	s_sub_i32 s9, s7, s5
	s_cmp_ge_u32 s7, s5
	s_cselect_b32 s6, s8, s6
	s_cselect_b32 s7, s9, s7
	s_add_i32 s8, s6, 1
	s_cmp_ge_u32 s7, s5
	s_cselect_b32 s33, s8, s6
	s_abs_i32 s5, s29
	v_cvt_f32_u32_e32 v1, s5
	s_sub_i32 s8, 0, s5
	s_abs_i32 s7, s27
	s_lshl_b32 s6, s4, 3
	v_rcp_iflag_f32_e32 v1, v1
	s_xor_b32 s4, s27, s29
	s_ashr_i32 s4, s4, 31
	v_mul_f32_e32 v1, 0x4f7ffffe, v1
	v_cvt_u32_f32_e32 v1, v1
	s_nop 0
	v_readfirstlane_b32 s9, v1
	s_mul_i32 s8, s8, s9
	s_mul_hi_u32 s8, s9, s8
	s_add_i32 s9, s9, s8
	s_mul_hi_u32 s8, s7, s9
	s_mul_i32 s9, s8, s5
	s_sub_i32 s7, s7, s9
	s_add_i32 s10, s8, 1
	s_sub_i32 s9, s7, s5
	s_cmp_ge_u32 s7, s5
	s_cselect_b32 s8, s10, s8
	s_cselect_b32 s7, s9, s7
	s_add_i32 s9, s8, 1
	s_cmp_ge_u32 s7, s5
	s_cselect_b32 s5, s9, s8
	s_xor_b32 s5, s5, s4
	s_sub_i32 s35, s5, s4
	s_abs_i32 s34, s35
	v_cvt_f32_u32_e32 v1, s34
	s_load_dwordx16 s[8:23], s[0:1], 0x0
	s_load_dwordx2 s[4:5], s[0:1], 0xb8
	s_mul_i32 s7, s33, s27
	v_rcp_iflag_f32_e32 v1, v1
	s_waitcnt lgkmcnt(0)
	s_cmp_eq_u64 s[14:15], 0
	v_mul_f32_e32 v1, 0x4f7ffffe, v1
	v_cvt_u32_f32_e32 v1, v1
	s_nop 0
	v_readfirstlane_b32 s37, v1
	s_cbranch_scc1 .LBB13_2
; %bb.1:
	s_abs_i32 s4, s4
	v_cvt_f32_u32_e32 v1, s4
	s_sub_i32 s38, 0, s4
	s_abs_i32 s36, s33
	s_ashr_i32 s29, s33, 31
	v_rcp_iflag_f32_e32 v1, v1
	s_load_dwordx2 s[30:31], s[0:1], 0xc8
	v_mul_f32_e32 v1, 0x4f7ffffe, v1
	v_cvt_u32_f32_e32 v1, v1
	s_nop 0
	v_readfirstlane_b32 s39, v1
	s_mul_i32 s38, s38, s39
	s_mul_hi_u32 s38, s39, s38
	s_add_i32 s39, s39, s38
	s_mul_hi_u32 s38, s36, s39
	s_mul_i32 s38, s38, s4
	s_sub_i32 s36, s36, s38
	s_sub_i32 s38, s36, s4
	s_cmp_ge_u32 s36, s4
	s_cselect_b32 s36, s38, s36
	s_sub_i32 s38, s36, s4
	s_cmp_ge_u32 s36, s4
	s_cselect_b32 s4, s38, s36
	s_xor_b32 s4, s4, s29
	s_sub_i32 s4, s4, s29
	s_ashr_i32 s29, s4, 31
	s_waitcnt lgkmcnt(0)
	s_mul_i32 s31, s4, s31
	s_mul_hi_u32 s36, s4, s30
	s_add_i32 s31, s36, s31
	s_mul_i32 s29, s29, s30
	s_add_i32 s31, s31, s29
	s_mul_i32 s4, s4, s30
	s_add_u32 s30, s14, s4
	s_addc_u32 s31, s15, s31
.LBB13_2:
	v_bfe_u32 v1, v0, 10, 10
	v_lshrrev_b32_e32 v41, 3, v1
	v_and_b32_e32 v40, 0x3ff, v0
	v_add_u32_e32 v0, s2, v41
	s_sub_i32 s29, s6, s7
	v_and_b32_e32 v45, 7, v1
	v_cmp_gt_u32_e64 s[14:15], 20, v40
	v_mul_hi_u32 v2, s24, v0
	s_and_saveexec_b64 s[6:7], s[14:15]
	s_cbranch_execz .LBB13_4
; %bb.3:
	s_load_dwordx4 s[40:43], s[0:1], 0x70
	s_waitcnt lgkmcnt(0)
	s_mul_i32 s4, s33, s42
	s_ashr_i32 s36, s4, 31
	s_mul_i32 s24, s29, s41
	s_add_u32 s4, s8, s4
	s_addc_u32 s9, s9, s36
	s_ashr_i32 s36, s24, 31
	s_add_u32 s8, s4, s24
	v_mov_b32_e32 v3, s41
	s_addc_u32 s9, s9, s36
	s_ashr_i32 s4, s41, 31
	v_alignbit_b32 v3, s4, v3, 2
	v_mad_u64_u32 v[4:5], s[38:39], v3, v45, 0
	v_mov_b32_e32 v6, v5
	s_lshr_b32 s4, s4, 2
	v_add_u32_e32 v3, v0, v2
	v_mad_u64_u32 v[6:7], s[38:39], s4, v45, v[6:7]
	v_lshrrev_b32_e32 v3, s25, v3
	v_mov_b32_e32 v5, v6
	v_mul_lo_u32 v3, v3, s26
	s_ashr_i32 s4, s40, 31
	v_mov_b32_e32 v6, s40
	v_sub_u32_e32 v3, v0, v3
	v_alignbit_b32 v6, s4, v6, 2
	v_mad_u64_u32 v[6:7], s[38:39], v6, v3, 0
	v_mov_b32_e32 v8, v7
	s_lshr_b32 s4, s4, 2
	v_mad_u64_u32 v[8:9], s[38:39], s4, v3, v[8:9]
	v_mov_b32_e32 v7, v8
	v_lshl_add_u64 v[4:5], v[4:5], 2, s[8:9]
	v_lshl_add_u64 v[4:5], v[6:7], 2, v[4:5]
	v_lshlrev_b32_e32 v6, 4, v40
	v_mov_b32_e32 v7, 0
	v_lshl_add_u64 v[4:5], v[4:5], 0, v[6:7]
	global_load_dwordx4 v[4:7], v[4:5], off
	s_load_dword s4, s[0:1], 0x40
	v_mul_u32_u24_e32 v3, 40, v1
	s_waitcnt vmcnt(0) lgkmcnt(0)
	v_pk_mul_f32 v[4:5], v[4:5], s[4:5] op_sel_hi:[1,0]
	v_pk_mul_f32 v[6:7], v[6:7], s[4:5] op_sel_hi:[1,0]
	v_cvt_f16_f32_e32 v8, v5
	v_cvt_f16_f32_e32 v5, v7
	;; [unrolled: 1-line block ×4, first 2 shown]
	v_lshlrev_b32_e32 v7, 1, v40
	v_add_lshl_u32 v3, v3, v7, 2
	v_pack_b32_f16 v5, v6, v5
	v_pack_b32_f16 v4, v4, v8
	ds_write_b64 v3, v[4:5] offset:3264
.LBB13_4:
	s_or_b64 exec, exec, s[6:7]
	s_cmp_eq_u64 s[18:19], 0
	s_waitcnt lgkmcnt(0)
	s_barrier
	s_cbranch_scc1 .LBB13_6
; %bb.5:
	s_load_dword s4, s[0:1], 0xd0
	s_mov_b32 s7, 0
	s_waitcnt lgkmcnt(0)
	s_mul_i32 s4, s4, s33
	s_add_i32 s6, s4, s2
	s_lshl_b64 s[6:7], s[6:7], 2
	s_add_u32 s6, s18, s6
	s_addc_u32 s7, s19, s7
	s_load_dword s28, s[6:7], 0x0
.LBB13_6:
	s_lshl_b32 s36, s3, 5
	s_waitcnt lgkmcnt(0)
	s_cmp_lt_i32 s36, s28
	v_mbcnt_lo_u32_b32 v3, -1, 0
	s_cbranch_scc1 .LBB13_8
; %bb.7:
	v_mbcnt_hi_u32_b32 v51, -1, v3
	v_and_b32_e32 v4, 0x60, v51
	s_mov_b32 s4, 0
	v_add_u32_e32 v74, 32, v4
	v_xor_b32_e32 v75, 16, v51
	v_xor_b32_e32 v76, 8, v51
	;; [unrolled: 1-line block ×5, first 2 shown]
	s_mov_b64 s[6:7], 0
	s_mov_b32 s8, 0xfeffffff
	s_branch .LBB13_9
.LBB13_8:
	s_mov_b64 s[6:7], -1
                                        ; implicit-def: $sgpr8
                                        ; implicit-def: $sgpr4
                                        ; implicit-def: $vgpr51
                                        ; implicit-def: $vgpr74
                                        ; implicit-def: $vgpr75
                                        ; implicit-def: $vgpr76
                                        ; implicit-def: $vgpr77
                                        ; implicit-def: $vgpr78
                                        ; implicit-def: $vgpr79
.LBB13_9:
	s_andn2_b64 vcc, exec, s[6:7]
	v_mov_b32_e32 v60, s8
	v_mov_b32_e32 v80, s4
	;; [unrolled: 1-line block ×4, first 2 shown]
	s_cbranch_vccnz .LBB13_29
; %bb.10:
	s_load_dwordx2 s[6:7], s[0:1], 0x8c
	s_load_dwordx4 s[40:43], s[0:1], 0x98
	s_sub_i32 s4, 0, s34
	s_mul_i32 s4, s4, s37
	s_mul_hi_u32 s4, s37, s4
	s_ashr_i32 s24, s35, 31
	s_waitcnt lgkmcnt(0)
	s_ashr_i32 s38, s6, 2
	s_ashr_i32 s6, s5, 1
	;; [unrolled: 1-line block ×3, first 2 shown]
	s_mul_i32 s35, s33, s41
	s_mul_hi_u32 s39, s33, s40
	s_abs_i32 s18, s29
	s_add_i32 s37, s37, s4
	s_add_i32 s35, s39, s35
	s_mul_i32 s39, s5, s40
	s_mul_hi_u32 s4, s18, s37
	s_ashr_i32 s19, s29, 31
	s_ashr_i32 s37, s42, 2
	s_add_i32 s35, s35, s39
	s_mul_i32 s39, s33, s40
	s_add_u32 s10, s10, s39
	s_addc_u32 s11, s11, s35
	s_xor_b32 s19, s19, s24
	s_mul_i32 s24, s4, s34
	s_sub_i32 s18, s18, s24
	s_add_i32 s24, s4, 1
	s_sub_i32 s35, s18, s34
	s_cmp_ge_u32 s18, s34
	s_cselect_b32 s4, s24, s4
	s_cselect_b32 s18, s35, s18
	s_add_i32 s24, s4, 1
	s_cmp_ge_u32 s18, s34
	s_load_dwordx2 s[8:9], s[0:1], 0xa8
	s_cselect_b32 s4, s24, s4
	s_xor_b32 s4, s4, s19
	s_sub_i32 s4, s4, s19
	s_mul_i32 s7, s4, s7
	s_ashr_i32 s18, s7, 31
	s_add_u32 s39, s10, s7
	s_waitcnt lgkmcnt(0)
	s_mul_i32 s7, s33, s9
	s_mul_hi_u32 s9, s33, s8
	s_addc_u32 s40, s11, s18
	s_add_i32 s7, s9, s7
	s_mul_i32 s5, s5, s8
	s_add_i32 s7, s7, s5
	s_mul_i32 s5, s33, s8
	s_add_u32 s5, s12, s5
	s_mul_i32 s4, s4, s43
	s_addc_u32 s7, s13, s7
	s_ashr_i32 s8, s4, 31
	s_add_u32 s41, s5, s4
	s_addc_u32 s42, s7, s8
	v_lshl_add_u32 v4, v1, 5, v40
	s_movk_i32 s7, 0x60
	v_add_u32_e32 v2, v0, v2
	v_cmp_gt_u32_e32 vcc, 32, v4
	v_mad_u32_u24 v65, v4, s7, 64
	v_mul_lo_u32 v42, s38, v4
	v_lshlrev_b32_e32 v4, 2, v40
	v_lshrrev_b32_e32 v2, s25, v2
	v_lshrrev_b32_e32 v5, 2, v40
	v_and_b32_e32 v44, 12, v4
	v_mul_lo_u32 v2, v2, s26
	v_lshl_add_u32 v5, v1, 3, v5
	v_lshlrev_b32_e32 v6, 2, v44
	v_sub_u32_e32 v0, v0, v2
	v_mad_u32_u24 v66, v5, s7, v6
	v_mad_u64_u32 v[50:51], s[6:7], v0, s6, v[40:41]
	v_mov_b32_e32 v0, 0x11c0
	v_lshl_add_u32 v67, v1, 6, v0
	v_lshrrev_b32_e32 v0, 1, v40
	v_lshl_add_u32 v0, v1, 4, v0
	v_lshrrev_b32_e32 v2, 3, v40
	v_mul_u32_u24_e32 v64, 0xa0, v1
	v_lshl_add_u32 v1, v1, 2, v2
	v_and_b32_e32 v52, 4, v4
	v_mul_u32_u24_e32 v2, 0xa0, v0
	v_and_b32_e32 v56, 28, v4
	s_movk_i32 s10, 0xa0
	v_mul_lo_u32 v48, s38, v5
	v_cmp_gt_u32_e64 s[6:7], 16, v0
	v_lshl_or_b32 v2, v52, 2, v2
	v_mul_lo_u32 v54, s37, v0
	v_lshlrev_b32_e32 v0, 2, v56
	v_mul_lo_u32 v58, s37, v1
	s_add_u32 s18, s0, 0xd0
	v_cmp_gt_u32_e64 s[4:5], 32, v5
	v_mul_u32_u24_e32 v61, 0x60, v40
	v_ashrrev_i32_e32 v43, 31, v42
	v_mov_b32_e32 v47, 0
	v_ashrrev_i32_e32 v49, 31, v48
	v_lshl_add_u32 v68, v40, 1, v67
	v_cmp_gt_u32_e64 s[8:9], 16, v1
	v_lshlrev_b32_e32 v69, 3, v40
	v_add_u32_e32 v70, 0x80, v2
	v_ashrrev_i32_e32 v55, 31, v54
	v_mad_u32_u24 v71, v1, s10, v0
	v_ashrrev_i32_e32 v59, 31, v58
	s_addc_u32 s19, s1, 0
	v_mov_b32_e32 v4, 0xfeffffff
	v_mbcnt_hi_u32_b32 v51, -1, v3
	s_mov_b32 s43, 0x3fb8aa3b
	s_mov_b32 s44, 0xc2ce8ed0
	;; [unrolled: 1-line block ×3, first 2 shown]
	v_mov_b32_e32 v72, 0x7f800000
	v_mov_b32_e32 v57, 0
	;; [unrolled: 1-line block ×4, first 2 shown]
.LBB13_11:                              ; =>This Inner Loop Header: Depth=1
	s_mul_hi_i32 s11, s36, s38
	s_mul_i32 s10, s36, s38
	s_lshl_b64 s[10:11], s[10:11], 2
	s_add_u32 s10, s39, s10
	s_addc_u32 s11, s40, s11
	v_lshl_add_u64 v[2:3], v[42:43], 2, s[10:11]
	s_and_saveexec_b64 s[12:13], vcc
	s_cbranch_execz .LBB13_13
; %bb.12:                               ;   in Loop: Header=BB13_11 Depth=1
	global_load_dwordx4 v[6:9], v[2:3], off offset:64
	s_waitcnt vmcnt(0)
	ds_write_b128 v65, v[6:9]
.LBB13_13:                              ;   in Loop: Header=BB13_11 Depth=1
	s_or_b64 exec, exec, s[12:13]
	v_lshl_add_u64 v[0:1], v[48:49], 2, s[10:11]
	v_lshlrev_b32_e32 v46, 2, v44
	s_and_saveexec_b64 s[10:11], s[4:5]
	s_cbranch_execz .LBB13_15
; %bb.14:                               ;   in Loop: Header=BB13_11 Depth=1
	v_lshl_add_u64 v[6:7], v[0:1], 0, v[46:47]
	global_load_dwordx4 v[6:9], v[6:7], off
	s_waitcnt vmcnt(0)
	ds_write_b128 v66, v[6:9]
.LBB13_15:                              ;   in Loop: Header=BB13_11 Depth=1
	s_or_b64 exec, exec, s[10:11]
	s_waitcnt lgkmcnt(0)
	s_barrier
	ds_read_b128 v[6:9], v61
	ds_read_b128 v[10:13], v64 offset:3264
	v_mov_b32_e32 v5, 0
	s_waitcnt lgkmcnt(0)
	;;#ASMSTART
	v_dot2_f32_f16 v5, v6, v10, v5
	;;#ASMEND
	s_nop 0
	;;#ASMSTART
	v_dot2_f32_f16 v5, v7, v11, v5
	;;#ASMEND
	s_nop 0
	;;#ASMSTART
	v_dot2_f32_f16 v5, v8, v12, v5
	;;#ASMEND
	s_nop 0
	;;#ASMSTART
	v_dot2_f32_f16 v5, v9, v13, v5
	;;#ASMEND
	ds_read_b128 v[6:9], v61 offset:16
	ds_read_b128 v[10:13], v64 offset:3280
	s_waitcnt lgkmcnt(0)
	;;#ASMSTART
	v_dot2_f32_f16 v5, v6, v10, v5
	;;#ASMEND
	s_nop 0
	;;#ASMSTART
	v_dot2_f32_f16 v5, v7, v11, v5
	;;#ASMEND
	s_nop 0
	;;#ASMSTART
	v_dot2_f32_f16 v5, v8, v12, v5
	;;#ASMEND
	s_nop 0
	;;#ASMSTART
	v_dot2_f32_f16 v5, v9, v13, v5
	;;#ASMEND
	ds_read_b128 v[6:9], v61 offset:32
	ds_read_b128 v[10:13], v64 offset:3296
	;; [unrolled: 18-line block ×4, first 2 shown]
	s_waitcnt lgkmcnt(0)
	;;#ASMSTART
	v_dot2_f32_f16 v5, v6, v10, v5
	;;#ASMEND
	s_nop 0
	;;#ASMSTART
	v_dot2_f32_f16 v5, v7, v11, v5
	;;#ASMEND
	s_nop 0
	;; [unrolled: 4-line block ×3, first 2 shown]
	;;#ASMSTART
	v_dot2_f32_f16 v5, v9, v13, v5
	;;#ASMEND
	s_barrier
	s_and_saveexec_b64 s[10:11], vcc
	s_cbranch_execz .LBB13_17
; %bb.16:                               ;   in Loop: Header=BB13_11 Depth=1
	global_load_dwordx4 v[6:9], v[2:3], off offset:144
	s_waitcnt vmcnt(0)
	ds_write_b128 v65, v[6:9]
.LBB13_17:                              ;   in Loop: Header=BB13_11 Depth=1
	s_or_b64 exec, exec, s[10:11]
	s_and_saveexec_b64 s[10:11], s[4:5]
	s_cbranch_execz .LBB13_19
; %bb.18:                               ;   in Loop: Header=BB13_11 Depth=1
	v_lshl_add_u64 v[0:1], v[0:1], 0, v[46:47]
	global_load_dwordx4 v[0:3], v[0:1], off offset:80
	s_waitcnt vmcnt(0)
	ds_write_b128 v66, v[0:3]
.LBB13_19:                              ;   in Loop: Header=BB13_11 Depth=1
	s_or_b64 exec, exec, s[10:11]
	s_waitcnt lgkmcnt(0)
	s_barrier
	ds_read_b128 v[0:3], v61
	ds_read_b128 v[6:9], v64 offset:3344
	v_add_u32_e32 v10, s36, v50
	s_waitcnt lgkmcnt(0)
	;;#ASMSTART
	v_dot2_f32_f16 v5, v0, v6, v5
	;;#ASMEND
	s_nop 0
	;;#ASMSTART
	v_dot2_f32_f16 v5, v1, v7, v5
	;;#ASMEND
	v_ashrrev_i32_e32 v11, 31, v10
	;;#ASMSTART
	v_dot2_f32_f16 v5, v2, v8, v5
	;;#ASMEND
	v_lshl_add_u64 v[10:11], v[10:11], 1, s[30:31]
	;;#ASMSTART
	v_dot2_f32_f16 v5, v3, v9, v5
	;;#ASMEND
	ds_read_b128 v[0:3], v61 offset:16
	ds_read_b128 v[6:9], v64 offset:3360
	s_waitcnt lgkmcnt(0)
	;;#ASMSTART
	v_dot2_f32_f16 v5, v0, v6, v5
	;;#ASMEND
	s_nop 0
	;;#ASMSTART
	v_dot2_f32_f16 v5, v1, v7, v5
	;;#ASMEND
	v_xor_b32_e32 v75, 16, v51
	;;#ASMSTART
	v_dot2_f32_f16 v5, v2, v8, v5
	;;#ASMEND
	v_xor_b32_e32 v76, 8, v51
	;;#ASMSTART
	v_dot2_f32_f16 v5, v3, v9, v5
	;;#ASMEND
	ds_read_b128 v[0:3], v61 offset:32
	ds_read_b128 v[6:9], v64 offset:3376
	s_waitcnt lgkmcnt(0)
	;;#ASMSTART
	v_dot2_f32_f16 v5, v0, v6, v5
	;;#ASMEND
	s_nop 0
	;;#ASMSTART
	v_dot2_f32_f16 v5, v1, v7, v5
	;;#ASMEND
	v_xor_b32_e32 v77, 4, v51
	;;#ASMSTART
	v_dot2_f32_f16 v5, v2, v8, v5
	;;#ASMEND
	v_xor_b32_e32 v78, 2, v51
	;;#ASMSTART
	v_dot2_f32_f16 v5, v3, v9, v5
	;;#ASMEND
	ds_read_b128 v[0:3], v61 offset:48
	ds_read_b128 v[6:9], v64 offset:3392
	s_waitcnt lgkmcnt(0)
	;;#ASMSTART
	v_dot2_f32_f16 v5, v0, v6, v5
	;;#ASMEND
	s_nop 0
	;;#ASMSTART
	v_dot2_f32_f16 v5, v1, v7, v5
	;;#ASMEND
	v_xor_b32_e32 v79, 1, v51
	;;#ASMSTART
	v_dot2_f32_f16 v5, v2, v8, v5
	;;#ASMEND
	v_lshlrev_b32_e32 v46, 2, v52
	;;#ASMSTART
	v_dot2_f32_f16 v5, v3, v9, v5
	;;#ASMEND
	ds_read_b128 v[0:3], v61 offset:64
	ds_read_b128 v[6:9], v64 offset:3408
	s_waitcnt lgkmcnt(0)
	;;#ASMSTART
	v_dot2_f32_f16 v5, v0, v6, v5
	;;#ASMEND
	s_nop 0
	;;#ASMSTART
	v_dot2_f32_f16 v5, v1, v7, v5
	;;#ASMEND
	v_max_f32_e32 v1, v4, v4
	;;#ASMSTART
	v_dot2_f32_f16 v5, v2, v8, v5
	;;#ASMEND
	v_and_b32_e32 v2, 0x60, v51
	;;#ASMSTART
	v_dot2_f32_f16 v5, v3, v9, v5
	;;#ASMEND
	flat_load_ushort v0, v[10:11]
	v_add_u32_e32 v74, 32, v2
	v_cmp_lt_i32_e64 s[10:11], v75, v74
	s_waitcnt lgkmcnt(0)
	s_barrier
	v_cndmask_b32_e64 v2, v51, v75, s[10:11]
	v_lshlrev_b32_e32 v2, 2, v2
	v_cmp_lt_i32_e64 s[10:11], v76, v74
	s_waitcnt vmcnt(0)
	v_cvt_f32_f16_e32 v0, v0
	v_add_f32_e32 v0, v5, v0
	v_add_f32_e32 v3, 0x40051340, v0
	v_max_f32_e32 v1, v1, v3
	ds_bpermute_b32 v2, v2, v1
	v_cndmask_b32_e64 v3, v51, v76, s[10:11]
	v_lshlrev_b32_e32 v3, 2, v3
	v_cmp_lt_i32_e64 s[10:11], v77, v74
	s_waitcnt lgkmcnt(0)
	v_max_f32_e32 v2, v2, v2
	v_max_f32_e32 v1, v1, v2
	ds_bpermute_b32 v2, v3, v1
	v_cndmask_b32_e64 v3, v51, v77, s[10:11]
	v_lshlrev_b32_e32 v3, 2, v3
	v_cmp_lt_i32_e64 s[10:11], v78, v74
	s_waitcnt lgkmcnt(0)
	v_max_f32_e32 v2, v2, v2
	;; [unrolled: 7-line block ×3, first 2 shown]
	v_max_f32_e32 v1, v1, v2
	ds_bpermute_b32 v2, v3, v1
	v_cndmask_b32_e64 v3, v51, v79, s[10:11]
	v_lshlrev_b32_e32 v3, 2, v3
	s_mul_hi_i32 s11, s36, s37
	s_mul_i32 s10, s36, s37
	s_waitcnt lgkmcnt(0)
	v_max_f32_e32 v2, v2, v2
	v_max_f32_e32 v1, v1, v2
	ds_bpermute_b32 v2, v3, v1
	s_lshl_b64 s[10:11], s[10:11], 2
	s_add_u32 s12, s41, s10
	s_addc_u32 s13, s42, s11
	s_waitcnt lgkmcnt(0)
	v_max_f32_e32 v2, v2, v2
	v_max_f32_e32 v60, v1, v2
	v_sub_f32_e32 v0, v0, v60
	v_mul_f32_e32 v1, 0x3fb8aa3b, v0
	v_fma_f32 v2, v0, s43, -v1
	v_rndne_f32_e32 v3, v1
	v_fmac_f32_e32 v2, 0x32a5705f, v0
	v_sub_f32_e32 v1, v1, v3
	v_add_f32_e32 v1, v1, v2
	v_cvt_i32_f32_e32 v3, v3
	v_exp_f32_e32 v1, v1
	v_cmp_ngt_f32_e64 s[10:11], s44, v0
	v_ldexp_f32 v1, v1, v3
	s_nop 0
	v_cndmask_b32_e64 v1, 0, v1, s[10:11]
	v_cmp_nlt_f32_e64 s[10:11], s45, v0
	s_nop 1
	v_cndmask_b32_e64 v80, v72, v1, s[10:11]
	v_cvt_f16_f32_e32 v0, v80
	ds_write_b16 v68, v0
	s_and_saveexec_b64 s[10:11], s[6:7]
	s_cbranch_execz .LBB13_21
; %bb.20:                               ;   in Loop: Header=BB13_11 Depth=1
	v_lshl_add_u64 v[0:1], v[54:55], 2, s[12:13]
	v_lshl_add_u64 v[0:1], v[0:1], 0, v[46:47]
	global_load_dwordx4 v[0:3], v[0:1], off offset:128
	s_waitcnt vmcnt(0)
	ds_write_b128 v70, v[0:3]
.LBB13_21:                              ;   in Loop: Header=BB13_11 Depth=1
	s_or_b64 exec, exec, s[10:11]
	v_lshlrev_b32_e32 v62, 2, v56
	s_and_saveexec_b64 s[10:11], s[8:9]
	s_cbranch_execz .LBB13_23
; %bb.22:                               ;   in Loop: Header=BB13_11 Depth=1
	v_lshl_add_u64 v[0:1], v[58:59], 2, s[12:13]
	v_mov_b32_e32 v63, v47
	v_lshl_add_u64 v[0:1], v[0:1], 0, v[62:63]
	global_load_dwordx4 v[0:3], v[0:1], off
	s_waitcnt vmcnt(0)
	ds_write_b128 v71, v[0:3]
.LBB13_23:                              ;   in Loop: Header=BB13_11 Depth=1
	s_or_b64 exec, exec, s[10:11]
	s_waitcnt lgkmcnt(0)
	s_barrier
	ds_read2_b64 v[28:31], v69 offset1:20
	ds_read_b128 v[8:11], v67
	ds_read_b128 v[0:3], v67 offset:16
	ds_read2_b64 v[36:39], v69 offset0:40 offset1:60
	ds_read2_b64 v[32:35], v69 offset0:80 offset1:100
	;; [unrolled: 1-line block ×5, first 2 shown]
	v_add_u32_e32 v82, 0x400, v69
	v_add_u32_e32 v81, 0x800, v69
	v_sub_f32_e32 v83, v4, v60
	ds_read2_b64 v[16:19], v82 offset0:112 offset1:132
	ds_read2_b64 v[4:7], v81 offset0:24 offset1:44
	s_or_b32 s24, s36, 16
	s_mul_hi_i32 s25, s24, s37
	s_mul_i32 s24, s24, s37
	s_lshl_b64 s[24:25], s[24:25], 2
	s_add_u32 s24, s41, s24
	v_cmp_ngt_f32_e64 s[10:11], s44, v83
	v_cmp_nlt_f32_e64 s[12:13], s45, v83
	s_addc_u32 s25, s42, s25
	s_waitcnt lgkmcnt(0)
	s_barrier
	s_and_saveexec_b64 s[34:35], s[6:7]
	s_cbranch_execz .LBB13_25
; %bb.24:                               ;   in Loop: Header=BB13_11 Depth=1
	v_lshl_add_u64 v[84:85], v[54:55], 2, s[24:25]
	v_lshl_add_u64 v[84:85], v[84:85], 0, v[46:47]
	global_load_dwordx4 v[84:87], v[84:85], off offset:128
	s_waitcnt vmcnt(0)
	ds_write_b128 v70, v[84:87]
.LBB13_25:                              ;   in Loop: Header=BB13_11 Depth=1
	s_or_b64 exec, exec, s[34:35]
	s_and_saveexec_b64 s[34:35], s[8:9]
	s_cbranch_execz .LBB13_27
; %bb.26:                               ;   in Loop: Header=BB13_11 Depth=1
	v_lshl_add_u64 v[84:85], v[58:59], 2, s[24:25]
	v_mov_b32_e32 v63, v47
	v_lshl_add_u64 v[62:63], v[84:85], 0, v[62:63]
	global_load_dwordx4 v[84:87], v[62:63], off
	s_waitcnt vmcnt(0)
	ds_write_b128 v71, v[84:87]
.LBB13_27:                              ;   in Loop: Header=BB13_11 Depth=1
	s_or_b64 exec, exec, s[34:35]
	v_mul_f32_e32 v46, 0x3fb8aa3b, v83
	v_fma_f32 v62, v83, s43, -v46
	v_rndne_f32_e32 v63, v46
	v_fmac_f32_e32 v62, 0x32a5705f, v83
	v_sub_f32_e32 v46, v46, v63
	v_add_f32_e32 v46, v46, v62
	v_cvt_i32_f32_e32 v62, v63
	v_exp_f32_e32 v46, v46
	v_pk_mul_f16 v28, v28, v8 op_sel_hi:[1,0]
	v_pk_mul_f16 v29, v29, v8 op_sel_hi:[1,0]
	s_waitcnt lgkmcnt(0)
	v_ldexp_f32 v46, v46, v62
	v_cndmask_b32_e64 v46, 0, v46, s[10:11]
	v_cndmask_b32_e64 v46, v72, v46, s[12:13]
	v_cvt_f16_f32_e32 v62, v46
	s_barrier
	v_fmac_f32_e32 v80, v73, v46
	v_pk_fma_f16 v28, v57, v62, v28 op_sel_hi:[1,0,1]
	v_pk_fma_f16 v29, v53, v62, v29 op_sel_hi:[1,0,1]
	v_pk_fma_f16 v28, v30, v8, v28 op_sel:[0,1,0]
	v_pk_fma_f16 v8, v31, v8, v29 op_sel:[0,1,0]
	v_pk_fma_f16 v28, v36, v9, v28 op_sel_hi:[1,0,1]
	v_pk_fma_f16 v8, v37, v9, v8 op_sel_hi:[1,0,1]
	v_pk_fma_f16 v28, v38, v9, v28 op_sel:[0,1,0]
	v_pk_fma_f16 v8, v39, v9, v8 op_sel:[0,1,0]
	v_pk_fma_f16 v9, v32, v10, v28 op_sel_hi:[1,0,1]
	v_pk_fma_f16 v8, v33, v10, v8 op_sel_hi:[1,0,1]
	v_pk_fma_f16 v9, v34, v10, v9 op_sel:[0,1,0]
	v_pk_fma_f16 v8, v35, v10, v8 op_sel:[0,1,0]
	v_pk_fma_f16 v9, v24, v11, v9 op_sel_hi:[1,0,1]
	v_pk_fma_f16 v8, v25, v11, v8 op_sel_hi:[1,0,1]
	v_pk_fma_f16 v9, v26, v11, v9 op_sel:[0,1,0]
	v_pk_fma_f16 v8, v27, v11, v8 op_sel:[0,1,0]
	v_pk_fma_f16 v9, v20, v0, v9 op_sel_hi:[1,0,1]
	v_pk_fma_f16 v8, v21, v0, v8 op_sel_hi:[1,0,1]
	v_pk_fma_f16 v9, v22, v0, v9 op_sel:[0,1,0]
	v_pk_fma_f16 v0, v23, v0, v8 op_sel:[0,1,0]
	v_pk_fma_f16 v8, v12, v1, v9 op_sel_hi:[1,0,1]
	v_pk_fma_f16 v0, v13, v1, v0 op_sel_hi:[1,0,1]
	v_pk_fma_f16 v8, v14, v1, v8 op_sel:[0,1,0]
	v_pk_fma_f16 v0, v15, v1, v0 op_sel:[0,1,0]
	v_pk_fma_f16 v1, v16, v2, v8 op_sel_hi:[1,0,1]
	ds_read2_b64 v[8:11], v69 offset1:20
	ds_read_b128 v[12:15], v67 offset:32
	v_pk_fma_f16 v0, v17, v2, v0 op_sel_hi:[1,0,1]
	v_pk_fma_f16 v1, v18, v2, v1 op_sel:[0,1,0]
	v_pk_fma_f16 v0, v19, v2, v0 op_sel:[0,1,0]
	v_pk_fma_f16 v1, v4, v3, v1 op_sel_hi:[1,0,1]
	v_pk_fma_f16 v0, v5, v3, v0 op_sel_hi:[1,0,1]
	v_pk_fma_f16 v4, v6, v3, v1 op_sel:[0,1,0]
	v_pk_fma_f16 v16, v7, v3, v0 op_sel:[0,1,0]
	s_waitcnt lgkmcnt(0)
	v_pk_fma_f16 v8, v8, v12, v4 op_sel_hi:[1,0,1]
	ds_read2_b64 v[4:7], v69 offset0:40 offset1:60
	v_pk_fma_f16 v9, v9, v12, v16 op_sel_hi:[1,0,1]
	v_pk_fma_f16 v16, v10, v12, v8 op_sel:[0,1,0]
	v_pk_fma_f16 v12, v11, v12, v9 op_sel:[0,1,0]
	ds_read2_b64 v[8:11], v69 offset0:80 offset1:100
	s_waitcnt lgkmcnt(1)
	v_pk_fma_f16 v4, v4, v13, v16 op_sel_hi:[1,0,1]
	v_pk_fma_f16 v5, v5, v13, v12 op_sel_hi:[1,0,1]
	v_pk_fma_f16 v4, v6, v13, v4 op_sel:[0,1,0]
	v_pk_fma_f16 v12, v7, v13, v5 op_sel:[0,1,0]
	s_waitcnt lgkmcnt(0)
	v_pk_fma_f16 v8, v8, v14, v4 op_sel_hi:[1,0,1]
	ds_read2_b64 v[4:7], v69 offset0:120 offset1:140
	v_pk_fma_f16 v9, v9, v14, v12 op_sel_hi:[1,0,1]
	ds_read_b128 v[0:3], v67 offset:48
	v_pk_fma_f16 v12, v10, v14, v8 op_sel:[0,1,0]
	v_pk_fma_f16 v13, v11, v14, v9 op_sel:[0,1,0]
	ds_read2_b64 v[8:11], v69 offset0:160 offset1:180
	s_waitcnt lgkmcnt(2)
	v_pk_fma_f16 v4, v4, v15, v12 op_sel_hi:[1,0,1]
	v_pk_fma_f16 v5, v5, v15, v13 op_sel_hi:[1,0,1]
	v_pk_fma_f16 v4, v6, v15, v4 op_sel:[0,1,0]
	v_pk_fma_f16 v12, v7, v15, v5 op_sel:[0,1,0]
	s_waitcnt lgkmcnt(0)
	v_pk_fma_f16 v8, v8, v0, v4 op_sel_hi:[1,0,1]
	ds_read2_b64 v[4:7], v69 offset0:200 offset1:220
	v_pk_fma_f16 v9, v9, v0, v12 op_sel_hi:[1,0,1]
	v_pk_fma_f16 v12, v10, v0, v8 op_sel:[0,1,0]
	v_pk_fma_f16 v0, v11, v0, v9 op_sel:[0,1,0]
	ds_read2_b64 v[8:11], v82 offset0:112 offset1:132
	s_waitcnt lgkmcnt(1)
	v_pk_fma_f16 v4, v4, v1, v12 op_sel_hi:[1,0,1]
	v_pk_fma_f16 v0, v5, v1, v0 op_sel_hi:[1,0,1]
	v_pk_fma_f16 v4, v6, v1, v4 op_sel:[0,1,0]
	v_pk_fma_f16 v0, v7, v1, v0 op_sel:[0,1,0]
	s_waitcnt lgkmcnt(0)
	v_pk_fma_f16 v1, v8, v2, v4 op_sel_hi:[1,0,1]
	ds_read2_b64 v[4:7], v81 offset0:24 offset1:44
	s_waitcnt lgkmcnt(0)
	s_barrier
	s_load_dword s10, s[18:19], 0x4
	v_pk_fma_f16 v0, v9, v2, v0 op_sel_hi:[1,0,1]
	v_pk_fma_f16 v1, v10, v2, v1 op_sel:[0,1,0]
	v_pk_fma_f16 v0, v11, v2, v0 op_sel:[0,1,0]
	v_pk_fma_f16 v1, v4, v3, v1 op_sel_hi:[1,0,1]
	s_waitcnt lgkmcnt(0)
	s_lshl_b32 s10, s10, 5
	v_pk_fma_f16 v0, v5, v3, v0 op_sel_hi:[1,0,1]
	s_add_i32 s36, s10, s36
	v_pk_fma_f16 v57, v6, v3, v1 op_sel:[0,1,0]
	s_cmp_lt_i32 s36, s28
	v_pk_fma_f16 v53, v7, v3, v0 op_sel:[0,1,0]
	s_cbranch_scc0 .LBB13_29
; %bb.28:                               ;   in Loop: Header=BB13_11 Depth=1
	v_mov_b32_e32 v4, v60
	v_mov_b32_e32 v73, v80
	s_branch .LBB13_11
.LBB13_29:
	v_cmp_lt_i32_e32 vcc, v75, v74
	s_cmp_eq_u64 s[16:17], 0
	s_cselect_b64 s[4:5], -1, 0
	v_cndmask_b32_e32 v0, v51, v75, vcc
	v_lshlrev_b32_e32 v0, 2, v0
	ds_bpermute_b32 v0, v0, v80
	v_cmp_lt_i32_e32 vcc, v76, v74
	s_cmp_lg_u32 s3, 0
	s_cselect_b64 s[6:7], -1, 0
	v_cndmask_b32_e32 v1, v51, v76, vcc
	v_lshlrev_b32_e32 v1, 2, v1
	s_waitcnt lgkmcnt(0)
	v_add_f32_e32 v0, v80, v0
	ds_bpermute_b32 v1, v1, v0
	v_cmp_lt_i32_e32 vcc, v77, v74
	s_or_b64 s[4:5], s[6:7], s[4:5]
	s_waitcnt lgkmcnt(0)
	v_add_f32_e32 v0, v0, v1
	v_cndmask_b32_e32 v2, v51, v77, vcc
	v_lshlrev_b32_e32 v2, 2, v2
	ds_bpermute_b32 v1, v2, v0
	v_cmp_lt_i32_e32 vcc, v78, v74
	s_waitcnt lgkmcnt(0)
	v_add_f32_e32 v1, v0, v1
	v_cndmask_b32_e32 v2, v51, v78, vcc
	v_lshlrev_b32_e32 v2, 2, v2
	ds_bpermute_b32 v2, v2, v1
	v_cmp_lt_i32_e32 vcc, v79, v74
	v_add_u32_e32 v0, s29, v45
	s_waitcnt lgkmcnt(0)
	v_add_f32_e32 v1, v1, v2
	v_cndmask_b32_e32 v3, v51, v79, vcc
	v_lshlrev_b32_e32 v3, 2, v3
	ds_bpermute_b32 v2, v3, v1
	s_and_b64 vcc, exec, s[4:5]
	s_waitcnt lgkmcnt(0)
	v_add_f32_e32 v61, v1, v2
	s_cbranch_vccnz .LBB13_31
; %bb.30:
	v_ashrrev_i32_e32 v1, 31, v0
	v_lshl_add_u64 v[2:3], v[0:1], 2, s[16:17]
	global_load_dword v1, v[2:3], off
	v_max_f32_e32 v2, v60, v60
	s_mov_b32 s4, 0x3fb8aa3b
	s_mov_b32 s5, 0xc2ce8ed0
	s_waitcnt vmcnt(0)
	v_max_f32_e32 v3, v1, v1
	v_max_f32_e32 v2, v2, v3
	v_sub_f32_e32 v3, v60, v2
	v_sub_f32_e32 v1, v1, v2
	v_mul_f32_e32 v4, 0x3fb8aa3b, v3
	v_mul_f32_e32 v5, 0x3fb8aa3b, v1
	v_fma_f32 v6, v3, s4, -v4
	v_rndne_f32_e32 v7, v4
	v_fma_f32 v8, v1, s4, -v5
	v_rndne_f32_e32 v9, v5
	v_fmac_f32_e32 v6, 0x32a5705f, v3
	v_sub_f32_e32 v4, v4, v7
	v_fmac_f32_e32 v8, 0x32a5705f, v1
	v_sub_f32_e32 v5, v5, v9
	v_add_f32_e32 v4, v4, v6
	v_cvt_i32_f32_e32 v7, v7
	v_add_f32_e32 v5, v5, v8
	v_exp_f32_e32 v4, v4
	v_cvt_i32_f32_e32 v9, v9
	v_exp_f32_e32 v5, v5
	v_cmp_ngt_f32_e32 vcc, s5, v3
	v_ldexp_f32 v4, v4, v7
	s_mov_b32 s4, 0x42b17218
	v_ldexp_f32 v5, v5, v9
	v_cndmask_b32_e32 v4, 0, v4, vcc
	v_cmp_ngt_f32_e32 vcc, s5, v1
	v_mov_b32_e32 v6, 0x7f800000
	s_nop 0
	v_cndmask_b32_e32 v5, 0, v5, vcc
	v_cmp_nlt_f32_e32 vcc, s4, v3
	s_nop 1
	v_cndmask_b32_e32 v4, v6, v4, vcc
	v_cvt_f16_f32_e32 v7, v4
	v_cmp_nlt_f32_e32 vcc, s4, v1
	v_pk_mul_f16 v57, v7, v57 op_sel_hi:[0,1]
	s_nop 0
	v_cndmask_b32_e32 v3, v6, v5, vcc
	v_fmac_f32_e32 v3, v61, v4
	v_pk_mul_f16 v53, v7, v53 op_sel_hi:[0,1]
	v_mov_b64_e32 v[60:61], v[2:3]
	s_branch .LBB13_32
.LBB13_31:
	v_mov_b32_e32 v3, v61
.LBB13_32:
	s_load_dword s6, s[0:1], 0xd4
	s_mul_i32 s4, s33, s26
	s_waitcnt lgkmcnt(0)
	s_cmp_lg_u32 s6, 1
	s_cselect_b64 s[0:1], -1, 0
	s_add_i32 s4, s4, s2
	v_add_u32_e32 v1, s4, v41
	v_mad_u64_u32 v[0:1], s[4:5], v1, s27, v[0:1]
	v_mul_lo_u32 v0, s6, v0
	v_add_u32_e32 v0, s3, v0
	s_and_saveexec_b64 s[2:3], s[14:15]
	s_cbranch_execz .LBB13_34
; %bb.33:
	v_div_scale_f32 v1, s[4:5], v3, v3, 1.0
	v_rcp_f32_e32 v2, v1
	v_cvt_f32_f16_sdwa v9, v57 dst_sel:DWORD dst_unused:UNUSED_PAD src0_sel:WORD_1
	v_cvt_f32_f16_sdwa v11, v53 dst_sel:DWORD dst_unused:UNUSED_PAD src0_sel:WORD_1
	v_cvt_f32_f16_e32 v10, v53
	v_fma_f32 v6, -v1, v2, 1.0
	v_fmac_f32_e32 v2, v6, v2
	v_div_scale_f32 v6, vcc, 1.0, v3, 1.0
	v_mul_f32_e32 v7, v6, v2
	v_fma_f32 v8, -v1, v7, v6
	v_fmac_f32_e32 v7, v8, v2
	v_fma_f32 v1, -v1, v7, v6
	v_div_fmas_f32 v1, v1, v2, v7
	v_cvt_f32_f16_e32 v8, v57
	v_div_fixup_f32 v1, v1, v3, 1.0
	s_movk_i32 s4, 0x50
	v_cndmask_b32_e64 v6, v1, 1.0, s[0:1]
	v_mul_lo_u32 v1, v0, s4
	v_mov_b32_e32 v4, s20
	v_mov_b32_e32 v5, s21
	v_lshl_add_u32 v2, v40, 2, v1
	v_mov_b32_e32 v3, 0
	v_lshl_add_u64 v[12:13], v[2:3], 2, v[4:5]
	v_pk_mul_f32 v[2:3], v[6:7], v[8:9] op_sel_hi:[0,1]
	v_pk_mul_f32 v[4:5], v[6:7], v[10:11] op_sel_hi:[0,1]
	global_store_dwordx4 v[12:13], v[2:5], off
.LBB13_34:
	s_or_b64 exec, exec, s[2:3]
	v_cmp_eq_u32_e32 vcc, 0, v40
	s_and_b64 s[0:1], vcc, s[0:1]
	s_and_saveexec_b64 s[2:3], s[0:1]
	s_cbranch_execz .LBB13_36
; %bb.35:
	v_mov_b32_e32 v2, s22
	v_mov_b32_e32 v3, s23
	v_ashrrev_i32_e32 v1, 31, v0
	v_lshl_add_u64 v[0:1], v[0:1], 3, v[2:3]
	global_store_dwordx2 v[0:1], v[60:61], off
.LBB13_36:
	s_endpgm
	.section	.rodata,"a",@progbits
	.p2align	6, 0x0
	.amdhsa_kernel _ZL15flash_attn_tileILi80ELi80ELi1ELi8ELb0EEvPKcS1_S1_S1_S1_PKiPfP15HIP_vector_typeIfLj2EEffffjfiS5_IjLj3EEiiiiiiiiiiiliiliiiiil
		.amdhsa_group_segment_fixed_size 5056
		.amdhsa_private_segment_fixed_size 0
		.amdhsa_kernarg_size 464
		.amdhsa_user_sgpr_count 2
		.amdhsa_user_sgpr_dispatch_ptr 0
		.amdhsa_user_sgpr_queue_ptr 0
		.amdhsa_user_sgpr_kernarg_segment_ptr 1
		.amdhsa_user_sgpr_dispatch_id 0
		.amdhsa_user_sgpr_kernarg_preload_length 0
		.amdhsa_user_sgpr_kernarg_preload_offset 0
		.amdhsa_user_sgpr_private_segment_size 0
		.amdhsa_uses_dynamic_stack 0
		.amdhsa_enable_private_segment 0
		.amdhsa_system_sgpr_workgroup_id_x 1
		.amdhsa_system_sgpr_workgroup_id_y 1
		.amdhsa_system_sgpr_workgroup_id_z 1
		.amdhsa_system_sgpr_workgroup_info 0
		.amdhsa_system_vgpr_workitem_id 1
		.amdhsa_next_free_vgpr 88
		.amdhsa_next_free_sgpr 46
		.amdhsa_accum_offset 88
		.amdhsa_reserve_vcc 1
		.amdhsa_float_round_mode_32 0
		.amdhsa_float_round_mode_16_64 0
		.amdhsa_float_denorm_mode_32 3
		.amdhsa_float_denorm_mode_16_64 3
		.amdhsa_dx10_clamp 1
		.amdhsa_ieee_mode 1
		.amdhsa_fp16_overflow 0
		.amdhsa_tg_split 0
		.amdhsa_exception_fp_ieee_invalid_op 0
		.amdhsa_exception_fp_denorm_src 0
		.amdhsa_exception_fp_ieee_div_zero 0
		.amdhsa_exception_fp_ieee_overflow 0
		.amdhsa_exception_fp_ieee_underflow 0
		.amdhsa_exception_fp_ieee_inexact 0
		.amdhsa_exception_int_div_zero 0
	.end_amdhsa_kernel
	.section	.text._ZL15flash_attn_tileILi80ELi80ELi1ELi8ELb0EEvPKcS1_S1_S1_S1_PKiPfP15HIP_vector_typeIfLj2EEffffjfiS5_IjLj3EEiiiiiiiiiiiliiliiiiil,"axG",@progbits,_ZL15flash_attn_tileILi80ELi80ELi1ELi8ELb0EEvPKcS1_S1_S1_S1_PKiPfP15HIP_vector_typeIfLj2EEffffjfiS5_IjLj3EEiiiiiiiiiiiliiliiiiil,comdat
.Lfunc_end13:
	.size	_ZL15flash_attn_tileILi80ELi80ELi1ELi8ELb0EEvPKcS1_S1_S1_S1_PKiPfP15HIP_vector_typeIfLj2EEffffjfiS5_IjLj3EEiiiiiiiiiiiliiliiiiil, .Lfunc_end13-_ZL15flash_attn_tileILi80ELi80ELi1ELi8ELb0EEvPKcS1_S1_S1_S1_PKiPfP15HIP_vector_typeIfLj2EEffffjfiS5_IjLj3EEiiiiiiiiiiiliiliiiiil
                                        ; -- End function
	.section	.AMDGPU.csdata,"",@progbits
; Kernel info:
; codeLenInByte = 4616
; NumSgprs: 52
; NumVgprs: 88
; NumAgprs: 0
; TotalNumVgprs: 88
; ScratchSize: 0
; MemoryBound: 0
; FloatMode: 240
; IeeeMode: 1
; LDSByteSize: 5056 bytes/workgroup (compile time only)
; SGPRBlocks: 6
; VGPRBlocks: 10
; NumSGPRsForWavesPerEU: 52
; NumVGPRsForWavesPerEU: 88
; AccumOffset: 88
; Occupancy: 5
; WaveLimiterHint : 1
; COMPUTE_PGM_RSRC2:SCRATCH_EN: 0
; COMPUTE_PGM_RSRC2:USER_SGPR: 2
; COMPUTE_PGM_RSRC2:TRAP_HANDLER: 0
; COMPUTE_PGM_RSRC2:TGID_X_EN: 1
; COMPUTE_PGM_RSRC2:TGID_Y_EN: 1
; COMPUTE_PGM_RSRC2:TGID_Z_EN: 1
; COMPUTE_PGM_RSRC2:TIDIG_COMP_CNT: 1
; COMPUTE_PGM_RSRC3_GFX90A:ACCUM_OFFSET: 21
; COMPUTE_PGM_RSRC3_GFX90A:TG_SPLIT: 0
	.section	.text._ZL25flash_attn_mask_to_KV_maxILi1EEvPK7__half2Piiii,"axG",@progbits,_ZL25flash_attn_mask_to_KV_maxILi1EEvPK7__half2Piiii,comdat
	.globl	_ZL25flash_attn_mask_to_KV_maxILi1EEvPK7__half2Piiii ; -- Begin function _ZL25flash_attn_mask_to_KV_maxILi1EEvPK7__half2Piiii
	.p2align	8
	.type	_ZL25flash_attn_mask_to_KV_maxILi1EEvPK7__half2Piiii,@function
_ZL25flash_attn_mask_to_KV_maxILi1EEvPK7__half2Piiii: ; @_ZL25flash_attn_mask_to_KV_maxILi1EEvPK7__half2Piiii
; %bb.0:
	s_load_dwordx4 s[4:7], s[0:1], 0x0
	v_cmp_gt_u32_e32 vcc, 32, v0
	s_and_saveexec_b64 s[8:9], vcc
	s_cbranch_execz .LBB14_2
; %bb.1:
	v_lshlrev_b32_e32 v1, 2, v0
	v_mov_b32_e32 v2, 1
	ds_write_b32 v1, v2
.LBB14_2:
	s_or_b64 exec, exec, s[8:9]
	s_load_dwordx4 s[16:19], s[0:1], 0x10
	s_load_dword s14, s[0:1], 0x20
	v_and_b32_e32 v2, 31, v0
	v_cmp_eq_u32_e32 vcc, 0, v2
	v_lshlrev_b32_e32 v4, 2, v2
	s_waitcnt lgkmcnt(0)
	s_mul_i32 s0, s3, s18
	s_mul_i32 s1, s2, s17
	s_add_i32 s0, s0, s1
	s_ashr_i32 s1, s0, 31
	v_mbcnt_lo_u32_b32 v2, -1, 0
	s_lshl_b64 s[0:1], s[0:1], 2
	v_mbcnt_hi_u32_b32 v5, -1, v2
	s_add_u32 s8, s4, s0
	v_and_b32_e32 v2, 0x60, v5
	s_addc_u32 s9, s5, s1
	s_lshl_b32 s15, s16, 8
	v_lshrrev_b32_e32 v1, 3, v0
	s_mov_b64 s[10:11], 0
	v_mov_b32_e32 v3, 0
	s_movk_i32 s16, 0x204
	s_movk_i32 s17, 0x7fff
	;; [unrolled: 1-line block ×3, first 2 shown]
	v_add_u32_e32 v6, 32, v2
	v_xor_b32_e32 v7, 16, v5
	v_xor_b32_e32 v8, 8, v5
	;; [unrolled: 1-line block ×5, first 2 shown]
	s_barrier
	s_waitcnt lgkmcnt(0)
                                        ; implicit-def: $sgpr0_sgpr1
	s_branch .LBB14_5
.LBB14_3:                               ;   in Loop: Header=BB14_5 Depth=1
	s_or_b64 exec, exec, s[4:5]
	s_waitcnt lgkmcnt(0)
	s_barrier
	ds_read_b32 v16, v4
	s_waitcnt lgkmcnt(0)
	s_barrier
	ds_bpermute_b32 v2, v2, v16
	v_cmp_ne_u32_e64 s[0:1], 0, v16
	s_waitcnt lgkmcnt(0)
	v_cmp_ne_u32_e64 s[4:5], 0, v2
	s_and_b64 s[4:5], s[0:1], s[4:5]
	s_nop 0
	v_cndmask_b32_e64 v2, 0, 1, s[4:5]
	ds_bpermute_b32 v2, v12, v2
	s_waitcnt lgkmcnt(0)
	v_cmp_ne_u32_e64 s[0:1], 0, v2
	s_and_b64 s[4:5], s[0:1], s[4:5]
	v_cndmask_b32_e64 v2, 0, 1, s[4:5]
	ds_bpermute_b32 v2, v13, v2
	s_waitcnt lgkmcnt(0)
	v_cmp_ne_u32_e64 s[0:1], 0, v2
	s_and_b64 s[4:5], s[0:1], s[4:5]
	;; [unrolled: 5-line block ×3, first 2 shown]
	s_nop 0
	v_cndmask_b32_e64 v2, 0, 1, s[0:1]
	ds_bpermute_b32 v2, v15, v2
	s_xor_b64 s[4:5], s[0:1], -1
	s_waitcnt lgkmcnt(0)
	v_cmp_eq_u32_e64 s[0:1], 0, v2
	s_or_b64 s[0:1], s[0:1], s[4:5]
.LBB14_4:                               ;   in Loop: Header=BB14_5 Depth=1
	s_and_b64 s[4:5], exec, s[0:1]
	s_or_b64 s[10:11], s[4:5], s[10:11]
	v_mov_b32_e32 v2, s15
	s_mov_b32 s15, s19
	s_andn2_b64 exec, exec, s[10:11]
	s_cbranch_execz .LBB14_8
.LBB14_5:                               ; =>This Inner Loop Header: Depth=1
	s_add_i32 s19, s15, 0xffffff00
	s_or_b64 s[0:1], s[0:1], exec
	s_cmp_lt_i32 s19, 0
	s_cbranch_scc1 .LBB14_4
; %bb.6:                                ;   in Loop: Header=BB14_5 Depth=1
	s_lshr_b32 s0, s19, 1
	v_add_u32_e32 v2, s0, v0
	v_lshl_add_u64 v[12:13], v[2:3], 2, s[8:9]
	global_load_dword v12, v[12:13], off
	v_cmp_lt_i32_e64 s[0:1], v7, v6
	s_waitcnt vmcnt(0)
	v_cmp_class_f16_e64 s[4:5], v12, s16
	v_and_b32_sdwa v12, s17, v12 dst_sel:DWORD dst_unused:UNUSED_PAD src0_sel:DWORD src1_sel:WORD_1
	v_cndmask_b32_e64 v2, v5, v7, s[0:1]
	v_cmp_eq_f16_e64 s[0:1], s18, v12
	s_and_b64 s[4:5], s[4:5], s[0:1]
	v_lshlrev_b32_e32 v2, 2, v2
	v_cndmask_b32_e64 v12, 0, 1, s[4:5]
	ds_bpermute_b32 v13, v2, v12
	v_cmp_lt_i32_e64 s[0:1], v8, v6
	s_nop 1
	v_cndmask_b32_e64 v12, v5, v8, s[0:1]
	s_waitcnt lgkmcnt(0)
	v_cmp_ne_u32_e64 s[0:1], 0, v13
	s_and_b64 s[4:5], s[4:5], s[0:1]
	v_lshlrev_b32_e32 v12, 2, v12
	v_cndmask_b32_e64 v13, 0, 1, s[4:5]
	ds_bpermute_b32 v14, v12, v13
	v_cmp_lt_i32_e64 s[0:1], v9, v6
	s_nop 1
	v_cndmask_b32_e64 v13, v5, v9, s[0:1]
	s_waitcnt lgkmcnt(0)
	v_cmp_ne_u32_e64 s[0:1], 0, v14
	;; [unrolled: 9-line block ×4, first 2 shown]
	s_and_b64 s[12:13], s[0:1], s[4:5]
	v_cndmask_b32_e64 v17, 0, 1, s[12:13]
	v_lshlrev_b32_e32 v15, 2, v16
	ds_bpermute_b32 v16, v15, v17
	s_and_saveexec_b64 s[4:5], vcc
	s_cbranch_execz .LBB14_3
; %bb.7:                                ;   in Loop: Header=BB14_5 Depth=1
	s_waitcnt lgkmcnt(0)
	v_cmp_ne_u32_e64 s[0:1], 0, v16
	s_and_b64 s[0:1], s[0:1], s[12:13]
	s_nop 0
	v_cndmask_b32_e64 v16, 0, 1, s[0:1]
	ds_write_b32 v1, v16
	s_branch .LBB14_3
.LBB14_8:
	s_or_b64 exec, exec, s[10:11]
	v_cmp_eq_u32_e32 vcc, 0, v0
	s_and_saveexec_b64 s[0:1], vcc
	s_cbranch_execz .LBB14_10
; %bb.9:
	s_mul_i32 s0, s14, s3
	s_add_i32 s0, s0, s2
	s_ashr_i32 s1, s0, 31
	s_lshl_b64 s[0:1], s[0:1], 2
	s_add_u32 s0, s6, s0
	s_addc_u32 s1, s7, s1
	v_mov_b32_e32 v0, 0
	global_store_dword v0, v2, s[0:1]
.LBB14_10:
	s_endpgm
	.section	.rodata,"a",@progbits
	.p2align	6, 0x0
	.amdhsa_kernel _ZL25flash_attn_mask_to_KV_maxILi1EEvPK7__half2Piiii
		.amdhsa_group_segment_fixed_size 128
		.amdhsa_private_segment_fixed_size 0
		.amdhsa_kernarg_size 288
		.amdhsa_user_sgpr_count 2
		.amdhsa_user_sgpr_dispatch_ptr 0
		.amdhsa_user_sgpr_queue_ptr 0
		.amdhsa_user_sgpr_kernarg_segment_ptr 1
		.amdhsa_user_sgpr_dispatch_id 0
		.amdhsa_user_sgpr_kernarg_preload_length 0
		.amdhsa_user_sgpr_kernarg_preload_offset 0
		.amdhsa_user_sgpr_private_segment_size 0
		.amdhsa_uses_dynamic_stack 0
		.amdhsa_enable_private_segment 0
		.amdhsa_system_sgpr_workgroup_id_x 1
		.amdhsa_system_sgpr_workgroup_id_y 1
		.amdhsa_system_sgpr_workgroup_id_z 0
		.amdhsa_system_sgpr_workgroup_info 0
		.amdhsa_system_vgpr_workitem_id 0
		.amdhsa_next_free_vgpr 18
		.amdhsa_next_free_sgpr 20
		.amdhsa_accum_offset 20
		.amdhsa_reserve_vcc 1
		.amdhsa_float_round_mode_32 0
		.amdhsa_float_round_mode_16_64 0
		.amdhsa_float_denorm_mode_32 3
		.amdhsa_float_denorm_mode_16_64 3
		.amdhsa_dx10_clamp 1
		.amdhsa_ieee_mode 1
		.amdhsa_fp16_overflow 0
		.amdhsa_tg_split 0
		.amdhsa_exception_fp_ieee_invalid_op 0
		.amdhsa_exception_fp_denorm_src 0
		.amdhsa_exception_fp_ieee_div_zero 0
		.amdhsa_exception_fp_ieee_overflow 0
		.amdhsa_exception_fp_ieee_underflow 0
		.amdhsa_exception_fp_ieee_inexact 0
		.amdhsa_exception_int_div_zero 0
	.end_amdhsa_kernel
	.section	.text._ZL25flash_attn_mask_to_KV_maxILi1EEvPK7__half2Piiii,"axG",@progbits,_ZL25flash_attn_mask_to_KV_maxILi1EEvPK7__half2Piiii,comdat
.Lfunc_end14:
	.size	_ZL25flash_attn_mask_to_KV_maxILi1EEvPK7__half2Piiii, .Lfunc_end14-_ZL25flash_attn_mask_to_KV_maxILi1EEvPK7__half2Piiii
                                        ; -- End function
	.section	.AMDGPU.csdata,"",@progbits
; Kernel info:
; codeLenInByte = 852
; NumSgprs: 26
; NumVgprs: 18
; NumAgprs: 0
; TotalNumVgprs: 18
; ScratchSize: 0
; MemoryBound: 0
; FloatMode: 240
; IeeeMode: 1
; LDSByteSize: 128 bytes/workgroup (compile time only)
; SGPRBlocks: 3
; VGPRBlocks: 2
; NumSGPRsForWavesPerEU: 26
; NumVGPRsForWavesPerEU: 18
; AccumOffset: 20
; Occupancy: 8
; WaveLimiterHint : 0
; COMPUTE_PGM_RSRC2:SCRATCH_EN: 0
; COMPUTE_PGM_RSRC2:USER_SGPR: 2
; COMPUTE_PGM_RSRC2:TRAP_HANDLER: 0
; COMPUTE_PGM_RSRC2:TGID_X_EN: 1
; COMPUTE_PGM_RSRC2:TGID_Y_EN: 1
; COMPUTE_PGM_RSRC2:TGID_Z_EN: 0
; COMPUTE_PGM_RSRC2:TIDIG_COMP_CNT: 0
; COMPUTE_PGM_RSRC3_GFX90A:ACCUM_OFFSET: 4
; COMPUTE_PGM_RSRC3_GFX90A:TG_SPLIT: 0
	.section	.text._ZL33flash_attn_stream_k_fixup_uniformILi80ELi1ELi8EEvPfPK15HIP_vector_typeIfLj2EEiiiiiiS1_IjLj3EES5_S5_,"axG",@progbits,_ZL33flash_attn_stream_k_fixup_uniformILi80ELi1ELi8EEvPfPK15HIP_vector_typeIfLj2EEiiiiiiS1_IjLj3EES5_S5_,comdat
	.globl	_ZL33flash_attn_stream_k_fixup_uniformILi80ELi1ELi8EEvPfPK15HIP_vector_typeIfLj2EEiiiiiiS1_IjLj3EES5_S5_ ; -- Begin function _ZL33flash_attn_stream_k_fixup_uniformILi80ELi1ELi8EEvPfPK15HIP_vector_typeIfLj2EEiiiiiiS1_IjLj3EES5_S5_
	.p2align	8
	.type	_ZL33flash_attn_stream_k_fixup_uniformILi80ELi1ELi8EEvPfPK15HIP_vector_typeIfLj2EEiiiiiiS1_IjLj3EES5_S5_,@function
_ZL33flash_attn_stream_k_fixup_uniformILi80ELi1ELi8EEvPfPK15HIP_vector_typeIfLj2EEiiiiiiS1_IjLj3EES5_S5_: ; @_ZL33flash_attn_stream_k_fixup_uniformILi80ELi1ELi8EEvPfPK15HIP_vector_typeIfLj2EEiiiiiiS1_IjLj3EES5_S5_
; %bb.0:
	s_load_dwordx8 s[8:15], s[0:1], 0x1c
	s_load_dwordx2 s[6:7], s[0:1], 0x10
	s_load_dwordx4 s[16:19], s[0:1], 0x3c
	s_waitcnt lgkmcnt(0)
	s_mul_hi_u32 s5, s11, s2
	s_add_i32 s5, s2, s5
	s_lshr_b32 s5, s5, s12
	s_mul_i32 s11, s5, s13
	s_sub_i32 s12, s2, s11
	s_mul_hi_u32 s11, s12, s14
	s_add_i32 s11, s12, s11
	s_lshr_b32 s11, s11, s15
	s_mul_i32 s13, s11, s16
	s_sub_i32 s12, s12, s13
	;; [unrolled: 5-line block ×3, first 2 shown]
	s_lshl_b32 s16, s13, 3
	s_add_i32 s17, s17, s3
	s_cmp_lt_i32 s17, s6
	s_cselect_b64 s[12:13], -1, 0
	s_add_i32 s16, s16, s4
	s_cmp_lt_i32 s16, s9
	s_cselect_b64 s[14:15], -1, 0
	s_and_b64 s[12:13], s[12:13], s[14:15]
	s_andn2_b64 vcc, exec, s[12:13]
	s_cbranch_vccnz .LBB15_6
; %bb.1:
	s_mul_i32 s5, s5, s6
	s_load_dwordx4 s[12:15], s[0:1], 0x0
	s_mul_i32 s11, s11, s9
	s_add_i32 s0, s17, s5
	s_mul_i32 s0, s0, s7
	s_add_i32 s1, s16, s11
	s_add_i32 s0, s1, s0
	s_mulk_i32 s0, 0x50
	v_add_u32_e32 v4, s0, v0
	s_waitcnt lgkmcnt(0)
	v_mov_b32_e32 v2, s12
	v_mov_b32_e32 v3, s13
	v_ashrrev_i32_e32 v5, 31, v4
	v_lshl_add_u64 v[2:3], v[4:5], 2, v[2:3]
	global_load_dword v7, v[2:3], off
	s_mul_i32 s5, s2, s10
	s_add_i32 s11, s5, s10
	s_add_i32 s0, s3, s11
	s_lshl_b32 s0, s0, 3
	s_add_i32 s0, s0, s4
	s_add_i32 s0, s0, -8
	s_ashr_i32 s1, s0, 31
	s_lshl_b64 s[0:1], s[0:1], 3
	s_add_u32 s0, s14, s0
	s_addc_u32 s1, s15, s1
	s_load_dword s12, s[0:1], 0x4
	s_add_i32 s6, s11, -2
	s_cmp_lt_i32 s6, s5
	s_cbranch_scc1 .LBB15_4
; %bb.2:
	s_lshl_b32 s6, s8, 5
	s_ashr_i32 s7, s6, 31
	s_lshl_b64 s[6:7], s[6:7], 2
	s_add_u32 s6, s14, s6
	s_addc_u32 s7, s15, s7
	s_add_i32 s2, s2, 1
	s_load_dword s0, s[0:1], 0x0
	s_mul_i32 s1, s10, s2
	s_mul_i32 s2, s3, 0x280
	s_mul_i32 s10, s4, 0x50
	s_mulk_i32 s1, 0x280
	s_add_i32 s2, s10, s2
	s_add_i32 s2, s2, s1
	;; [unrolled: 1-line block ×4, first 2 shown]
	s_lshl_b32 s1, s1, 3
	v_add_u32_e32 v0, s2, v0
	s_add_i32 s1, s4, s1
	s_add_i32 s9, s11, -1
	v_add_u32_e32 v0, 0xfffffb00, v0
	s_add_i32 s2, s1, -16
	s_waitcnt lgkmcnt(0)
	v_mov_b32_e32 v6, s12
	v_mov_b32_e32 v5, s0
	s_mov_b32 s4, 0x3fb8aa3b
	s_mov_b32 s8, 0xc2ce8ed0
	;; [unrolled: 1-line block ×3, first 2 shown]
	v_mov_b32_e32 v4, 0x7f800000
	s_mov_b32 s11, 0xc1a00000
.LBB15_3:                               ; =>This Inner Loop Header: Depth=1
	v_ashrrev_i32_e32 v1, 31, v0
	v_lshl_add_u64 v[8:9], v[0:1], 2, s[6:7]
	global_load_dword v1, v[8:9], off
	s_ashr_i32 s3, s2, 31
	s_lshl_b64 s[0:1], s[2:3], 3
	s_add_u32 s0, s14, s0
	s_addc_u32 s1, s15, s1
	s_load_dwordx2 s[12:13], s[0:1], 0x0
	s_waitcnt vmcnt(1)
	v_mov_b32_e32 v8, v7
	v_max_f32_e32 v7, v5, v5
	v_mov_b32_e32 v9, v6
	s_add_i32 s9, s9, -1
	s_waitcnt lgkmcnt(0)
	v_max_f32_e64 v6, s12, s12
	v_max_f32_e32 v6, v7, v6
	v_sub_f32_e32 v10, s12, v6
	v_sub_f32_e32 v7, v5, v6
	v_mul_f32_e32 v11, 0x3fb8aa3b, v10
	v_mov_b32_e32 v5, v6
	v_mul_f32_e32 v6, 0x3fb8aa3b, v7
	v_fma_f32 v14, v10, s4, -v11
	v_rndne_f32_e32 v15, v11
	v_fma_f32 v12, v7, s4, -v6
	v_rndne_f32_e32 v13, v6
	v_fmac_f32_e32 v14, 0x32a5705f, v10
	v_sub_f32_e32 v11, v11, v15
	v_fmac_f32_e32 v12, 0x32a5705f, v7
	v_sub_f32_e32 v6, v6, v13
	v_add_f32_e32 v11, v11, v14
	v_cvt_i32_f32_e32 v15, v15
	v_add_f32_e32 v6, v6, v12
	v_exp_f32_e32 v11, v11
	v_cvt_i32_f32_e32 v13, v13
	v_exp_f32_e32 v6, v6
	v_cmp_ngt_f32_e32 vcc, s8, v10
	v_ldexp_f32 v11, v11, v15
	v_cmp_ngt_f32_e64 s[0:1], s8, v7
	v_ldexp_f32 v6, v6, v13
	v_cndmask_b32_e32 v11, 0, v11, vcc
	v_cmp_nlt_f32_e32 vcc, s10, v10
	v_cndmask_b32_e64 v6, 0, v6, s[0:1]
	v_cmp_nlt_f32_e64 s[0:1], s10, v7
	v_cndmask_b32_e32 v11, v4, v11, vcc
	v_cmp_le_f32_e32 vcc, s11, v10
	v_cndmask_b32_e64 v6, v4, v6, s[0:1]
	v_cmp_le_f32_e64 s[0:1], s11, v7
	v_cndmask_b32_e32 v7, 0, v11, vcc
	s_add_i32 s2, s2, -8
	v_cndmask_b32_e64 v10, 0, v6, s[0:1]
	v_mul_f32_e32 v6, s13, v7
	v_add_u32_e32 v0, 0xfffffd80, v0
	s_cmp_le_i32 s9, s5
	v_fmac_f32_e32 v6, v9, v10
	s_waitcnt vmcnt(0)
	v_mul_f32_e32 v7, v1, v7
	v_fmac_f32_e32 v7, v8, v10
	s_cbranch_scc0 .LBB15_3
	s_branch .LBB15_5
.LBB15_4:
	s_waitcnt lgkmcnt(0)
	v_mov_b32_e32 v6, s12
.LBB15_5:
	s_waitcnt vmcnt(0)
	v_div_scale_f32 v0, s[0:1], v6, v6, v7
	v_rcp_f32_e32 v1, v0
	v_div_scale_f32 v4, vcc, v7, v6, v7
	v_fma_f32 v5, -v0, v1, 1.0
	v_fmac_f32_e32 v1, v5, v1
	v_mul_f32_e32 v5, v4, v1
	v_fma_f32 v8, -v0, v5, v4
	v_fmac_f32_e32 v5, v8, v1
	v_fma_f32 v0, -v0, v5, v4
	v_div_fmas_f32 v0, v0, v1, v5
	v_div_fixup_f32 v0, v0, v6, v7
	global_store_dword v[2:3], v0, off
.LBB15_6:
	s_endpgm
	.section	.rodata,"a",@progbits
	.p2align	6, 0x0
	.amdhsa_kernel _ZL33flash_attn_stream_k_fixup_uniformILi80ELi1ELi8EEvPfPK15HIP_vector_typeIfLj2EEiiiiiiS1_IjLj3EES5_S5_
		.amdhsa_group_segment_fixed_size 0
		.amdhsa_private_segment_fixed_size 0
		.amdhsa_kernarg_size 76
		.amdhsa_user_sgpr_count 2
		.amdhsa_user_sgpr_dispatch_ptr 0
		.amdhsa_user_sgpr_queue_ptr 0
		.amdhsa_user_sgpr_kernarg_segment_ptr 1
		.amdhsa_user_sgpr_dispatch_id 0
		.amdhsa_user_sgpr_kernarg_preload_length 0
		.amdhsa_user_sgpr_kernarg_preload_offset 0
		.amdhsa_user_sgpr_private_segment_size 0
		.amdhsa_uses_dynamic_stack 0
		.amdhsa_enable_private_segment 0
		.amdhsa_system_sgpr_workgroup_id_x 1
		.amdhsa_system_sgpr_workgroup_id_y 1
		.amdhsa_system_sgpr_workgroup_id_z 1
		.amdhsa_system_sgpr_workgroup_info 0
		.amdhsa_system_vgpr_workitem_id 0
		.amdhsa_next_free_vgpr 16
		.amdhsa_next_free_sgpr 20
		.amdhsa_accum_offset 16
		.amdhsa_reserve_vcc 1
		.amdhsa_float_round_mode_32 0
		.amdhsa_float_round_mode_16_64 0
		.amdhsa_float_denorm_mode_32 3
		.amdhsa_float_denorm_mode_16_64 3
		.amdhsa_dx10_clamp 1
		.amdhsa_ieee_mode 1
		.amdhsa_fp16_overflow 0
		.amdhsa_tg_split 0
		.amdhsa_exception_fp_ieee_invalid_op 0
		.amdhsa_exception_fp_denorm_src 0
		.amdhsa_exception_fp_ieee_div_zero 0
		.amdhsa_exception_fp_ieee_overflow 0
		.amdhsa_exception_fp_ieee_underflow 0
		.amdhsa_exception_fp_ieee_inexact 0
		.amdhsa_exception_int_div_zero 0
	.end_amdhsa_kernel
	.section	.text._ZL33flash_attn_stream_k_fixup_uniformILi80ELi1ELi8EEvPfPK15HIP_vector_typeIfLj2EEiiiiiiS1_IjLj3EES5_S5_,"axG",@progbits,_ZL33flash_attn_stream_k_fixup_uniformILi80ELi1ELi8EEvPfPK15HIP_vector_typeIfLj2EEiiiiiiS1_IjLj3EES5_S5_,comdat
.Lfunc_end15:
	.size	_ZL33flash_attn_stream_k_fixup_uniformILi80ELi1ELi8EEvPfPK15HIP_vector_typeIfLj2EEiiiiiiS1_IjLj3EES5_S5_, .Lfunc_end15-_ZL33flash_attn_stream_k_fixup_uniformILi80ELi1ELi8EEvPfPK15HIP_vector_typeIfLj2EEiiiiiiS1_IjLj3EES5_S5_
                                        ; -- End function
	.section	.AMDGPU.csdata,"",@progbits
; Kernel info:
; codeLenInByte = 820
; NumSgprs: 26
; NumVgprs: 16
; NumAgprs: 0
; TotalNumVgprs: 16
; ScratchSize: 0
; MemoryBound: 0
; FloatMode: 240
; IeeeMode: 1
; LDSByteSize: 0 bytes/workgroup (compile time only)
; SGPRBlocks: 3
; VGPRBlocks: 1
; NumSGPRsForWavesPerEU: 26
; NumVGPRsForWavesPerEU: 16
; AccumOffset: 16
; Occupancy: 8
; WaveLimiterHint : 0
; COMPUTE_PGM_RSRC2:SCRATCH_EN: 0
; COMPUTE_PGM_RSRC2:USER_SGPR: 2
; COMPUTE_PGM_RSRC2:TRAP_HANDLER: 0
; COMPUTE_PGM_RSRC2:TGID_X_EN: 1
; COMPUTE_PGM_RSRC2:TGID_Y_EN: 1
; COMPUTE_PGM_RSRC2:TGID_Z_EN: 1
; COMPUTE_PGM_RSRC2:TIDIG_COMP_CNT: 0
; COMPUTE_PGM_RSRC3_GFX90A:ACCUM_OFFSET: 3
; COMPUTE_PGM_RSRC3_GFX90A:TG_SPLIT: 0
	.section	.text._ZL33flash_attn_stream_k_fixup_generalILi80ELi1ELi8EEvPfPK15HIP_vector_typeIfLj2EEiiiiS1_IjLj3EES5_S5_S5_,"axG",@progbits,_ZL33flash_attn_stream_k_fixup_generalILi80ELi1ELi8EEvPfPK15HIP_vector_typeIfLj2EEiiiiS1_IjLj3EES5_S5_S5_,comdat
	.globl	_ZL33flash_attn_stream_k_fixup_generalILi80ELi1ELi8EEvPfPK15HIP_vector_typeIfLj2EEiiiiS1_IjLj3EES5_S5_S5_ ; -- Begin function _ZL33flash_attn_stream_k_fixup_generalILi80ELi1ELi8EEvPfPK15HIP_vector_typeIfLj2EEiiiiS1_IjLj3EES5_S5_S5_
	.p2align	8
	.type	_ZL33flash_attn_stream_k_fixup_generalILi80ELi1ELi8EEvPfPK15HIP_vector_typeIfLj2EEiiiiS1_IjLj3EES5_S5_S5_,@function
_ZL33flash_attn_stream_k_fixup_generalILi80ELi1ELi8EEvPfPK15HIP_vector_typeIfLj2EEiiiiS1_IjLj3EES5_S5_S5_: ; @_ZL33flash_attn_stream_k_fixup_generalILi80ELi1ELi8EEvPfPK15HIP_vector_typeIfLj2EEiiiiS1_IjLj3EES5_S5_S5_
; %bb.0:
	s_load_dwordx4 s[12:15], s[0:1], 0x10
	s_load_dword s5, s[0:1], 0x50
	s_mov_b32 s8, 0
	s_waitcnt lgkmcnt(0)
	s_mul_hi_i32 s9, s15, s2
	s_cmp_lg_u64 s[8:9], 0
	s_mul_i32 s8, s15, s2
	s_cbranch_scc0 .LBB16_21
; %bb.1:
	v_cvt_f32_u32_e32 v1, s5
	v_cvt_f32_ubyte0_e32 v2, 0
	s_sub_u32 s10, 0, s5
	s_subb_u32 s11, 0, 0
	v_fmamk_f32 v1, v2, 0x4f800000, v1
	v_rcp_f32_e32 v1, v1
	s_nop 0
	v_mul_f32_e32 v1, 0x5f7ffffc, v1
	v_mul_f32_e32 v2, 0x2f800000, v1
	v_trunc_f32_e32 v2, v2
	v_fmamk_f32 v1, v2, 0xcf800000, v1
	v_cvt_u32_f32_e32 v2, v2
	v_cvt_u32_f32_e32 v1, v1
	v_readfirstlane_b32 s16, v2
	v_readfirstlane_b32 s17, v1
	s_mul_i32 s18, s10, s16
	s_mul_hi_u32 s20, s10, s17
	s_mul_i32 s19, s11, s17
	s_add_i32 s18, s20, s18
	s_add_i32 s18, s18, s19
	s_mul_i32 s21, s10, s17
	s_mul_hi_u32 s19, s17, s18
	s_mul_i32 s20, s17, s18
	s_mul_hi_u32 s17, s17, s21
	s_add_u32 s17, s17, s20
	s_addc_u32 s19, 0, s19
	s_mul_hi_u32 s22, s16, s21
	s_mul_i32 s21, s16, s21
	s_add_u32 s17, s17, s21
	s_mul_hi_u32 s20, s16, s18
	s_addc_u32 s17, s19, s22
	s_addc_u32 s19, s20, 0
	s_mul_i32 s18, s16, s18
	s_add_u32 s17, s17, s18
	s_addc_u32 s18, 0, s19
	v_add_co_u32_e32 v1, vcc, s17, v1
	s_cmp_lg_u64 vcc, 0
	s_addc_u32 s16, s16, s18
	v_readfirstlane_b32 s18, v1
	s_mul_i32 s17, s10, s16
	s_mul_hi_u32 s19, s10, s18
	s_add_i32 s17, s19, s17
	s_mul_i32 s11, s11, s18
	s_add_i32 s17, s17, s11
	s_mul_i32 s10, s10, s18
	s_mul_hi_u32 s19, s16, s10
	s_mul_i32 s20, s16, s10
	s_mul_i32 s22, s18, s17
	s_mul_hi_u32 s10, s18, s10
	s_mul_hi_u32 s21, s18, s17
	s_add_u32 s10, s10, s22
	s_addc_u32 s18, 0, s21
	s_add_u32 s10, s10, s20
	s_mul_hi_u32 s11, s16, s17
	s_addc_u32 s10, s18, s19
	s_addc_u32 s11, s11, 0
	s_mul_i32 s17, s16, s17
	s_add_u32 s10, s10, s17
	s_addc_u32 s11, 0, s11
	v_add_co_u32_e32 v1, vcc, s10, v1
	s_cmp_lg_u64 vcc, 0
	s_addc_u32 s18, s16, s11
	s_ashr_i32 s10, s9, 31
	s_add_u32 s16, s8, s10
	s_mov_b32 s11, s10
	s_addc_u32 s17, s9, s10
	s_xor_b64 s[16:17], s[16:17], s[10:11]
	v_readfirstlane_b32 s20, v1
	s_mul_i32 s19, s16, s18
	s_mul_hi_u32 s21, s16, s20
	s_mul_hi_u32 s9, s16, s18
	s_add_u32 s19, s21, s19
	s_addc_u32 s9, 0, s9
	s_mul_hi_u32 s22, s17, s20
	s_mul_i32 s20, s17, s20
	s_add_u32 s19, s19, s20
	s_mul_hi_u32 s21, s17, s18
	s_addc_u32 s9, s9, s22
	s_addc_u32 s19, s21, 0
	s_mul_i32 s18, s17, s18
	s_add_u32 s9, s9, s18
	s_addc_u32 s18, 0, s19
	s_add_u32 s19, s9, 1
	s_addc_u32 s20, s18, 0
	s_add_u32 s21, s9, 2
	s_mul_i32 s23, s5, s18
	s_mul_hi_u32 s24, s5, s9
	s_addc_u32 s22, s18, 0
	s_add_i32 s24, s24, s23
	s_mul_i32 s23, s5, s9
	v_mov_b32_e32 v1, s23
	v_sub_co_u32_e32 v1, vcc, s16, v1
	s_cmp_lg_u64 vcc, 0
	s_subb_u32 s16, s17, s24
	v_subrev_co_u32_e32 v2, vcc, s5, v1
	s_cmp_lg_u64 vcc, 0
	s_subb_u32 s17, s16, 0
	v_readfirstlane_b32 s23, v2
	s_cmp_ge_u32 s23, s5
	s_cselect_b32 s23, -1, 0
	s_cmp_eq_u32 s17, 0
	s_cselect_b32 s17, s23, -1
	s_cmp_lg_u32 s17, 0
	s_cselect_b32 s17, s22, s20
	v_readfirstlane_b32 s20, v1
	s_cselect_b32 s19, s21, s19
	s_cmp_ge_u32 s20, s5
	s_cselect_b32 s20, -1, 0
	s_cmp_eq_u32 s16, 0
	s_cselect_b32 s16, s20, -1
	s_cmp_lg_u32 s16, 0
	s_cselect_b32 s17, s17, s18
	s_cselect_b32 s16, s19, s9
	s_xor_b64 s[16:17], s[16:17], s[10:11]
	s_sub_u32 s20, s16, s10
	s_load_dwordx4 s[16:19], s[0:1], 0x44
	s_cbranch_execnz .LBB16_3
.LBB16_2:
	v_cvt_f32_u32_e32 v1, s5
	s_sub_i32 s6, 0, s5
	v_rcp_iflag_f32_e32 v1, v1
	s_nop 0
	v_mul_f32_e32 v1, 0x4f7ffffe, v1
	v_cvt_u32_f32_e32 v1, v1
	s_nop 0
	v_readfirstlane_b32 s7, v1
	s_mul_i32 s6, s6, s7
	s_mul_hi_u32 s6, s7, s6
	s_add_i32 s7, s7, s6
	s_mul_hi_u32 s6, s8, s7
	s_mul_i32 s9, s6, s5
	s_sub_i32 s8, s8, s9
	s_add_i32 s7, s6, 1
	s_sub_i32 s9, s8, s5
	s_cmp_ge_u32 s8, s5
	s_cselect_b32 s6, s7, s6
	s_cselect_b32 s8, s9, s8
	s_add_i32 s7, s6, 1
	s_cmp_ge_u32 s8, s5
	s_cselect_b32 s20, s7, s6
.LBB16_3:
	s_add_i32 s6, s2, 1
	s_mul_hi_i32 s9, s15, s6
	s_mov_b32 s8, 0
	s_cmp_lg_u64 s[8:9], 0
	s_mul_i32 s8, s15, s6
	s_cbranch_scc0 .LBB16_22
; %bb.4:
	v_cvt_f32_u32_e32 v1, s5
	v_cvt_f32_ubyte0_e32 v2, 0
	s_sub_u32 s10, 0, s5
	s_subb_u32 s11, 0, 0
	v_fmamk_f32 v1, v2, 0x4f800000, v1
	v_rcp_f32_e32 v1, v1
	s_nop 0
	v_mul_f32_e32 v1, 0x5f7ffffc, v1
	v_mul_f32_e32 v2, 0x2f800000, v1
	v_trunc_f32_e32 v2, v2
	v_fmamk_f32 v1, v2, 0xcf800000, v1
	v_cvt_u32_f32_e32 v2, v2
	v_cvt_u32_f32_e32 v1, v1
	s_waitcnt lgkmcnt(0)
	v_readfirstlane_b32 s19, v2
	v_readfirstlane_b32 s21, v1
	s_mul_i32 s22, s10, s19
	s_mul_hi_u32 s24, s10, s21
	s_mul_i32 s23, s11, s21
	s_add_i32 s22, s24, s22
	s_add_i32 s22, s22, s23
	s_mul_i32 s25, s10, s21
	s_mul_hi_u32 s23, s21, s22
	s_mul_i32 s24, s21, s22
	s_mul_hi_u32 s21, s21, s25
	s_add_u32 s21, s21, s24
	s_addc_u32 s23, 0, s23
	s_mul_hi_u32 s26, s19, s25
	s_mul_i32 s25, s19, s25
	s_add_u32 s21, s21, s25
	s_mul_hi_u32 s24, s19, s22
	s_addc_u32 s21, s23, s26
	s_addc_u32 s23, s24, 0
	s_mul_i32 s22, s19, s22
	s_add_u32 s21, s21, s22
	s_addc_u32 s22, 0, s23
	v_add_co_u32_e32 v1, vcc, s21, v1
	s_cmp_lg_u64 vcc, 0
	s_addc_u32 s19, s19, s22
	v_readfirstlane_b32 s22, v1
	s_mul_i32 s21, s10, s19
	s_mul_hi_u32 s23, s10, s22
	s_add_i32 s21, s23, s21
	s_mul_i32 s11, s11, s22
	s_add_i32 s21, s21, s11
	s_mul_i32 s10, s10, s22
	s_mul_hi_u32 s23, s19, s10
	s_mul_i32 s24, s19, s10
	s_mul_i32 s26, s22, s21
	s_mul_hi_u32 s10, s22, s10
	s_mul_hi_u32 s25, s22, s21
	s_add_u32 s10, s10, s26
	s_addc_u32 s22, 0, s25
	s_add_u32 s10, s10, s24
	s_mul_hi_u32 s11, s19, s21
	s_addc_u32 s10, s22, s23
	s_addc_u32 s11, s11, 0
	s_mul_i32 s21, s19, s21
	s_add_u32 s10, s10, s21
	s_addc_u32 s11, 0, s11
	v_add_co_u32_e32 v1, vcc, s10, v1
	s_cmp_lg_u64 vcc, 0
	s_addc_u32 s19, s19, s11
	s_ashr_i32 s10, s9, 31
	s_add_u32 s22, s8, s10
	s_mov_b32 s11, s10
	s_addc_u32 s23, s9, s10
	s_xor_b64 s[22:23], s[22:23], s[10:11]
	v_readfirstlane_b32 s21, v1
	s_mul_i32 s11, s22, s19
	s_mul_hi_u32 s24, s22, s21
	s_mul_hi_u32 s9, s22, s19
	s_add_u32 s11, s24, s11
	s_addc_u32 s9, 0, s9
	s_mul_hi_u32 s25, s23, s21
	s_mul_i32 s21, s23, s21
	s_add_u32 s11, s11, s21
	s_mul_hi_u32 s24, s23, s19
	s_addc_u32 s9, s9, s25
	s_addc_u32 s11, s24, 0
	s_mul_i32 s19, s23, s19
	s_add_u32 s9, s9, s19
	s_addc_u32 s11, 0, s11
	s_mul_i32 s11, s5, s11
	s_mul_hi_u32 s24, s5, s9
	s_add_i32 s24, s24, s11
	s_mul_i32 s11, s5, s9
	v_mov_b32_e32 v1, s11
	s_add_u32 s19, s9, 1
	s_add_u32 s21, s9, 2
	v_sub_co_u32_e32 v1, vcc, s22, v1
	s_cmp_lg_u64 vcc, 0
	s_subb_u32 s11, s23, s24
	v_subrev_co_u32_e32 v2, vcc, s5, v1
	s_cmp_lg_u64 vcc, 0
	s_subb_u32 s22, s11, 0
	v_cmp_le_u32_e32 vcc, s5, v2
	s_cmp_eq_u32 s22, 0
	v_mov_b32_e32 v3, s19
	v_cndmask_b32_e64 v2, 0, -1, vcc
	s_cselect_b64 vcc, -1, 0
	v_cndmask_b32_e32 v2, -1, v2, vcc
	v_mov_b32_e32 v4, s21
	v_cmp_ne_u32_e32 vcc, 0, v2
	s_cmp_eq_u32 s11, 0
	s_nop 0
	v_cndmask_b32_e32 v2, v3, v4, vcc
	v_cmp_le_u32_e32 vcc, s5, v1
	v_mov_b32_e32 v3, s9
	s_nop 0
	v_cndmask_b32_e64 v1, 0, -1, vcc
	s_cselect_b64 vcc, -1, 0
	v_cndmask_b32_e32 v1, -1, v1, vcc
	v_cmp_ne_u32_e32 vcc, 0, v1
	s_nop 1
	v_cndmask_b32_e32 v1, v3, v2, vcc
	v_xor_b32_e32 v1, s10, v1
	v_subrev_co_u32_e32 v2, vcc, s10, v1
	s_cbranch_execnz .LBB16_6
.LBB16_5:
	v_cvt_f32_u32_e32 v1, s5
	s_sub_i32 s6, 0, s5
	s_mov_b32 s7, 0
	v_rcp_iflag_f32_e32 v1, v1
	s_nop 0
	v_mul_f32_e32 v1, 0x4f7ffffe, v1
	v_cvt_u32_f32_e32 v1, v1
	s_nop 0
	v_readfirstlane_b32 s9, v1
	s_mul_i32 s6, s6, s9
	s_mul_hi_u32 s6, s9, s6
	s_add_i32 s9, s9, s6
	s_mul_hi_u32 s6, s8, s9
	s_mul_i32 s10, s6, s5
	s_sub_i32 s8, s8, s10
	s_add_i32 s9, s6, 1
	s_sub_i32 s10, s8, s5
	s_cmp_ge_u32 s8, s5
	s_cselect_b32 s6, s9, s6
	s_cselect_b32 s8, s10, s8
	s_add_i32 s9, s6, 1
	s_cmp_ge_u32 s8, s5
	s_cselect_b32 s6, s9, s6
	v_mov_b64_e32 v[2:3], s[6:7]
.LBB16_6:
	s_waitcnt lgkmcnt(0)
	s_mul_hi_u32 s6, s20, s16
	s_add_i32 s6, s6, s20
	v_mul_hi_u32 v1, v2, s16
	s_lshr_b32 s19, s6, s17
	v_add_u32_e32 v1, v1, v2
	s_mul_i32 s6, s19, s18
	v_lshrrev_b32_e32 v1, s17, v1
	s_cmp_eq_u32 s6, s20
	v_cmp_eq_u32_e64 s[6:7], s19, v1
	v_mul_lo_u32 v1, v1, s18
	v_cmp_eq_u32_e32 vcc, s20, v2
	s_cselect_b64 s[10:11], -1, 0
	v_cmp_ne_u32_e64 s[8:9], v1, v2
	s_and_b64 s[6:7], s[6:7], s[8:9]
	s_or_b64 s[8:9], vcc, s[10:11]
	s_or_b64 s[6:7], s[8:9], s[6:7]
	s_and_b64 vcc, exec, s[6:7]
	s_cbranch_vccnz .LBB16_24
; %bb.7:
	s_load_dwordx8 s[24:31], s[0:1], 0x20
	s_load_dword s6, s[0:1], 0x40
	s_waitcnt lgkmcnt(0)
	s_mul_hi_u32 s7, s20, s24
	s_add_i32 s7, s7, s20
	s_lshr_b32 s7, s7, s25
	s_mul_i32 s8, s7, s26
	s_sub_i32 s8, s20, s8
	s_mul_hi_u32 s9, s8, s27
	s_add_i32 s9, s8, s9
	s_lshr_b32 s21, s9, s28
	s_mul_i32 s9, s21, s29
	s_sub_i32 s8, s8, s9
	;; [unrolled: 5-line block ×3, first 2 shown]
	s_mul_hi_u32 s8, s6, s16
	s_add_i32 s6, s6, s8
	s_lshr_b32 s22, s6, s17
	s_lshl_b32 s23, s9, 3
	s_add_i32 s22, s22, s3
	s_cmp_lt_i32 s22, s12
	s_cselect_b64 s[8:9], -1, 0
	s_add_i32 s23, s23, s4
	s_cmp_lt_i32 s23, s14
	s_cselect_b64 s[10:11], -1, 0
	s_and_b64 s[8:9], s[8:9], s[10:11]
	s_andn2_b64 vcc, exec, s[8:9]
	s_mov_b32 s6, 0
	s_cbranch_vccnz .LBB16_24
; %bb.8:
	s_load_dwordx4 s[8:11], s[0:1], 0x0
	s_lshl_b32 s1, s3, 3
	s_lshl_b32 s0, s5, 5
	s_add_i32 s24, s1, s4
	s_mov_b32 s1, s6
	s_lshl_b64 s[0:1], s[0:1], 2
	s_waitcnt lgkmcnt(0)
	v_mov_b32_e32 v2, s8
	s_add_u32 s8, s10, s0
	s_mul_i32 s7, s7, s12
	v_mov_b32_e32 v3, s9
	s_addc_u32 s9, s11, s1
	s_mul_i32 s21, s21, s14
	s_add_i32 s0, s22, s7
	s_mul_i32 s0, s0, s13
	s_add_i32 s1, s23, s21
	s_add_i32 s0, s1, s0
	s_mulk_i32 s0, 0x50
	v_add_u32_e32 v4, s0, v0
	v_ashrrev_i32_e32 v5, 31, v4
	v_lshl_add_u64 v[2:3], v[4:5], 2, v[2:3]
	global_load_dword v5, v[2:3], off
	s_mulk_i32 s24, 0x50
	v_add_u32_e32 v4, s24, v0
	v_cvt_f32_u32_e32 v0, s5
	v_cvt_f32_ubyte0_e32 v1, 0
	s_add_i32 s0, s3, s2
	s_lshl_b32 s0, s0, 3
	v_fmamk_f32 v0, v1, 0x4f800000, v0
	v_rcp_f32_e32 v0, v0
	v_cvt_f32_u32_e32 v1, s5
	s_add_i32 s0, s0, s4
	s_ashr_i32 s1, s0, 31
	s_lshl_b64 s[0:1], s[0:1], 3
	v_mul_f32_e32 v0, 0x5f7ffffc, v0
	v_rcp_iflag_f32_e32 v1, v1
	s_add_u32 s0, s10, s0
	v_mul_f32_e32 v6, 0x2f800000, v0
	s_addc_u32 s1, s11, s1
	v_trunc_f32_e32 v7, v6
	s_load_dwordx2 s[0:1], s[0:1], 0x0
	v_fmamk_f32 v0, v7, 0xcf800000, v0
	v_cvt_u32_f32_e32 v6, v0
	v_mul_f32_e32 v0, 0x4f7ffffe, v1
	v_cvt_u32_f32_e32 v7, v7
	v_cvt_u32_f32_e32 v9, v0
	s_add_i32 s13, s2, -1
	s_add_i32 s12, s5, s3
	s_waitcnt lgkmcnt(0)
	v_mov_b32_e32 v8, s1
	v_mov_b32_e32 v10, s0
	;; [unrolled: 1-line block ×3, first 2 shown]
	s_mov_b32 s14, 0x3fb8aa3b
	s_mov_b32 s20, 0xc2ce8ed0
	;; [unrolled: 1-line block ×4, first 2 shown]
	v_mov_b32_e32 v12, 0x7f800000
	s_mul_hi_i32 s7, s13, s15
	s_cmp_lg_u64 s[6:7], 0
	s_mul_i32 s2, s13, s15
	s_cbranch_scc0 .LBB16_15
.LBB16_9:
	s_sub_u32 s0, 0, s5
	v_readfirstlane_b32 s3, v6
	v_readfirstlane_b32 s25, v7
	s_subb_u32 s1, 0, 0
	s_mul_hi_u32 s24, s0, s3
	s_mul_i32 s26, s0, s25
	s_mul_i32 s23, s1, s3
	s_add_i32 s24, s24, s26
	s_add_i32 s24, s24, s23
	s_mul_i32 s27, s0, s3
	s_mul_hi_u32 s23, s3, s24
	s_mul_i32 s26, s3, s24
	s_mul_hi_u32 s3, s3, s27
	s_add_u32 s3, s3, s26
	s_addc_u32 s23, 0, s23
	s_mul_hi_u32 s28, s25, s27
	s_mul_i32 s27, s25, s27
	s_add_u32 s3, s3, s27
	s_mul_hi_u32 s26, s25, s24
	s_addc_u32 s3, s23, s28
	s_addc_u32 s23, s26, 0
	s_mul_i32 s24, s25, s24
	s_add_u32 s3, s3, s24
	s_addc_u32 s23, 0, s23
	v_add_co_u32_e32 v0, vcc, s3, v6
	s_cmp_lg_u64 vcc, 0
	s_addc_u32 s3, s25, s23
	v_readfirstlane_b32 s24, v0
	s_mul_i32 s23, s0, s3
	s_mul_hi_u32 s25, s0, s24
	s_add_i32 s23, s25, s23
	s_mul_i32 s1, s1, s24
	s_add_i32 s23, s23, s1
	s_mul_i32 s0, s0, s24
	s_mul_hi_u32 s25, s3, s0
	s_mul_i32 s26, s3, s0
	s_mul_i32 s28, s24, s23
	s_mul_hi_u32 s0, s24, s0
	s_mul_hi_u32 s27, s24, s23
	s_add_u32 s0, s0, s28
	s_addc_u32 s24, 0, s27
	s_add_u32 s0, s0, s26
	s_mul_hi_u32 s1, s3, s23
	s_addc_u32 s0, s24, s25
	s_addc_u32 s1, s1, 0
	s_mul_i32 s23, s3, s23
	s_add_u32 s0, s0, s23
	s_addc_u32 s1, 0, s1
	v_add_co_u32_e32 v0, vcc, s0, v0
	s_cmp_lg_u64 vcc, 0
	s_addc_u32 s3, s3, s1
	s_ashr_i32 s0, s7, 31
	s_add_u32 s24, s2, s0
	s_mov_b32 s1, s0
	s_addc_u32 s25, s7, s0
	s_xor_b64 s[24:25], s[24:25], s[0:1]
	v_readfirstlane_b32 s23, v0
	s_mul_i32 s7, s24, s3
	s_mul_hi_u32 s26, s24, s23
	s_mul_hi_u32 s1, s24, s3
	s_add_u32 s7, s26, s7
	s_addc_u32 s1, 0, s1
	s_mul_hi_u32 s27, s25, s23
	s_mul_i32 s23, s25, s23
	s_add_u32 s7, s7, s23
	s_mul_hi_u32 s26, s25, s3
	s_addc_u32 s1, s1, s27
	s_addc_u32 s7, s26, 0
	s_mul_i32 s3, s25, s3
	s_add_u32 s1, s1, s3
	s_addc_u32 s3, 0, s7
	s_mul_i32 s3, s5, s3
	s_mul_hi_u32 s26, s5, s1
	s_add_i32 s26, s26, s3
	s_mul_i32 s3, s5, s1
	v_mov_b32_e32 v0, s3
	s_add_u32 s7, s1, 1
	s_add_u32 s23, s1, 2
	v_sub_co_u32_e32 v0, vcc, s24, v0
	s_cmp_lg_u64 vcc, 0
	s_subb_u32 s3, s25, s26
	v_subrev_co_u32_e32 v1, vcc, s5, v0
	s_cmp_lg_u64 vcc, 0
	s_subb_u32 s24, s3, 0
	v_cmp_le_u32_e32 vcc, s5, v1
	s_cmp_eq_u32 s24, 0
	v_mov_b32_e32 v13, s7
	v_cndmask_b32_e64 v1, 0, -1, vcc
	s_cselect_b64 vcc, -1, 0
	v_cndmask_b32_e32 v1, -1, v1, vcc
	v_mov_b32_e32 v14, s23
	v_cmp_ne_u32_e32 vcc, 0, v1
	s_cmp_eq_u32 s3, 0
	s_nop 0
	v_cndmask_b32_e32 v1, v13, v14, vcc
	v_cmp_le_u32_e32 vcc, s5, v0
	v_mov_b32_e32 v13, s1
	s_nop 0
	v_cndmask_b32_e64 v0, 0, -1, vcc
	s_cselect_b64 vcc, -1, 0
	v_cndmask_b32_e32 v0, -1, v0, vcc
	v_cmp_ne_u32_e32 vcc, 0, v0
	s_nop 1
	v_cndmask_b32_e32 v0, v13, v1, vcc
	v_xor_b32_e32 v0, s0, v0
	v_subrev_co_u32_e32 v0, vcc, s0, v0
	s_cbranch_execnz .LBB16_11
.LBB16_10:
	s_sub_i32 s0, 0, s5
	v_mul_lo_u32 v0, s0, v9
	v_mul_hi_u32 v0, v9, v0
	v_add_u32_e32 v0, v9, v0
	v_mul_hi_u32 v0, s2, v0
	v_mul_lo_u32 v13, v0, s5
	v_sub_u32_e32 v13, s2, v13
	v_add_u32_e32 v1, 1, v0
	v_subrev_u32_e32 v14, s5, v13
	v_cmp_le_u32_e32 vcc, s5, v13
	s_nop 1
	v_cndmask_b32_e32 v13, v13, v14, vcc
	v_cndmask_b32_e32 v0, v0, v1, vcc
	v_add_u32_e32 v1, 1, v0
	v_cmp_le_u32_e32 vcc, s5, v13
	s_nop 1
	v_cndmask_b32_e32 v0, v0, v1, vcc
.LBB16_11:
	v_cmp_ne_u32_e32 vcc, v11, v0
	s_cbranch_vccz .LBB16_14
; %bb.12:
	s_add_i32 s0, s12, s13
	s_lshl_b32 s0, s0, 3
	v_mul_hi_u32 v1, v0, s16
	s_add_i32 s0, s0, s4
	s_mov_b32 s1, s6
	v_add_u32_e32 v1, v1, v0
	s_lshl_b64 s[0:1], s[0:1], 3
	v_lshrrev_b32_e32 v1, s17, v1
	s_add_u32 s2, s10, s0
	v_mul_lo_u32 v13, v1, s18
	s_addc_u32 s3, s11, s1
	v_cmp_eq_u32_e32 vcc, v13, v0
	v_cmp_gt_u32_e64 s[0:1], s19, v1
	s_or_b64 s[0:1], s[0:1], vcc
	s_and_b64 vcc, exec, s[0:1]
	s_cbranch_vccnz .LBB16_16
; %bb.13:
	s_add_i32 s7, s13, -1
	s_mov_b64 s[0:1], 0
	s_branch .LBB16_17
.LBB16_14:
                                        ; implicit-def: $sgpr0_sgpr1
                                        ; implicit-def: $vgpr14
                                        ; implicit-def: $vgpr1
                                        ; implicit-def: $vgpr13
                                        ; implicit-def: $sgpr7
                                        ; implicit-def: $vgpr0
	s_branch .LBB16_18
.LBB16_15:
                                        ; implicit-def: $vgpr0_vgpr1
	s_branch .LBB16_10
.LBB16_16:
	s_mov_b64 s[0:1], -1
	s_mov_b32 s7, s13
	v_mov_b32_e32 v0, v11
.LBB16_17:
	s_mul_i32 s23, s13, 0x280
	v_add_u32_e32 v14, s23, v4
	v_ashrrev_i32_e32 v15, 31, v14
	v_lshl_add_u64 v[14:15], v[14:15], 2, s[8:9]
	global_load_dword v14, v[14:15], off
	s_load_dwordx2 s[2:3], s[2:3], 0x0
	v_max_f32_e32 v1, v10, v10
	s_waitcnt lgkmcnt(0)
	v_max_f32_e64 v13, s2, s2
	v_max_f32_e32 v1, v1, v13
	v_sub_f32_e32 v13, v10, v1
	v_sub_f32_e32 v15, s2, v1
	v_mul_f32_e32 v16, 0x3fb8aa3b, v13
	v_mul_f32_e32 v17, 0x3fb8aa3b, v15
	v_fma_f32 v18, v13, s14, -v16
	v_rndne_f32_e32 v19, v16
	v_fma_f32 v20, v15, s14, -v17
	v_rndne_f32_e32 v21, v17
	v_fmac_f32_e32 v18, 0x32a5705f, v13
	v_sub_f32_e32 v16, v16, v19
	v_fmac_f32_e32 v20, 0x32a5705f, v15
	v_sub_f32_e32 v17, v17, v21
	v_add_f32_e32 v16, v16, v18
	v_cvt_i32_f32_e32 v19, v19
	v_add_f32_e32 v17, v17, v20
	v_exp_f32_e32 v16, v16
	v_cvt_i32_f32_e32 v21, v21
	v_exp_f32_e32 v17, v17
	v_cmp_ngt_f32_e32 vcc, s20, v13
	v_ldexp_f32 v16, v16, v19
	v_ldexp_f32 v17, v17, v21
	v_cndmask_b32_e32 v16, 0, v16, vcc
	v_cmp_ngt_f32_e32 vcc, s20, v15
	s_nop 1
	v_cndmask_b32_e32 v17, 0, v17, vcc
	v_cmp_nlt_f32_e32 vcc, s21, v13
	s_nop 1
	v_cndmask_b32_e32 v16, v12, v16, vcc
	v_cmp_nlt_f32_e32 vcc, s21, v15
	s_nop 1
	v_cndmask_b32_e32 v17, v12, v17, vcc
	v_cmp_le_f32_e32 vcc, s22, v13
	s_nop 1
	v_cndmask_b32_e32 v16, 0, v16, vcc
	v_cmp_le_f32_e32 vcc, s22, v15
	s_nop 1
	v_cndmask_b32_e32 v15, 0, v17, vcc
	v_mul_f32_e32 v13, s3, v15
	v_fmac_f32_e32 v13, v8, v16
	s_waitcnt vmcnt(0)
	v_mul_f32_e32 v14, v14, v15
	v_fmac_f32_e32 v14, v5, v16
	s_cbranch_execnz .LBB16_19
.LBB16_18:
	s_add_i32 s7, s13, -1
	s_mov_b64 s[0:1], 0
	v_mov_b32_e32 v0, v11
	v_mov_b32_e32 v13, v8
	;; [unrolled: 1-line block ×3, first 2 shown]
	s_waitcnt vmcnt(0)
	v_mov_b32_e32 v14, v5
.LBB16_19:
	s_andn2_b64 vcc, exec, s[0:1]
	s_cbranch_vccz .LBB16_23
; %bb.20:
	v_mov_b32_e32 v11, v0
	s_mov_b32 s13, s7
	v_mov_b32_e32 v8, v13
	v_mov_b32_e32 v10, v1
	s_waitcnt vmcnt(0)
	v_mov_b32_e32 v5, v14
	s_mul_hi_i32 s7, s13, s15
	s_cmp_lg_u64 s[6:7], 0
	s_mul_i32 s2, s13, s15
	s_cbranch_scc1 .LBB16_9
	s_branch .LBB16_15
.LBB16_21:
                                        ; implicit-def: $sgpr20_sgpr21
	s_load_dwordx4 s[16:19], s[0:1], 0x44
	s_branch .LBB16_2
.LBB16_22:
                                        ; implicit-def: $vgpr2_vgpr3
	s_branch .LBB16_5
.LBB16_23:
	v_div_scale_f32 v0, s[0:1], v13, v13, v14
	v_rcp_f32_e32 v1, v0
	v_div_scale_f32 v4, vcc, v14, v13, v14
	s_waitcnt vmcnt(0)
	v_fma_f32 v5, -v0, v1, 1.0
	v_fmac_f32_e32 v1, v5, v1
	v_mul_f32_e32 v5, v4, v1
	v_fma_f32 v6, -v0, v5, v4
	v_fmac_f32_e32 v5, v6, v1
	v_fma_f32 v0, -v0, v5, v4
	v_div_fmas_f32 v0, v0, v1, v5
	v_div_fixup_f32 v0, v0, v13, v14
	global_store_dword v[2:3], v0, off
.LBB16_24:
	s_endpgm
	.section	.rodata,"a",@progbits
	.p2align	6, 0x0
	.amdhsa_kernel _ZL33flash_attn_stream_k_fixup_generalILi80ELi1ELi8EEvPfPK15HIP_vector_typeIfLj2EEiiiiS1_IjLj3EES5_S5_S5_
		.amdhsa_group_segment_fixed_size 0
		.amdhsa_private_segment_fixed_size 0
		.amdhsa_kernarg_size 336
		.amdhsa_user_sgpr_count 2
		.amdhsa_user_sgpr_dispatch_ptr 0
		.amdhsa_user_sgpr_queue_ptr 0
		.amdhsa_user_sgpr_kernarg_segment_ptr 1
		.amdhsa_user_sgpr_dispatch_id 0
		.amdhsa_user_sgpr_kernarg_preload_length 0
		.amdhsa_user_sgpr_kernarg_preload_offset 0
		.amdhsa_user_sgpr_private_segment_size 0
		.amdhsa_uses_dynamic_stack 0
		.amdhsa_enable_private_segment 0
		.amdhsa_system_sgpr_workgroup_id_x 1
		.amdhsa_system_sgpr_workgroup_id_y 1
		.amdhsa_system_sgpr_workgroup_id_z 1
		.amdhsa_system_sgpr_workgroup_info 0
		.amdhsa_system_vgpr_workitem_id 0
		.amdhsa_next_free_vgpr 22
		.amdhsa_next_free_sgpr 32
		.amdhsa_accum_offset 24
		.amdhsa_reserve_vcc 1
		.amdhsa_float_round_mode_32 0
		.amdhsa_float_round_mode_16_64 0
		.amdhsa_float_denorm_mode_32 3
		.amdhsa_float_denorm_mode_16_64 3
		.amdhsa_dx10_clamp 1
		.amdhsa_ieee_mode 1
		.amdhsa_fp16_overflow 0
		.amdhsa_tg_split 0
		.amdhsa_exception_fp_ieee_invalid_op 0
		.amdhsa_exception_fp_denorm_src 0
		.amdhsa_exception_fp_ieee_div_zero 0
		.amdhsa_exception_fp_ieee_overflow 0
		.amdhsa_exception_fp_ieee_underflow 0
		.amdhsa_exception_fp_ieee_inexact 0
		.amdhsa_exception_int_div_zero 0
	.end_amdhsa_kernel
	.section	.text._ZL33flash_attn_stream_k_fixup_generalILi80ELi1ELi8EEvPfPK15HIP_vector_typeIfLj2EEiiiiS1_IjLj3EES5_S5_S5_,"axG",@progbits,_ZL33flash_attn_stream_k_fixup_generalILi80ELi1ELi8EEvPfPK15HIP_vector_typeIfLj2EEiiiiS1_IjLj3EES5_S5_S5_,comdat
.Lfunc_end16:
	.size	_ZL33flash_attn_stream_k_fixup_generalILi80ELi1ELi8EEvPfPK15HIP_vector_typeIfLj2EEiiiiS1_IjLj3EES5_S5_S5_, .Lfunc_end16-_ZL33flash_attn_stream_k_fixup_generalILi80ELi1ELi8EEvPfPK15HIP_vector_typeIfLj2EEiiiiS1_IjLj3EES5_S5_S5_
                                        ; -- End function
	.section	.AMDGPU.csdata,"",@progbits
; Kernel info:
; codeLenInByte = 2856
; NumSgprs: 38
; NumVgprs: 22
; NumAgprs: 0
; TotalNumVgprs: 22
; ScratchSize: 0
; MemoryBound: 0
; FloatMode: 240
; IeeeMode: 1
; LDSByteSize: 0 bytes/workgroup (compile time only)
; SGPRBlocks: 4
; VGPRBlocks: 2
; NumSGPRsForWavesPerEU: 38
; NumVGPRsForWavesPerEU: 22
; AccumOffset: 24
; Occupancy: 8
; WaveLimiterHint : 0
; COMPUTE_PGM_RSRC2:SCRATCH_EN: 0
; COMPUTE_PGM_RSRC2:USER_SGPR: 2
; COMPUTE_PGM_RSRC2:TRAP_HANDLER: 0
; COMPUTE_PGM_RSRC2:TGID_X_EN: 1
; COMPUTE_PGM_RSRC2:TGID_Y_EN: 1
; COMPUTE_PGM_RSRC2:TGID_Z_EN: 1
; COMPUTE_PGM_RSRC2:TIDIG_COMP_CNT: 0
; COMPUTE_PGM_RSRC3_GFX90A:ACCUM_OFFSET: 5
; COMPUTE_PGM_RSRC3_GFX90A:TG_SPLIT: 0
	.section	.text._ZL15flash_attn_tileILi80ELi80ELi16ELi4ELb0EEvPKcS1_S1_S1_S1_PKiPfP15HIP_vector_typeIfLj2EEffffjfiS5_IjLj3EEiiiiiiiiiiiliiliiiiil,"axG",@progbits,_ZL15flash_attn_tileILi80ELi80ELi16ELi4ELb0EEvPKcS1_S1_S1_S1_PKiPfP15HIP_vector_typeIfLj2EEffffjfiS5_IjLj3EEiiiiiiiiiiiliiliiiiil,comdat
	.globl	_ZL15flash_attn_tileILi80ELi80ELi16ELi4ELb0EEvPKcS1_S1_S1_S1_PKiPfP15HIP_vector_typeIfLj2EEffffjfiS5_IjLj3EEiiiiiiiiiiiliiliiiiil ; -- Begin function _ZL15flash_attn_tileILi80ELi80ELi16ELi4ELb0EEvPKcS1_S1_S1_S1_PKiPfP15HIP_vector_typeIfLj2EEffffjfiS5_IjLj3EEiiiiiiiiiiiliiliiiiil
	.p2align	8
	.type	_ZL15flash_attn_tileILi80ELi80ELi16ELi4ELb0EEvPKcS1_S1_S1_S1_PKiPfP15HIP_vector_typeIfLj2EEffffjfiS5_IjLj3EEiiiiiiiiiiiliiliiiiil,@function
_ZL15flash_attn_tileILi80ELi80ELi16ELi4ELb0EEvPKcS1_S1_S1_S1_PKiPfP15HIP_vector_typeIfLj2EEffffjfiS5_IjLj3EEiiiiiiiiiiiliiliiiiil: ; @_ZL15flash_attn_tileILi80ELi80ELi16ELi4ELb0EEvPKcS1_S1_S1_S1_PKiPfP15HIP_vector_typeIfLj2EEffffjfiS5_IjLj3EEiiiiiiiiiiiliiliiiiil
; %bb.0:
	s_load_dwordx4 s[60:63], s[0:1], 0x5c
	s_load_dwordx2 s[66:67], s[0:1], 0x80
	s_load_dwordx16 s[44:59], s[0:1], 0x0
	s_mov_b64 s[68:69], 0
	s_waitcnt lgkmcnt(0)
	s_ashr_i32 s5, s63, 31
	s_lshr_b32 s5, s5, 30
	s_add_i32 s5, s63, s5
	s_ashr_i32 s5, s5, 2
	v_cvt_f32_u32_e32 v1, s5
	s_sub_i32 s6, 0, s5
	v_rcp_iflag_f32_e32 v1, v1
	s_nop 0
	v_mul_f32_e32 v1, 0x4f7ffffe, v1
	v_cvt_u32_f32_e32 v1, v1
	s_nop 0
	v_readfirstlane_b32 s7, v1
	s_mul_i32 s6, s6, s7
	s_mul_hi_u32 s6, s7, s6
	s_add_i32 s7, s7, s6
	s_mul_hi_u32 s6, s4, s7
	s_mul_i32 s7, s6, s5
	s_sub_i32 s7, s4, s7
	s_add_i32 s8, s6, 1
	s_sub_i32 s9, s7, s5
	s_cmp_ge_u32 s7, s5
	s_cselect_b32 s6, s8, s6
	s_cselect_b32 s7, s9, s7
	s_add_i32 s8, s6, 1
	s_cmp_ge_u32 s7, s5
	s_cselect_b32 s70, s8, s6
	s_abs_i32 s5, s67
	v_cvt_f32_u32_e32 v1, s5
	s_lshl_b32 s4, s4, 2
	s_mul_i32 s8, s70, s63
	s_sub_i32 s9, 0, s5
	v_rcp_iflag_f32_e32 v1, v1
	s_sub_i32 s64, s4, s8
	s_abs_i32 s7, s63
	s_xor_b32 s6, s63, s67
	v_mul_f32_e32 v1, 0x4f7ffffe, v1
	v_cvt_u32_f32_e32 v1, v1
	s_ashr_i32 s6, s6, 31
	v_readfirstlane_b32 s4, v1
	s_mul_i32 s9, s9, s4
	s_mul_hi_u32 s8, s4, s9
	s_add_i32 s4, s4, s8
	s_mul_hi_u32 s4, s7, s4
	s_mul_i32 s8, s4, s5
	s_sub_i32 s7, s7, s8
	s_add_i32 s9, s4, 1
	s_sub_i32 s8, s7, s5
	s_cmp_ge_u32 s7, s5
	s_cselect_b32 s4, s9, s4
	s_cselect_b32 s7, s8, s7
	s_add_i32 s8, s4, 1
	s_cmp_ge_u32 s7, s5
	s_cselect_b32 s4, s8, s4
	s_xor_b32 s4, s4, s6
	s_sub_i32 s15, s4, s6
	s_abs_i32 s14, s15
	v_cvt_f32_u32_e32 v1, s14
	s_load_dwordx2 s[4:5], s[0:1], 0xb8
	s_cmp_eq_u64 s[50:51], 0
	v_rcp_iflag_f32_e32 v1, v1
	s_nop 0
	v_mul_f32_e32 v1, 0x4f7ffffe, v1
	v_cvt_u32_f32_e32 v1, v1
	s_nop 0
	v_readfirstlane_b32 s16, v1
	s_cbranch_scc1 .LBB17_2
; %bb.1:
	s_waitcnt lgkmcnt(0)
	s_abs_i32 s4, s4
	v_cvt_f32_u32_e32 v1, s4
	s_sub_i32 s10, 0, s4
	s_abs_i32 s9, s70
	s_ashr_i32 s8, s70, 31
	v_rcp_iflag_f32_e32 v1, v1
	s_load_dwordx2 s[6:7], s[0:1], 0xc8
	v_mul_f32_e32 v1, 0x4f7ffffe, v1
	v_cvt_u32_f32_e32 v1, v1
	s_nop 0
	v_readfirstlane_b32 s11, v1
	s_mul_i32 s10, s10, s11
	s_mul_hi_u32 s10, s11, s10
	s_add_i32 s11, s11, s10
	s_mul_hi_u32 s10, s9, s11
	s_mul_i32 s10, s10, s4
	s_sub_i32 s9, s9, s10
	s_sub_i32 s10, s9, s4
	s_cmp_ge_u32 s9, s4
	s_cselect_b32 s9, s10, s9
	s_sub_i32 s10, s9, s4
	s_cmp_ge_u32 s9, s4
	s_cselect_b32 s4, s10, s9
	s_xor_b32 s4, s4, s8
	s_sub_i32 s4, s4, s8
	s_ashr_i32 s8, s4, 31
	s_waitcnt lgkmcnt(0)
	s_mul_i32 s7, s4, s7
	s_mul_hi_u32 s9, s4, s6
	s_add_i32 s7, s9, s7
	s_mul_i32 s8, s8, s6
	s_add_i32 s7, s7, s8
	s_mul_i32 s4, s4, s6
	s_add_u32 s68, s50, s4
	s_addc_u32 s69, s51, s7
.LBB17_2:
	s_load_dwordx4 s[8:11], s[0:1], 0x70
	s_waitcnt lgkmcnt(0)
	s_load_dword s4, s[0:1], 0x40
	s_lshl_b32 s33, s2, 4
	v_and_b32_e32 v149, 0x3ff, v0
	v_bfe_u32 v150, v0, 10, 10
	s_mul_i32 s6, s70, s10
	s_ashr_i32 s10, s6, 31
	s_mul_i32 s7, s64, s9
	s_add_u32 s6, s44, s6
	s_addc_u32 s10, s45, s10
	s_ashr_i32 s11, s7, 31
	s_add_u32 s6, s6, s7
	s_addc_u32 s7, s10, s11
	s_ashr_i32 s11, s9, 31
	s_mov_b32 s10, s9
	s_lshr_b64 s[10:11], s[10:11], 2
	s_ashr_i32 s9, s8, 31
	v_lshlrev_b32_e32 v104, 2, v149
	v_cmp_gt_u32_e64 s[44:45], 20, v149
	s_lshr_b64 s[8:9], s[8:9], 2
	v_lshlrev_b32_e32 v2, 1, v149
	v_lshl_add_u32 v8, v150, 1, s33
	v_lshlrev_b32_e32 v0, 2, v104
	s_mul_i32 s17, s11, 12
	s_mul_hi_u32 s18, s10, 12
	s_mul_i32 s19, s10, 12
	s_and_saveexec_b64 s[12:13], s[44:45]
	s_cbranch_execz .LBB17_4
; %bb.3:
	v_mul_hi_u32 v1, v8, s60
	v_add_u32_e32 v1, v8, v1
	v_lshrrev_b32_e32 v1, s61, v1
	v_mul_lo_u32 v1, v1, s62
	v_sub_u32_e32 v1, v8, v1
	v_mad_u64_u32 v[4:5], s[20:21], s8, v1, 0
	v_mov_b32_e32 v6, v5
	v_mad_u64_u32 v[6:7], s[20:21], s9, v1, v[6:7]
	v_mov_b32_e32 v5, v6
	s_lshl_b64 s[20:21], s[10:11], 2
	v_lshlrev_b64 v[14:15], 2, v[4:5]
	s_add_u32 s20, s6, s20
	v_lshl_add_u64 v[4:5], s[6:7], 0, v[14:15]
	v_mov_b32_e32 v1, 0
	s_addc_u32 s21, s7, s21
	v_lshl_add_u64 v[16:17], v[4:5], 0, v[0:1]
	v_lshl_add_u64 v[4:5], s[20:21], 0, v[14:15]
	s_lshl_b64 s[20:21], s[10:11], 3
	s_add_u32 s20, s6, s20
	s_addc_u32 s21, s7, s21
	v_lshl_add_u64 v[18:19], v[4:5], 0, v[0:1]
	global_load_dwordx4 v[4:7], v[16:17], off
	global_load_dwordx4 v[10:13], v[18:19], off
	v_lshl_add_u64 v[16:17], s[20:21], 0, v[14:15]
	s_add_i32 s21, s18, s17
	s_add_u32 s20, s6, s19
	s_addc_u32 s21, s7, s21
	v_lshl_add_u64 v[18:19], s[20:21], 0, v[14:15]
	v_lshl_add_u64 v[16:17], v[16:17], 0, v[0:1]
	;; [unrolled: 1-line block ×3, first 2 shown]
	global_load_dwordx4 v[14:17], v[16:17], off
	v_mul_u32_u24_e32 v1, 0x140, v150
	global_load_dwordx4 v[18:21], v[18:19], off
	v_or_b32_e32 v1, v1, v2
	v_lshlrev_b32_e32 v1, 2, v1
	s_waitcnt vmcnt(3) lgkmcnt(0)
	v_pk_mul_f32 v[4:5], v[4:5], s[4:5] op_sel_hi:[1,0]
	v_pk_mul_f32 v[6:7], v[6:7], s[4:5] op_sel_hi:[1,0]
	s_waitcnt vmcnt(2)
	v_pk_mul_f32 v[10:11], v[10:11], s[4:5] op_sel_hi:[1,0]
	v_pk_mul_f32 v[12:13], v[12:13], s[4:5] op_sel_hi:[1,0]
	v_cvt_f16_f32_e32 v3, v5
	v_cvt_f16_f32_e32 v4, v4
	;; [unrolled: 1-line block ×5, first 2 shown]
	s_waitcnt vmcnt(1)
	v_pk_mul_f32 v[14:15], v[14:15], s[4:5] op_sel_hi:[1,0]
	v_pk_mul_f32 v[16:17], v[16:17], s[4:5] op_sel_hi:[1,0]
	s_waitcnt vmcnt(0)
	v_pk_mul_f32 v[18:19], v[18:19], s[4:5] op_sel_hi:[1,0]
	v_pk_mul_f32 v[20:21], v[20:21], s[4:5] op_sel_hi:[1,0]
	v_cvt_f16_f32_e32 v10, v10
	v_cvt_f16_f32_e32 v7, v13
	;; [unrolled: 1-line block ×11, first 2 shown]
	v_pack_b32_f16 v5, v6, v5
	v_pack_b32_f16 v4, v4, v3
	;; [unrolled: 1-line block ×8, first 2 shown]
	ds_write2_b64 v1, v[4:5], v[6:7] offset1:20
	ds_write2_b64 v1, v[10:11], v[12:13] offset0:40 offset1:60
.LBB17_4:
	s_or_b64 exec, exec, s[12:13]
	v_lshlrev_b32_e32 v9, 3, v150
	v_or_b32_e32 v3, 4, v9
	v_lshrrev_b32_e32 v148, 2, v3
	s_and_saveexec_b64 s[12:13], s[44:45]
	s_cbranch_execnz .LBB17_13
; %bb.5:
	s_or_b64 exec, exec, s[12:13]
	v_or_b32_e32 v125, 5, v9
	s_and_saveexec_b64 s[12:13], s[44:45]
	s_cbranch_execnz .LBB17_14
.LBB17_6:
	s_or_b64 exec, exec, s[12:13]
	v_or_b32_e32 v121, 6, v9
	s_and_saveexec_b64 s[12:13], s[44:45]
	s_cbranch_execnz .LBB17_15
.LBB17_7:
	s_or_b64 exec, exec, s[12:13]
	v_or_b32_e32 v105, 7, v9
	s_and_saveexec_b64 s[10:11], s[44:45]
	s_cbranch_execz .LBB17_9
.LBB17_8:
	v_lshrrev_b32_e32 v1, 2, v105
	v_add_u32_e32 v1, s33, v1
	v_mul_hi_u32 v3, v1, s60
	v_add_u32_e32 v3, v1, v3
	v_lshrrev_b32_e32 v3, s61, v3
	v_mul_lo_u32 v3, v3, s62
	v_sub_u32_e32 v1, v1, v3
	v_mad_u64_u32 v[4:5], s[12:13], s8, v1, 0
	v_mov_b32_e32 v6, v5
	s_add_i32 s18, s18, s17
	v_mad_u64_u32 v[6:7], s[8:9], s9, v1, v[6:7]
	s_add_u32 s6, s6, s19
	v_mov_b32_e32 v5, v6
	s_addc_u32 s7, s7, s18
	v_lshl_add_u64 v[4:5], v[4:5], 2, s[6:7]
	v_mov_b32_e32 v1, 0
	v_lshl_add_u64 v[0:1], v[4:5], 0, v[0:1]
	global_load_dwordx4 v[4:7], v[0:1], off
	s_waitcnt vmcnt(0) lgkmcnt(0)
	v_pk_mul_f32 v[0:1], v[4:5], s[4:5] op_sel_hi:[1,0]
	v_pk_mul_f32 v[4:5], v[6:7], s[4:5] op_sel_hi:[1,0]
	v_cvt_f16_f32_e32 v3, v1
	v_cvt_f16_f32_e32 v1, v5
	;; [unrolled: 1-line block ×4, first 2 shown]
	v_mul_u32_u24_e32 v5, 40, v105
	v_add_lshl_u32 v2, v5, v2, 2
	v_pack_b32_f16 v1, v4, v1
	v_pack_b32_f16 v0, v0, v3
	ds_write_b64 v2, v[0:1]
.LBB17_9:
	s_or_b64 exec, exec, s[10:11]
	s_cmp_eq_u64 s[54:55], 0
	s_waitcnt lgkmcnt(0)
	s_barrier
	s_cbranch_scc1 .LBB17_11
; %bb.10:
	s_load_dword s4, s[0:1], 0xd0
	s_mov_b32 s7, 0
	s_waitcnt lgkmcnt(0)
	s_mul_i32 s4, s4, s70
	s_add_i32 s6, s4, s2
	s_lshl_b64 s[6:7], s[6:7], 2
	s_add_u32 s6, s54, s6
	s_addc_u32 s7, s55, s7
	s_load_dword s66, s[6:7], 0x0
.LBB17_11:
	s_lshl_b32 s54, s3, 5
	s_waitcnt lgkmcnt(0)
	s_cmp_lt_i32 s54, s66
	v_mbcnt_lo_u32_b32 v10, -1, 0
	s_cbranch_scc1 .LBB17_16
; %bb.12:
	v_mbcnt_hi_u32_b32 v165, -1, v10
	v_and_b32_e32 v0, 0x60, v165
	s_mov_b32 s2, 0
	v_add_u32_e32 v180, 32, v0
	v_xor_b32_e32 v184, 16, v165
	v_xor_b32_e32 v185, 8, v165
	;; [unrolled: 1-line block ×5, first 2 shown]
	s_mov_b64 s[6:7], 0
	s_mov_b32 s4, 0xfeffffff
	s_branch .LBB17_17
.LBB17_13:
	v_add_u32_e32 v1, s33, v148
	v_mul_hi_u32 v4, v1, s60
	v_add_u32_e32 v4, v1, v4
	v_lshrrev_b32_e32 v4, s61, v4
	v_mul_lo_u32 v4, v4, s62
	v_sub_u32_e32 v1, v1, v4
	v_mad_u64_u32 v[4:5], s[20:21], s8, v1, 0
	v_mov_b32_e32 v6, v5
	v_mad_u64_u32 v[6:7], s[20:21], s9, v1, v[6:7]
	v_mov_b32_e32 v5, v6
	v_lshl_add_u64 v[4:5], v[4:5], 2, s[6:7]
	v_mov_b32_e32 v1, 0
	v_lshl_add_u64 v[4:5], v[4:5], 0, v[0:1]
	global_load_dwordx4 v[4:7], v[4:5], off
	v_mul_u32_u24_e32 v3, 40, v3
	v_add_lshl_u32 v3, v3, v2, 2
	s_waitcnt vmcnt(0) lgkmcnt(0)
	v_pk_mul_f32 v[4:5], v[4:5], s[4:5] op_sel_hi:[1,0]
	v_pk_mul_f32 v[6:7], v[6:7], s[4:5] op_sel_hi:[1,0]
	v_cvt_f16_f32_e32 v1, v5
	v_cvt_f16_f32_e32 v5, v7
	;; [unrolled: 1-line block ×4, first 2 shown]
	v_pack_b32_f16 v5, v6, v5
	v_pack_b32_f16 v4, v4, v1
	ds_write_b64 v3, v[4:5]
	s_or_b64 exec, exec, s[12:13]
	v_or_b32_e32 v125, 5, v9
	s_and_saveexec_b64 s[12:13], s[44:45]
	s_cbranch_execz .LBB17_6
.LBB17_14:
	v_lshrrev_b32_e32 v1, 2, v125
	v_add_u32_e32 v1, s33, v1
	v_mul_hi_u32 v3, v1, s60
	v_add_u32_e32 v3, v1, v3
	v_lshrrev_b32_e32 v3, s61, v3
	v_mul_lo_u32 v3, v3, s62
	v_sub_u32_e32 v1, v1, v3
	v_mad_u64_u32 v[4:5], s[20:21], s8, v1, 0
	v_mov_b32_e32 v6, v5
	v_mad_u64_u32 v[6:7], s[20:21], s9, v1, v[6:7]
	s_lshl_b64 s[20:21], s[10:11], 2
	s_add_u32 s20, s6, s20
	v_mov_b32_e32 v5, v6
	s_addc_u32 s21, s7, s21
	v_lshl_add_u64 v[4:5], v[4:5], 2, s[20:21]
	v_mov_b32_e32 v1, 0
	v_lshl_add_u64 v[4:5], v[4:5], 0, v[0:1]
	global_load_dwordx4 v[4:7], v[4:5], off
	s_waitcnt vmcnt(0) lgkmcnt(0)
	v_pk_mul_f32 v[4:5], v[4:5], s[4:5] op_sel_hi:[1,0]
	v_pk_mul_f32 v[6:7], v[6:7], s[4:5] op_sel_hi:[1,0]
	v_cvt_f16_f32_e32 v1, v5
	v_cvt_f16_f32_e32 v3, v7
	;; [unrolled: 1-line block ×4, first 2 shown]
	v_mul_u32_u24_e32 v6, 40, v125
	v_add_lshl_u32 v6, v6, v2, 2
	v_pack_b32_f16 v5, v5, v3
	v_pack_b32_f16 v4, v4, v1
	ds_write_b64 v6, v[4:5]
	s_or_b64 exec, exec, s[12:13]
	v_or_b32_e32 v121, 6, v9
	s_and_saveexec_b64 s[12:13], s[44:45]
	s_cbranch_execz .LBB17_7
.LBB17_15:
	v_lshrrev_b32_e32 v1, 2, v121
	v_add_u32_e32 v1, s33, v1
	v_mul_hi_u32 v3, v1, s60
	v_add_u32_e32 v3, v1, v3
	v_lshrrev_b32_e32 v3, s61, v3
	v_mul_lo_u32 v3, v3, s62
	v_sub_u32_e32 v1, v1, v3
	v_mad_u64_u32 v[4:5], s[20:21], s8, v1, 0
	v_mov_b32_e32 v6, v5
	s_lshl_b64 s[10:11], s[10:11], 3
	v_mad_u64_u32 v[6:7], s[20:21], s9, v1, v[6:7]
	s_add_u32 s10, s6, s10
	v_mov_b32_e32 v5, v6
	s_addc_u32 s11, s7, s11
	v_lshl_add_u64 v[4:5], v[4:5], 2, s[10:11]
	v_mov_b32_e32 v1, 0
	v_lshl_add_u64 v[4:5], v[4:5], 0, v[0:1]
	global_load_dwordx4 v[4:7], v[4:5], off
	s_waitcnt vmcnt(0) lgkmcnt(0)
	v_pk_mul_f32 v[4:5], v[4:5], s[4:5] op_sel_hi:[1,0]
	v_pk_mul_f32 v[6:7], v[6:7], s[4:5] op_sel_hi:[1,0]
	v_cvt_f16_f32_e32 v1, v5
	v_cvt_f16_f32_e32 v3, v7
	v_cvt_f16_f32_e32 v5, v6
	v_cvt_f16_f32_e32 v4, v4
	v_mul_u32_u24_e32 v6, 40, v121
	v_add_lshl_u32 v6, v6, v2, 2
	v_pack_b32_f16 v5, v5, v3
	v_pack_b32_f16 v4, v4, v1
	ds_write_b64 v6, v[4:5]
	s_or_b64 exec, exec, s[12:13]
	v_or_b32_e32 v105, 7, v9
	s_and_saveexec_b64 s[10:11], s[44:45]
	s_cbranch_execnz .LBB17_8
	s_branch .LBB17_9
.LBB17_16:
	s_mov_b64 s[6:7], -1
                                        ; implicit-def: $sgpr4
                                        ; implicit-def: $sgpr2
                                        ; implicit-def: $vgpr165
                                        ; implicit-def: $vgpr180
                                        ; implicit-def: $vgpr184
                                        ; implicit-def: $vgpr185
                                        ; implicit-def: $vgpr183
                                        ; implicit-def: $vgpr182
                                        ; implicit-def: $vgpr181
.LBB17_17:
	s_andn2_b64 vcc, exec, s[6:7]
	v_mov_b32_e32 v7, s4
	v_mov_b32_e32 v107, s2
	;; [unrolled: 1-line block ×32, first 2 shown]
	s_cbranch_vccnz .LBB17_37
; %bb.18:
	s_load_dwordx2 s[6:7], s[0:1], 0x8c
	s_load_dwordx4 s[8:11], s[0:1], 0x98
	s_sub_i32 s2, 0, s14
	s_mul_i32 s2, s2, s16
	s_mul_hi_u32 s2, s16, s2
	s_waitcnt lgkmcnt(0)
	s_ashr_i32 s65, s6, 2
	s_ashr_i32 s55, s10, 2
	s_ashr_i32 s10, s5, 1
	s_ashr_i32 s5, s70, 31
	s_mul_i32 s6, s70, s9
	s_mul_hi_u32 s9, s70, s8
	s_abs_i32 s4, s64
	s_add_i32 s16, s16, s2
	s_add_i32 s6, s9, s6
	s_mul_i32 s9, s5, s8
	s_mul_hi_u32 s2, s4, s16
	s_ashr_i32 s16, s64, 31
	s_ashr_i32 s15, s15, 31
	s_add_i32 s6, s6, s9
	s_mul_i32 s8, s70, s8
	s_add_u32 s8, s46, s8
	s_addc_u32 s6, s47, s6
	s_xor_b32 s9, s16, s15
	s_mul_i32 s15, s2, s14
	s_sub_i32 s4, s4, s15
	s_add_i32 s15, s2, 1
	s_sub_i32 s16, s4, s14
	s_cmp_ge_u32 s4, s14
	s_cselect_b32 s2, s15, s2
	s_cselect_b32 s4, s16, s4
	s_add_i32 s15, s2, 1
	s_cmp_ge_u32 s4, s14
	s_cselect_b32 s2, s15, s2
	s_load_dwordx2 s[12:13], s[0:1], 0xa8
	s_xor_b32 s2, s2, s9
	s_sub_i32 s2, s2, s9
	s_mul_i32 s4, s2, s7
	s_ashr_i32 s7, s4, 31
	s_add_u32 s67, s8, s4
	s_addc_u32 s71, s6, s7
	s_waitcnt lgkmcnt(0)
	s_mul_i32 s4, s70, s13
	s_mul_hi_u32 s6, s70, s12
	s_add_i32 s4, s6, s4
	s_mul_i32 s5, s5, s12
	s_add_i32 s4, s4, s5
	s_mul_i32 s5, s70, s12
	s_add_u32 s5, s48, s5
	s_mul_i32 s2, s2, s11
	s_addc_u32 s4, s49, s4
	s_ashr_i32 s6, s2, 31
	v_lshrrev_b32_e32 v1, 2, v149
	s_add_u32 s72, s5, s2
	v_lshl_add_u32 v0, v150, 5, v149
	v_add_u32_e32 v1, v9, v1
	s_movk_i32 s2, 0x60
	v_mov_b32_e32 v2, 0x3840
	s_addc_u32 s73, s4, s6
	v_cmp_gt_u32_e64 s[4:5], 32, v1
	v_mad_u32_u24 v170, v0, s2, v2
	v_mul_u32_u24_e32 v2, 0x60, v1
	v_mul_lo_u32 v118, s65, v1
	v_mul_hi_u32 v1, s60, v8
	v_add_u32_e32 v1, v8, v1
	v_lshrrev_b32_e32 v1, s61, v1
	v_mul_lo_u32 v1, v1, s62
	v_cmp_gt_u32_e32 vcc, 32, v0
	v_mul_lo_u32 v114, s65, v0
	v_and_b32_e32 v0, 12, v104
	v_sub_u32_e32 v1, v8, v1
	v_lshlrev_b32_e32 v3, 2, v0
	s_movk_i32 s2, 0x3800
	v_mul_lo_u32 v172, v1, s10
	v_add_u32_e32 v1, 1, v8
	v_add3_u32 v171, v2, v3, s2
	v_mul_hi_u32 v2, s60, v1
	v_add_u32_e32 v2, v1, v2
	v_lshrrev_b32_e32 v2, s61, v2
	v_mul_lo_u32 v2, v2, s62
	v_sub_u32_e32 v1, v1, v2
	v_lshrrev_b32_e32 v2, 1, v149
	v_lshl_add_u32 v2, v150, 4, v2
	v_lshrrev_b32_e32 v3, 3, v149
	v_and_b32_e32 v120, 4, v104
	v_mul_u32_u24_e32 v4, 0xa0, v2
	v_mul_lo_u32 v173, v1, s10
	v_mov_b32_e32 v1, 0x2800
	v_lshl_add_u32 v3, v150, 2, v3
	v_lshl_or_b32 v4, v120, 2, v4
	v_and_b32_e32 v124, 28, v104
	v_mov_b32_e32 v117, 0
	v_lshl_add_u32 v174, v150, 9, v1
	v_lshlrev_b32_e32 v1, 4, v149
	v_cmp_gt_u32_e64 s[6:7], 16, v2
	v_add_u32_e32 v176, 0x3880, v4
	v_mul_lo_u32 v122, s55, v2
	v_mul_u32_u24_e32 v2, 0xa0, v3
	v_lshlrev_b32_e32 v4, 2, v124
	v_mul_lo_u32 v126, s55, v3
	s_add_u32 s46, s0, 0xd0
	v_mov_b32_e32 v8, 0xfeffffff
	v_mul_u32_u24_e32 v168, 0x60, v149
	v_mul_u32_u24_e32 v169, 0x500, v150
	v_ashrrev_i32_e32 v115, 31, v114
	v_ashrrev_i32_e32 v119, 31, v118
	v_cmp_gt_u32_e64 s[8:9], 16, v3
	v_lshlrev_b32_e32 v175, 3, v149
	v_ashrrev_i32_e32 v123, 31, v122
	v_add3_u32 v177, v2, v4, s2
	v_ashrrev_i32_e32 v127, 31, v126
	s_addc_u32 s47, s1, 0
	v_mbcnt_hi_u32_b32 v165, -1, v10
	s_mov_b32 s2, 0x40051340
	s_mov_b32 s60, 0x3fb8aa3b
	;; [unrolled: 1-line block ×4, first 2 shown]
	v_add_u32_e32 v178, v174, v1
	v_lshlrev_b32_e32 v116, 2, v0
	v_mov_b32_e32 v179, 0x7f800000
	v_mov_b32_e32 v152, v117
	;; [unrolled: 1-line block ×32, first 2 shown]
.LBB17_19:                              ; =>This Inner Loop Header: Depth=1
	s_mul_hi_i32 s11, s54, s65
	s_mul_i32 s10, s54, s65
	s_lshl_b64 s[10:11], s[10:11], 2
	s_add_u32 s10, s67, s10
	s_addc_u32 s11, s71, s11
	v_lshl_add_u64 v[18:19], v[114:115], 2, s[10:11]
	s_and_saveexec_b64 s[12:13], vcc
	s_cbranch_execz .LBB17_21
; %bb.20:                               ;   in Loop: Header=BB17_19 Depth=1
	global_load_dwordx4 v[0:3], v[18:19], off offset:64
	s_waitcnt vmcnt(0)
	ds_write_b128 v170, v[0:3]
.LBB17_21:                              ;   in Loop: Header=BB17_19 Depth=1
	s_or_b64 exec, exec, s[12:13]
	v_lshl_add_u64 v[16:17], v[118:119], 2, s[10:11]
	s_and_saveexec_b64 s[10:11], s[4:5]
	s_cbranch_execz .LBB17_23
; %bb.22:                               ;   in Loop: Header=BB17_19 Depth=1
	v_lshl_add_u64 v[0:1], v[16:17], 0, v[116:117]
	global_load_dwordx4 v[0:3], v[0:1], off
	s_waitcnt vmcnt(0)
	ds_write_b128 v171, v[0:3]
.LBB17_23:                              ;   in Loop: Header=BB17_19 Depth=1
	s_or_b64 exec, exec, s[10:11]
	v_mov_b32_e32 v0, 0
	s_waitcnt lgkmcnt(0)
	s_barrier
	ds_read_b128 v[20:23], v168 offset:14336
	ds_read_b128 v[2:5], v169
	ds_read_b128 v[24:27], v169 offset:160
	ds_read_b128 v[28:31], v169 offset:320
	;; [unrolled: 1-line block ×7, first 2 shown]
	s_waitcnt lgkmcnt(7)
	;;#ASMSTART
	v_dot2_f32_f16 v0, v20, v2, v0
	;;#ASMEND
	v_mov_b32_e32 v1, 0
	;;#ASMSTART
	v_dot2_f32_f16 v0, v21, v3, v0
	;;#ASMEND
	v_mov_b32_e32 v2, 0
	;; [unrolled: 4-line block ×3, first 2 shown]
	;;#ASMSTART
	v_dot2_f32_f16 v0, v23, v5, v0
	;;#ASMEND
	s_waitcnt lgkmcnt(6)
	;;#ASMSTART
	v_dot2_f32_f16 v1, v20, v24, v1
	;;#ASMEND
	v_mov_b32_e32 v4, 0
	;;#ASMSTART
	v_dot2_f32_f16 v1, v21, v25, v1
	;;#ASMEND
	v_mov_b32_e32 v5, 0
	;;#ASMSTART
	v_dot2_f32_f16 v1, v22, v26, v1
	;;#ASMEND
	v_mov_b32_e32 v6, 0
	;;#ASMSTART
	v_dot2_f32_f16 v1, v23, v27, v1
	;;#ASMEND
	s_waitcnt lgkmcnt(5)
	;;#ASMSTART
	v_dot2_f32_f16 v2, v20, v28, v2
	;;#ASMEND
	v_mov_b32_e32 v7, 0
	;;#ASMSTART
	v_dot2_f32_f16 v2, v21, v29, v2
	;;#ASMEND
	s_nop 0
	;;#ASMSTART
	v_dot2_f32_f16 v2, v22, v30, v2
	;;#ASMEND
	s_nop 0
	;;#ASMSTART
	v_dot2_f32_f16 v2, v23, v31, v2
	;;#ASMEND
	s_waitcnt lgkmcnt(4)
	;;#ASMSTART
	v_dot2_f32_f16 v3, v20, v32, v3
	;;#ASMEND
	s_nop 0
	;;#ASMSTART
	v_dot2_f32_f16 v3, v21, v33, v3
	;;#ASMEND
	s_nop 0
	;;#ASMSTART
	v_dot2_f32_f16 v3, v22, v34, v3
	;;#ASMEND
	s_nop 0
	;;#ASMSTART
	v_dot2_f32_f16 v3, v23, v35, v3
	;;#ASMEND
	s_waitcnt lgkmcnt(3)
	;;#ASMSTART
	v_dot2_f32_f16 v4, v20, v36, v4
	;;#ASMEND
	s_nop 0
	;; [unrolled: 16-line block ×5, first 2 shown]
	;;#ASMSTART
	v_dot2_f32_f16 v7, v21, v49, v7
	;;#ASMEND
	s_nop 0
	;;#ASMSTART
	v_dot2_f32_f16 v7, v22, v50, v7
	;;#ASMEND
	s_nop 0
	;;#ASMSTART
	v_dot2_f32_f16 v7, v23, v51, v7
	;;#ASMEND
	ds_read_b128 v[20:23], v168 offset:14352
	ds_read_b128 v[24:27], v169 offset:16
	;; [unrolled: 1-line block ×9, first 2 shown]
	s_waitcnt lgkmcnt(7)
	;;#ASMSTART
	v_dot2_f32_f16 v0, v20, v24, v0
	;;#ASMEND
	s_nop 0
	;;#ASMSTART
	v_dot2_f32_f16 v0, v21, v25, v0
	;;#ASMEND
	s_nop 0
	;;#ASMSTART
	v_dot2_f32_f16 v0, v22, v26, v0
	;;#ASMEND
	s_nop 0
	;;#ASMSTART
	v_dot2_f32_f16 v0, v23, v27, v0
	;;#ASMEND
	s_waitcnt lgkmcnt(6)
	;;#ASMSTART
	v_dot2_f32_f16 v1, v20, v28, v1
	;;#ASMEND
	s_nop 0
	;;#ASMSTART
	v_dot2_f32_f16 v1, v21, v29, v1
	;;#ASMEND
	s_nop 0
	;;#ASMSTART
	v_dot2_f32_f16 v1, v22, v30, v1
	;;#ASMEND
	s_nop 0
	;;#ASMSTART
	v_dot2_f32_f16 v1, v23, v31, v1
	;;#ASMEND
	;; [unrolled: 16-line block ×8, first 2 shown]
	ds_read_b128 v[20:23], v168 offset:14368
	ds_read_b128 v[24:27], v169 offset:32
	;; [unrolled: 1-line block ×9, first 2 shown]
	s_waitcnt lgkmcnt(7)
	;;#ASMSTART
	v_dot2_f32_f16 v0, v20, v24, v0
	;;#ASMEND
	s_nop 0
	;;#ASMSTART
	v_dot2_f32_f16 v0, v21, v25, v0
	;;#ASMEND
	s_nop 0
	;;#ASMSTART
	v_dot2_f32_f16 v0, v22, v26, v0
	;;#ASMEND
	s_nop 0
	;;#ASMSTART
	v_dot2_f32_f16 v0, v23, v27, v0
	;;#ASMEND
	s_waitcnt lgkmcnt(6)
	;;#ASMSTART
	v_dot2_f32_f16 v1, v20, v28, v1
	;;#ASMEND
	s_nop 0
	;;#ASMSTART
	v_dot2_f32_f16 v1, v21, v29, v1
	;;#ASMEND
	s_nop 0
	;;#ASMSTART
	v_dot2_f32_f16 v1, v22, v30, v1
	;;#ASMEND
	s_nop 0
	;;#ASMSTART
	v_dot2_f32_f16 v1, v23, v31, v1
	;;#ASMEND
	;; [unrolled: 16-line block ×8, first 2 shown]
	ds_read_b128 v[20:23], v168 offset:14384
	ds_read_b128 v[24:27], v169 offset:48
	;; [unrolled: 1-line block ×9, first 2 shown]
	s_waitcnt lgkmcnt(7)
	;;#ASMSTART
	v_dot2_f32_f16 v0, v20, v24, v0
	;;#ASMEND
	s_nop 0
	;;#ASMSTART
	v_dot2_f32_f16 v0, v21, v25, v0
	;;#ASMEND
	s_nop 0
	;;#ASMSTART
	v_dot2_f32_f16 v0, v22, v26, v0
	;;#ASMEND
	s_nop 0
	;;#ASMSTART
	v_dot2_f32_f16 v0, v23, v27, v0
	;;#ASMEND
	s_waitcnt lgkmcnt(6)
	;;#ASMSTART
	v_dot2_f32_f16 v1, v20, v28, v1
	;;#ASMEND
	s_nop 0
	;;#ASMSTART
	v_dot2_f32_f16 v1, v21, v29, v1
	;;#ASMEND
	s_nop 0
	;;#ASMSTART
	v_dot2_f32_f16 v1, v22, v30, v1
	;;#ASMEND
	s_nop 0
	;;#ASMSTART
	v_dot2_f32_f16 v1, v23, v31, v1
	;;#ASMEND
	;; [unrolled: 16-line block ×8, first 2 shown]
	ds_read_b128 v[20:23], v168 offset:14400
	ds_read_b128 v[24:27], v169 offset:64
	;; [unrolled: 1-line block ×9, first 2 shown]
	s_waitcnt lgkmcnt(7)
	;;#ASMSTART
	v_dot2_f32_f16 v0, v20, v24, v0
	;;#ASMEND
	s_nop 0
	;;#ASMSTART
	v_dot2_f32_f16 v0, v21, v25, v0
	;;#ASMEND
	s_nop 0
	;;#ASMSTART
	v_dot2_f32_f16 v0, v22, v26, v0
	;;#ASMEND
	s_nop 0
	;;#ASMSTART
	v_dot2_f32_f16 v0, v23, v27, v0
	;;#ASMEND
	s_waitcnt lgkmcnt(6)
	;;#ASMSTART
	v_dot2_f32_f16 v1, v20, v28, v1
	;;#ASMEND
	s_nop 0
	;;#ASMSTART
	v_dot2_f32_f16 v1, v21, v29, v1
	;;#ASMEND
	s_nop 0
	;;#ASMSTART
	v_dot2_f32_f16 v1, v22, v30, v1
	;;#ASMEND
	s_nop 0
	;;#ASMSTART
	v_dot2_f32_f16 v1, v23, v31, v1
	;;#ASMEND
	;; [unrolled: 16-line block ×8, first 2 shown]
	s_barrier
	s_and_saveexec_b64 s[10:11], vcc
	s_cbranch_execz .LBB17_25
; %bb.24:                               ;   in Loop: Header=BB17_19 Depth=1
	global_load_dwordx4 v[18:21], v[18:19], off offset:144
	s_waitcnt vmcnt(0)
	ds_write_b128 v170, v[18:21]
.LBB17_25:                              ;   in Loop: Header=BB17_19 Depth=1
	s_or_b64 exec, exec, s[10:11]
	s_and_saveexec_b64 s[10:11], s[4:5]
	s_cbranch_execz .LBB17_27
; %bb.26:                               ;   in Loop: Header=BB17_19 Depth=1
	v_lshl_add_u64 v[16:17], v[16:17], 0, v[116:117]
	global_load_dwordx4 v[16:19], v[16:17], off offset:80
	s_waitcnt vmcnt(0)
	ds_write_b128 v171, v[16:19]
.LBB17_27:                              ;   in Loop: Header=BB17_19 Depth=1
	s_or_b64 exec, exec, s[10:11]
	s_waitcnt lgkmcnt(0)
	s_barrier
	ds_read_b128 v[16:19], v168 offset:14336
	ds_read_b128 v[20:23], v169 offset:80
	;; [unrolled: 1-line block ×9, first 2 shown]
	s_waitcnt lgkmcnt(7)
	;;#ASMSTART
	v_dot2_f32_f16 v0, v16, v20, v0
	;;#ASMEND
	v_xor_b32_e32 v184, 16, v165
	;;#ASMSTART
	v_dot2_f32_f16 v0, v17, v21, v0
	;;#ASMEND
	v_xor_b32_e32 v185, 8, v165
	;; [unrolled: 4-line block ×3, first 2 shown]
	;;#ASMSTART
	v_dot2_f32_f16 v0, v19, v23, v0
	;;#ASMEND
	s_waitcnt lgkmcnt(6)
	;;#ASMSTART
	v_dot2_f32_f16 v1, v16, v24, v1
	;;#ASMEND
	v_xor_b32_e32 v182, 2, v165
	;;#ASMSTART
	v_dot2_f32_f16 v1, v17, v25, v1
	;;#ASMEND
	v_xor_b32_e32 v181, 1, v165
	;;#ASMSTART
	v_dot2_f32_f16 v1, v18, v26, v1
	;;#ASMEND
	v_lshlrev_b32_e32 v144, 2, v120
	;;#ASMSTART
	v_dot2_f32_f16 v1, v19, v27, v1
	;;#ASMEND
	s_waitcnt lgkmcnt(5)
	;;#ASMSTART
	v_dot2_f32_f16 v2, v16, v28, v2
	;;#ASMEND
	s_nop 0
	;;#ASMSTART
	v_dot2_f32_f16 v2, v17, v29, v2
	;;#ASMEND
	s_nop 0
	;;#ASMSTART
	v_dot2_f32_f16 v2, v18, v30, v2
	;;#ASMEND
	s_nop 0
	;;#ASMSTART
	v_dot2_f32_f16 v2, v19, v31, v2
	;;#ASMEND
	s_waitcnt lgkmcnt(4)
	;;#ASMSTART
	v_dot2_f32_f16 v3, v16, v32, v3
	;;#ASMEND
	s_nop 0
	;;#ASMSTART
	v_dot2_f32_f16 v3, v17, v33, v3
	;;#ASMEND
	s_nop 0
	;;#ASMSTART
	v_dot2_f32_f16 v3, v18, v34, v3
	;;#ASMEND
	s_nop 0
	;; [unrolled: 16-line block ×6, first 2 shown]
	;;#ASMSTART
	v_dot2_f32_f16 v7, v19, v51, v7
	;;#ASMEND
	ds_read_b128 v[16:19], v168 offset:14352
	ds_read_b128 v[20:23], v169 offset:96
	;; [unrolled: 1-line block ×9, first 2 shown]
	s_waitcnt lgkmcnt(7)
	;;#ASMSTART
	v_dot2_f32_f16 v0, v16, v20, v0
	;;#ASMEND
	s_nop 0
	;;#ASMSTART
	v_dot2_f32_f16 v0, v17, v21, v0
	;;#ASMEND
	s_nop 0
	;;#ASMSTART
	v_dot2_f32_f16 v0, v18, v22, v0
	;;#ASMEND
	s_nop 0
	;;#ASMSTART
	v_dot2_f32_f16 v0, v19, v23, v0
	;;#ASMEND
	s_waitcnt lgkmcnt(6)
	;;#ASMSTART
	v_dot2_f32_f16 v1, v16, v24, v1
	;;#ASMEND
	s_nop 0
	;;#ASMSTART
	v_dot2_f32_f16 v1, v17, v25, v1
	;;#ASMEND
	s_nop 0
	;;#ASMSTART
	v_dot2_f32_f16 v1, v18, v26, v1
	;;#ASMEND
	s_nop 0
	;;#ASMSTART
	v_dot2_f32_f16 v1, v19, v27, v1
	;;#ASMEND
	;; [unrolled: 16-line block ×8, first 2 shown]
	ds_read_b128 v[16:19], v168 offset:14368
	ds_read_b128 v[20:23], v169 offset:112
	;; [unrolled: 1-line block ×9, first 2 shown]
	s_waitcnt lgkmcnt(7)
	;;#ASMSTART
	v_dot2_f32_f16 v0, v16, v20, v0
	;;#ASMEND
	s_nop 0
	;;#ASMSTART
	v_dot2_f32_f16 v0, v17, v21, v0
	;;#ASMEND
	s_nop 0
	;;#ASMSTART
	v_dot2_f32_f16 v0, v18, v22, v0
	;;#ASMEND
	s_nop 0
	;;#ASMSTART
	v_dot2_f32_f16 v0, v19, v23, v0
	;;#ASMEND
	s_waitcnt lgkmcnt(6)
	;;#ASMSTART
	v_dot2_f32_f16 v1, v16, v24, v1
	;;#ASMEND
	s_nop 0
	;;#ASMSTART
	v_dot2_f32_f16 v1, v17, v25, v1
	;;#ASMEND
	s_nop 0
	;;#ASMSTART
	v_dot2_f32_f16 v1, v18, v26, v1
	;;#ASMEND
	s_nop 0
	;;#ASMSTART
	v_dot2_f32_f16 v1, v19, v27, v1
	;;#ASMEND
	;; [unrolled: 16-line block ×8, first 2 shown]
	ds_read_b128 v[16:19], v168 offset:14384
	ds_read_b128 v[20:23], v169 offset:128
	;; [unrolled: 1-line block ×9, first 2 shown]
	s_waitcnt lgkmcnt(7)
	;;#ASMSTART
	v_dot2_f32_f16 v0, v16, v20, v0
	;;#ASMEND
	s_nop 0
	;;#ASMSTART
	v_dot2_f32_f16 v0, v17, v21, v0
	;;#ASMEND
	s_nop 0
	;;#ASMSTART
	v_dot2_f32_f16 v0, v18, v22, v0
	;;#ASMEND
	s_nop 0
	;;#ASMSTART
	v_dot2_f32_f16 v0, v19, v23, v0
	;;#ASMEND
	s_waitcnt lgkmcnt(6)
	;;#ASMSTART
	v_dot2_f32_f16 v1, v16, v24, v1
	;;#ASMEND
	s_nop 0
	;;#ASMSTART
	v_dot2_f32_f16 v1, v17, v25, v1
	;;#ASMEND
	s_nop 0
	;;#ASMSTART
	v_dot2_f32_f16 v1, v18, v26, v1
	;;#ASMEND
	s_nop 0
	;;#ASMSTART
	v_dot2_f32_f16 v1, v19, v27, v1
	;;#ASMEND
	;; [unrolled: 16-line block ×8, first 2 shown]
	ds_read_b128 v[16:19], v168 offset:14400
	ds_read_b128 v[20:23], v169 offset:144
	;; [unrolled: 1-line block ×9, first 2 shown]
	s_waitcnt lgkmcnt(7)
	;;#ASMSTART
	v_dot2_f32_f16 v0, v16, v20, v0
	;;#ASMEND
	s_nop 0
	;;#ASMSTART
	v_dot2_f32_f16 v0, v17, v21, v0
	;;#ASMEND
	s_nop 0
	;;#ASMSTART
	v_dot2_f32_f16 v0, v18, v22, v0
	;;#ASMEND
	s_nop 0
	;;#ASMSTART
	v_dot2_f32_f16 v0, v19, v23, v0
	;;#ASMEND
	s_waitcnt lgkmcnt(6)
	;;#ASMSTART
	v_dot2_f32_f16 v1, v16, v24, v1
	;;#ASMEND
	s_nop 0
	;;#ASMSTART
	v_dot2_f32_f16 v1, v17, v25, v1
	;;#ASMEND
	s_nop 0
	;;#ASMSTART
	v_dot2_f32_f16 v1, v18, v26, v1
	;;#ASMEND
	s_nop 0
	;;#ASMSTART
	v_dot2_f32_f16 v1, v19, v27, v1
	;;#ASMEND
	;; [unrolled: 16-line block ×7, first 2 shown]
	s_waitcnt lgkmcnt(0)
	;;#ASMSTART
	v_dot2_f32_f16 v7, v16, v48, v7
	;;#ASMEND
	s_nop 0
	;;#ASMSTART
	v_dot2_f32_f16 v7, v17, v49, v7
	;;#ASMEND
	s_nop 0
	;;#ASMSTART
	v_dot2_f32_f16 v7, v18, v50, v7
	;;#ASMEND
	v_add_u32_e32 v18, s54, v149
	v_add_u32_e32 v16, v18, v172
	v_ashrrev_i32_e32 v17, 31, v16
	v_add_u32_e32 v18, v18, v173
	;;#ASMSTART
	v_dot2_f32_f16 v7, v19, v51, v7
	;;#ASMEND
	v_lshl_add_u64 v[16:17], v[16:17], 1, s[68:69]
	v_ashrrev_i32_e32 v19, 31, v18
	v_lshl_add_u64 v[18:19], v[18:19], 1, s[68:69]
	flat_load_ushort v20, v[16:17]
	flat_load_ushort v21, v[18:19]
	v_and_b32_e32 v16, 0x60, v165
	v_add_u32_e32 v180, 32, v16
	v_cmp_lt_i32_e64 s[10:11], v184, v180
	v_max_f32_e32 v19, v15, v15
	s_waitcnt lgkmcnt(0)
	v_cndmask_b32_e64 v16, v165, v184, s[10:11]
	v_cmp_lt_i32_e64 s[10:11], v185, v180
	v_lshlrev_b32_e32 v22, 2, v16
	s_barrier
	v_cndmask_b32_e64 v16, v165, v185, s[10:11]
	v_cmp_lt_i32_e64 s[10:11], v183, v180
	v_lshlrev_b32_e32 v23, 2, v16
	s_nop 0
	v_cndmask_b32_e64 v16, v165, v183, s[10:11]
	v_cmp_lt_i32_e64 s[10:11], v182, v180
	v_lshlrev_b32_e32 v24, 2, v16
	s_waitcnt vmcnt(0)
	v_cvt_f32_f16_e32 v18, v21
	v_cndmask_b32_e64 v16, v165, v182, s[10:11]
	v_cmp_lt_i32_e64 s[10:11], v181, v180
	v_lshlrev_b32_e32 v25, 2, v16
	s_nop 0
	v_cndmask_b32_e64 v16, v165, v181, s[10:11]
	v_lshlrev_b32_e32 v26, 2, v16
	v_cvt_f32_f16_e32 v16, v20
	v_pk_add_f32 v[20:21], v[2:3], v[16:17] op_sel_hi:[1,0]
	s_nop 0
	v_pk_add_f32 v[2:3], v[20:21], s[2:3] op_sel_hi:[1,0]
	v_pk_add_f32 v[16:17], v[0:1], v[16:17] op_sel_hi:[1,0]
	v_max_f32_e32 v3, v19, v3
	v_max_f32_e32 v19, v14, v14
	v_pk_add_f32 v[0:1], v[16:17], s[2:3] op_sel_hi:[1,0]
	v_max_f32_e32 v2, v19, v2
	v_max_f32_e32 v19, v9, v9
	;; [unrolled: 1-line block ×5, first 2 shown]
	ds_bpermute_b32 v19, v22, v2
	ds_bpermute_b32 v29, v22, v1
	;; [unrolled: 1-line block ×4, first 2 shown]
	s_waitcnt lgkmcnt(3)
	v_max_f32_e32 v19, v19, v19
	v_max_f32_e32 v2, v2, v19
	s_waitcnt lgkmcnt(2)
	v_max_f32_e32 v19, v29, v29
	v_max_f32_e32 v1, v1, v19
	;; [unrolled: 3-line block ×3, first 2 shown]
	ds_bpermute_b32 v19, v23, v2
	ds_bpermute_b32 v29, v23, v1
	s_waitcnt lgkmcnt(2)
	v_max_f32_e32 v27, v27, v27
	ds_bpermute_b32 v28, v23, v0
	v_max_f32_e32 v3, v3, v27
	ds_bpermute_b32 v27, v23, v3
	s_waitcnt lgkmcnt(3)
	v_max_f32_e32 v19, v19, v19
	v_max_f32_e32 v2, v2, v19
	s_waitcnt lgkmcnt(2)
	v_max_f32_e32 v19, v29, v29
	v_max_f32_e32 v1, v1, v19
	;; [unrolled: 3-line block ×3, first 2 shown]
	ds_bpermute_b32 v19, v24, v2
	s_waitcnt lgkmcnt(1)
	v_max_f32_e32 v27, v27, v27
	ds_bpermute_b32 v29, v24, v1
	v_max_f32_e32 v3, v3, v27
	ds_bpermute_b32 v28, v24, v0
	ds_bpermute_b32 v27, v24, v3
	s_waitcnt lgkmcnt(3)
	v_max_f32_e32 v19, v19, v19
	v_max_f32_e32 v2, v2, v19
	s_waitcnt lgkmcnt(2)
	v_max_f32_e32 v19, v29, v29
	v_max_f32_e32 v1, v1, v19
	s_waitcnt lgkmcnt(1)
	v_max_f32_e32 v19, v28, v28
	s_waitcnt lgkmcnt(0)
	v_max_f32_e32 v27, v27, v27
	v_max_f32_e32 v0, v0, v19
	ds_bpermute_b32 v19, v25, v2
	v_max_f32_e32 v3, v3, v27
	ds_bpermute_b32 v29, v25, v1
	ds_bpermute_b32 v27, v25, v3
	;; [unrolled: 1-line block ×3, first 2 shown]
	s_waitcnt lgkmcnt(3)
	v_max_f32_e32 v19, v19, v19
	v_max_f32_e32 v2, v2, v19
	s_waitcnt lgkmcnt(2)
	v_max_f32_e32 v19, v29, v29
	s_waitcnt lgkmcnt(1)
	v_max_f32_e32 v27, v27, v27
	v_max_f32_e32 v1, v1, v19
	s_waitcnt lgkmcnt(0)
	v_max_f32_e32 v19, v28, v28
	v_max_f32_e32 v3, v3, v27
	;; [unrolled: 1-line block ×3, first 2 shown]
	ds_bpermute_b32 v19, v26, v2
	ds_bpermute_b32 v27, v26, v3
	ds_bpermute_b32 v29, v26, v1
	ds_bpermute_b32 v28, v26, v0
	s_waitcnt lgkmcnt(3)
	v_max_f32_e32 v19, v19, v19
	s_waitcnt lgkmcnt(2)
	v_max_f32_e32 v27, v27, v27
	v_max_f32_e32 v2, v2, v19
	s_waitcnt lgkmcnt(1)
	v_max_f32_e32 v19, v29, v29
	v_max_f32_e32 v3, v3, v27
	;; [unrolled: 1-line block ×3, first 2 shown]
	s_waitcnt lgkmcnt(0)
	v_max_f32_e32 v19, v28, v28
	v_max_f32_e32 v0, v0, v19
	v_sub_f32_e32 v19, v21, v3
	v_mul_f32_e32 v21, 0x3fb8aa3b, v19
	v_fma_f32 v27, v19, s60, -v21
	v_rndne_f32_e32 v28, v21
	v_fmac_f32_e32 v27, 0x32a5705f, v19
	v_sub_f32_e32 v21, v21, v28
	v_add_f32_e32 v21, v21, v27
	v_exp_f32_e32 v21, v21
	v_cvt_i32_f32_e32 v27, v28
	v_sub_f32_e32 v20, v20, v2
	v_cmp_ngt_f32_e64 s[10:11], s61, v19
	v_sub_f32_e32 v17, v17, v1
	v_ldexp_f32 v21, v21, v27
	v_mul_f32_e32 v27, 0x3fb8aa3b, v20
	v_fma_f32 v28, v20, s60, -v27
	v_rndne_f32_e32 v29, v27
	v_fmac_f32_e32 v28, 0x32a5705f, v20
	v_sub_f32_e32 v27, v27, v29
	v_add_f32_e32 v27, v27, v28
	v_exp_f32_e32 v27, v27
	v_cvt_i32_f32_e32 v28, v29
	v_cndmask_b32_e64 v21, 0, v21, s[10:11]
	v_cmp_nlt_f32_e64 s[10:11], s74, v19
	v_sub_f32_e32 v16, v16, v0
	v_ldexp_f32 v19, v27, v28
	v_cndmask_b32_e64 v129, v179, v21, s[10:11]
	v_mul_f32_e32 v21, 0x3fb8aa3b, v17
	v_fma_f32 v27, v17, s60, -v21
	v_rndne_f32_e32 v28, v21
	v_fmac_f32_e32 v27, 0x32a5705f, v17
	v_sub_f32_e32 v21, v21, v28
	v_add_f32_e32 v21, v21, v27
	v_exp_f32_e32 v21, v21
	v_cvt_i32_f32_e32 v27, v28
	v_cmp_ngt_f32_e64 s[10:11], s61, v20
	s_nop 1
	v_cndmask_b32_e64 v19, 0, v19, s[10:11]
	v_cmp_nlt_f32_e64 s[10:11], s74, v20
	v_mul_f32_e32 v20, 0x3fb8aa3b, v16
	s_nop 0
	v_cndmask_b32_e64 v128, v179, v19, s[10:11]
	v_ldexp_f32 v19, v21, v27
	v_fma_f32 v21, v16, s60, -v20
	v_rndne_f32_e32 v27, v20
	v_fmac_f32_e32 v21, 0x32a5705f, v16
	v_sub_f32_e32 v20, v20, v27
	v_add_f32_e32 v20, v20, v21
	v_exp_f32_e32 v20, v20
	v_cvt_i32_f32_e32 v21, v27
	v_cmp_ngt_f32_e64 s[10:11], s61, v17
	v_max_f32_e32 v27, v11, v11
	s_nop 0
	v_cndmask_b32_e64 v19, 0, v19, s[10:11]
	v_cmp_nlt_f32_e64 s[10:11], s74, v17
	v_ldexp_f32 v17, v20, v21
	v_cvt_f16_f32_e32 v21, v129
	v_cndmask_b32_e64 v131, v179, v19, s[10:11]
	v_cmp_ngt_f32_e64 s[10:11], s61, v16
	v_cvt_f16_f32_e32 v20, v131
	s_nop 0
	v_cndmask_b32_e64 v17, 0, v17, s[10:11]
	v_cmp_nlt_f32_e64 s[10:11], s74, v16
	s_nop 1
	v_cndmask_b32_e64 v130, v179, v17, s[10:11]
	v_pk_add_f32 v[16:17], v[6:7], v[18:19] op_sel_hi:[1,0]
	v_pk_add_f32 v[18:19], v[4:5], v[18:19] op_sel_hi:[1,0]
	;; [unrolled: 1-line block ×4, first 2 shown]
	v_max_f32_e32 v7, v27, v7
	v_max_f32_e32 v27, v10, v10
	v_max_f32_e32 v6, v27, v6
	v_max_f32_e32 v27, v13, v13
	v_max_f32_e32 v5, v27, v5
	v_max_f32_e32 v27, v12, v12
	v_max_f32_e32 v4, v27, v4
	ds_bpermute_b32 v28, v22, v7
	ds_bpermute_b32 v27, v22, v6
	;; [unrolled: 1-line block ×4, first 2 shown]
	s_waitcnt lgkmcnt(3)
	v_max_f32_e32 v28, v28, v28
	s_waitcnt lgkmcnt(2)
	v_max_f32_e32 v27, v27, v27
	v_max_f32_e32 v6, v6, v27
	s_waitcnt lgkmcnt(0)
	v_max_f32_e32 v22, v22, v22
	v_max_f32_e32 v5, v5, v22
	;; [unrolled: 1-line block ×5, first 2 shown]
	ds_bpermute_b32 v22, v23, v6
	ds_bpermute_b32 v27, v23, v7
	;; [unrolled: 1-line block ×4, first 2 shown]
	s_waitcnt lgkmcnt(3)
	v_max_f32_e32 v22, v22, v22
	v_max_f32_e32 v6, v6, v22
	s_waitcnt lgkmcnt(2)
	v_max_f32_e32 v27, v27, v27
	s_waitcnt lgkmcnt(0)
	v_max_f32_e32 v22, v23, v23
	v_max_f32_e32 v5, v5, v22
	;; [unrolled: 1-line block ×5, first 2 shown]
	ds_bpermute_b32 v22, v24, v6
	ds_bpermute_b32 v23, v24, v7
	;; [unrolled: 1-line block ×4, first 2 shown]
	s_waitcnt lgkmcnt(3)
	v_max_f32_e32 v22, v22, v22
	v_max_f32_e32 v6, v6, v22
	s_waitcnt lgkmcnt(2)
	v_max_f32_e32 v23, v23, v23
	s_waitcnt lgkmcnt(0)
	v_max_f32_e32 v22, v24, v24
	v_max_f32_e32 v5, v5, v22
	;; [unrolled: 1-line block ×5, first 2 shown]
	ds_bpermute_b32 v22, v25, v6
	ds_bpermute_b32 v23, v25, v7
	;; [unrolled: 1-line block ×4, first 2 shown]
	s_waitcnt lgkmcnt(3)
	v_max_f32_e32 v22, v22, v22
	s_waitcnt lgkmcnt(2)
	v_max_f32_e32 v23, v23, v23
	v_max_f32_e32 v6, v6, v22
	s_waitcnt lgkmcnt(0)
	v_max_f32_e32 v22, v25, v25
	v_max_f32_e32 v7, v7, v23
	;; [unrolled: 1-line block ×4, first 2 shown]
	ds_bpermute_b32 v23, v26, v7
	v_max_f32_e32 v4, v4, v22
	ds_bpermute_b32 v22, v26, v6
	ds_bpermute_b32 v25, v26, v5
	;; [unrolled: 1-line block ×3, first 2 shown]
	s_waitcnt lgkmcnt(3)
	v_max_f32_e32 v23, v23, v23
	v_max_f32_e32 v7, v7, v23
	s_waitcnt lgkmcnt(2)
	v_max_f32_e32 v22, v22, v22
	v_max_f32_e32 v6, v6, v22
	;; [unrolled: 3-line block ×3, first 2 shown]
	s_waitcnt lgkmcnt(0)
	v_max_f32_e32 v22, v24, v24
	v_sub_f32_e32 v17, v17, v7
	v_max_f32_e32 v4, v4, v22
	v_mul_f32_e32 v22, 0x3fb8aa3b, v17
	v_fma_f32 v23, v17, s60, -v22
	v_rndne_f32_e32 v24, v22
	v_fmac_f32_e32 v23, 0x32a5705f, v17
	v_sub_f32_e32 v22, v22, v24
	v_add_f32_e32 v22, v22, v23
	v_exp_f32_e32 v22, v22
	v_cvt_i32_f32_e32 v23, v24
	v_sub_f32_e32 v16, v16, v6
	v_cmp_ngt_f32_e64 s[10:11], s61, v17
	v_sub_f32_e32 v19, v19, v5
	v_ldexp_f32 v22, v22, v23
	v_mul_f32_e32 v23, 0x3fb8aa3b, v16
	v_fma_f32 v24, v16, s60, -v23
	v_rndne_f32_e32 v25, v23
	v_fmac_f32_e32 v24, 0x32a5705f, v16
	v_sub_f32_e32 v23, v23, v25
	v_add_f32_e32 v23, v23, v24
	v_exp_f32_e32 v23, v23
	v_cvt_i32_f32_e32 v24, v25
	v_cndmask_b32_e64 v22, 0, v22, s[10:11]
	v_cmp_nlt_f32_e64 s[10:11], s74, v17
	v_sub_f32_e32 v18, v18, v4
	v_ldexp_f32 v17, v23, v24
	v_cndmask_b32_e64 v133, v179, v22, s[10:11]
	v_mul_f32_e32 v22, 0x3fb8aa3b, v19
	v_fma_f32 v23, v19, s60, -v22
	v_rndne_f32_e32 v24, v22
	v_fmac_f32_e32 v23, 0x32a5705f, v19
	v_sub_f32_e32 v22, v22, v24
	v_add_f32_e32 v22, v22, v23
	v_exp_f32_e32 v22, v22
	v_cvt_i32_f32_e32 v23, v24
	v_cmp_ngt_f32_e64 s[10:11], s61, v16
	v_cvt_f16_f32_e32 v24, v130
	s_nop 0
	v_cndmask_b32_e64 v17, 0, v17, s[10:11]
	v_cmp_nlt_f32_e64 s[10:11], s74, v16
	v_ldexp_f32 v16, v22, v23
	s_nop 0
	v_cndmask_b32_e64 v132, v179, v17, s[10:11]
	v_mul_f32_e32 v17, 0x3fb8aa3b, v18
	v_fma_f32 v22, v18, s60, -v17
	v_rndne_f32_e32 v23, v17
	v_fmac_f32_e32 v22, 0x32a5705f, v18
	v_sub_f32_e32 v17, v17, v23
	v_add_f32_e32 v17, v17, v22
	v_exp_f32_e32 v17, v17
	v_cvt_i32_f32_e32 v22, v23
	v_cmp_ngt_f32_e64 s[10:11], s61, v19
	v_cvt_f16_f32_e32 v23, v128
	s_nop 0
	v_cndmask_b32_e64 v16, 0, v16, s[10:11]
	v_cmp_nlt_f32_e64 s[10:11], s74, v19
	s_nop 1
	v_cndmask_b32_e64 v135, v179, v16, s[10:11]
	v_ldexp_f32 v16, v17, v22
	v_cmp_ngt_f32_e64 s[10:11], s61, v18
	v_cvt_f16_f32_e32 v17, v133
	s_nop 0
	v_cndmask_b32_e64 v16, 0, v16, s[10:11]
	v_cmp_nlt_f32_e64 s[10:11], s74, v18
	v_cvt_f16_f32_e32 v18, v132
	v_pack_b32_f16 v19, v18, v17
	v_cndmask_b32_e64 v134, v179, v16, s[10:11]
	v_cvt_f16_f32_e32 v16, v135
	v_cvt_f16_f32_e32 v22, v134
	s_mul_hi_i32 s11, s54, s55
	s_mul_i32 s10, s54, s55
	s_lshl_b64 s[10:11], s[10:11], 2
	s_add_u32 s10, s72, s10
	v_pack_b32_f16 v18, v22, v16
	v_pack_b32_f16 v17, v23, v21
	;; [unrolled: 1-line block ×3, first 2 shown]
	s_addc_u32 s11, s73, s11
	ds_write_b128 v178, v[16:19]
	s_and_saveexec_b64 s[12:13], s[6:7]
	s_cbranch_execz .LBB17_29
; %bb.28:                               ;   in Loop: Header=BB17_19 Depth=1
	v_lshl_add_u64 v[16:17], v[122:123], 2, s[10:11]
	v_mov_b32_e32 v145, v117
	v_lshl_add_u64 v[16:17], v[16:17], 0, v[144:145]
	global_load_dwordx4 v[16:19], v[16:17], off offset:128
	s_waitcnt vmcnt(0)
	ds_write_b128 v176, v[16:19]
.LBB17_29:                              ;   in Loop: Header=BB17_19 Depth=1
	s_or_b64 exec, exec, s[12:13]
	v_lshlrev_b32_e32 v146, 2, v124
	s_and_saveexec_b64 s[12:13], s[8:9]
	s_cbranch_execz .LBB17_31
; %bb.30:                               ;   in Loop: Header=BB17_19 Depth=1
	v_lshl_add_u64 v[16:17], v[126:127], 2, s[10:11]
	v_mov_b32_e32 v147, v117
	v_lshl_add_u64 v[16:17], v[16:17], 0, v[146:147]
	global_load_dwordx4 v[16:19], v[16:17], off
	s_waitcnt vmcnt(0)
	ds_write_b128 v177, v[16:19]
.LBB17_31:                              ;   in Loop: Header=BB17_19 Depth=1
	s_or_b64 exec, exec, s[12:13]
	v_add_u32_e32 v188, 0x3800, v175
	s_waitcnt lgkmcnt(0)
	s_barrier
	ds_read2_b64 v[92:95], v188 offset1:20
	ds_read_b128 v[100:103], v174
	ds_read_b128 v[96:99], v174 offset:16
	ds_read_b128 v[88:91], v174 offset:32
	;; [unrolled: 1-line block ×3, first 2 shown]
	ds_read2_b64 v[84:87], v188 offset0:40 offset1:60
	ds_read2_b64 v[68:71], v188 offset0:80 offset1:100
	ds_read_b128 v[76:79], v174 offset:64
	ds_read_b128 v[72:75], v174 offset:80
	ds_read2_b64 v[56:59], v188 offset0:120 offset1:140
	ds_read_b128 v[64:67], v174 offset:96
	ds_read_b128 v[60:63], v174 offset:112
	ds_read2_b64 v[44:47], v188 offset0:160 offset1:180
	ds_read_b128 v[52:55], v174 offset:128
	ds_read_b128 v[48:51], v174 offset:144
	ds_read2_b64 v[32:35], v188 offset0:200 offset1:220
	ds_read_b128 v[40:43], v174 offset:160
	ds_read_b128 v[36:39], v174 offset:176
	v_add_u32_e32 v187, 0x3c00, v175
	v_add_u32_e32 v186, 0x4000, v175
	v_pk_add_f32 v[136:137], v[8:9], v[0:1] neg_lo:[0,1] neg_hi:[0,1]
	v_pk_add_f32 v[138:139], v[14:15], v[2:3] neg_lo:[0,1] neg_hi:[0,1]
	;; [unrolled: 1-line block ×4, first 2 shown]
	ds_read2_b64 v[20:23], v187 offset0:112 offset1:132
	ds_read_b128 v[28:31], v174 offset:192
	ds_read_b128 v[24:27], v174 offset:208
	ds_read2_b64 v[8:11], v186 offset0:24 offset1:44
	ds_read_b128 v[16:19], v174 offset:224
	ds_read_b128 v[12:15], v174 offset:240
	s_or_b32 s48, s54, 16
	s_mul_hi_i32 s49, s48, s55
	s_mul_i32 s48, s48, s55
	s_lshl_b64 s[48:49], s[48:49], 2
	s_add_u32 s48, s72, s48
	v_cmp_ngt_f32_e64 s[40:41], s61, v137
	v_cmp_nlt_f32_e64 s[42:43], s74, v137
	v_cmp_ngt_f32_e64 s[36:37], s61, v136
	v_cmp_nlt_f32_e64 s[38:39], s74, v136
	;; [unrolled: 2-line block ×8, first 2 shown]
	s_addc_u32 s49, s73, s49
	s_waitcnt lgkmcnt(0)
	s_barrier
	s_and_saveexec_b64 s[50:51], s[6:7]
	s_cbranch_execz .LBB17_33
; %bb.32:                               ;   in Loop: Header=BB17_19 Depth=1
	v_lshl_add_u64 v[190:191], v[122:123], 2, s[48:49]
	v_mov_b32_e32 v145, v117
	v_lshl_add_u64 v[144:145], v[190:191], 0, v[144:145]
	global_load_dwordx4 v[190:193], v[144:145], off offset:128
	s_waitcnt vmcnt(0)
	ds_write_b128 v176, v[190:193]
.LBB17_33:                              ;   in Loop: Header=BB17_19 Depth=1
	s_or_b64 exec, exec, s[50:51]
	s_and_saveexec_b64 s[50:51], s[8:9]
	s_cbranch_execz .LBB17_35
; %bb.34:                               ;   in Loop: Header=BB17_19 Depth=1
	v_lshl_add_u64 v[144:145], v[126:127], 2, s[48:49]
	v_mov_b32_e32 v147, v117
	v_lshl_add_u64 v[144:145], v[144:145], 0, v[146:147]
	global_load_dwordx4 v[144:147], v[144:145], off
	s_waitcnt vmcnt(0)
	ds_write_b128 v177, v[144:147]
.LBB17_35:                              ;   in Loop: Header=BB17_19 Depth=1
	s_or_b64 exec, exec, s[50:51]
	v_mul_f32_e32 v144, 0x3fb8aa3b, v137
	v_fma_f32 v145, v137, s60, -v144
	v_fmac_f32_e32 v145, 0x32a5705f, v137
	v_rndne_f32_e32 v137, v144
	v_sub_f32_e32 v144, v144, v137
	v_add_f32_e32 v144, v144, v145
	v_mul_f32_e32 v145, 0x3fb8aa3b, v136
	v_fma_f32 v146, v136, s60, -v145
	v_fmac_f32_e32 v146, 0x32a5705f, v136
	v_rndne_f32_e32 v136, v145
	v_sub_f32_e32 v145, v145, v136
	v_exp_f32_e32 v144, v144
	v_cvt_i32_f32_e32 v137, v137
	v_add_f32_e32 v145, v145, v146
	v_exp_f32_e32 v145, v145
	v_cvt_i32_f32_e32 v136, v136
	v_ldexp_f32 v137, v144, v137
	v_mul_f32_e32 v144, 0x3fb8aa3b, v139
	v_cndmask_b32_e64 v137, 0, v137, s[40:41]
	v_ldexp_f32 v136, v145, v136
	v_fma_f32 v145, v139, s60, -v144
	v_fmac_f32_e32 v145, 0x32a5705f, v139
	v_rndne_f32_e32 v139, v144
	v_sub_f32_e32 v144, v144, v139
	v_add_f32_e32 v144, v144, v145
	v_mul_f32_e32 v145, 0x3fb8aa3b, v138
	v_fma_f32 v146, v138, s60, -v145
	v_fmac_f32_e32 v146, 0x32a5705f, v138
	v_rndne_f32_e32 v138, v145
	v_sub_f32_e32 v145, v145, v138
	v_exp_f32_e32 v144, v144
	v_cvt_i32_f32_e32 v139, v139
	v_add_f32_e32 v145, v145, v146
	v_exp_f32_e32 v145, v145
	v_cvt_i32_f32_e32 v138, v138
	v_ldexp_f32 v139, v144, v139
	v_mul_f32_e32 v144, 0x3fb8aa3b, v141
	v_cndmask_b32_e64 v137, v179, v137, s[42:43]
	v_ldexp_f32 v138, v145, v138
	;; [unrolled: 19-line block ×3, first 2 shown]
	v_fma_f32 v145, v143, s60, -v144
	v_fmac_f32_e32 v145, 0x32a5705f, v143
	v_rndne_f32_e32 v143, v144
	v_sub_f32_e32 v144, v144, v143
	v_add_f32_e32 v144, v144, v145
	v_mul_f32_e32 v145, 0x3fb8aa3b, v142
	v_fma_f32 v146, v142, s60, -v145
	v_fmac_f32_e32 v146, 0x32a5705f, v142
	v_rndne_f32_e32 v142, v145
	v_sub_f32_e32 v145, v145, v142
	v_add_f32_e32 v145, v145, v146
	v_exp_f32_e32 v145, v145
	v_cvt_i32_f32_e32 v142, v142
	v_cndmask_b32_e64 v138, v179, v138, s[28:29]
	v_exp_f32_e32 v144, v144
	v_cvt_i32_f32_e32 v143, v143
	v_ldexp_f32 v142, v145, v142
	v_cvt_f16_f32_e32 v145, v137
	v_cvt_f16_f32_e32 v147, v138
	v_cndmask_b32_e64 v136, 0, v136, s[36:37]
	v_cndmask_b32_e64 v139, 0, v139, s[30:31]
	;; [unrolled: 1-line block ×6, first 2 shown]
	v_ldexp_f32 v143, v144, v143
	v_cvt_f16_f32_e32 v144, v136
	v_pk_mul_f16 v164, v145, v164 op_sel_hi:[0,1]
	v_pk_mul_f16 v145, v145, v163 op_sel_hi:[0,1]
	v_cvt_f16_f32_e32 v163, v139
	v_pk_mul_f16 v162, v147, v162 op_sel_hi:[0,1]
	v_pk_mul_f16 v147, v147, v161 op_sel_hi:[0,1]
	v_cvt_f16_f32_e32 v161, v140
	v_cndmask_b32_e64 v141, 0, v141, s[22:23]
	v_cndmask_b32_e64 v143, 0, v143, s[14:15]
	;; [unrolled: 1-line block ×6, first 2 shown]
	v_pk_mul_f16 v146, v144, v166 op_sel_hi:[0,1]
	v_pk_mul_f16 v159, v163, v159 op_sel_hi:[0,1]
	;; [unrolled: 1-line block ×3, first 2 shown]
	v_cvt_f16_f32_e32 v163, v141
	v_pk_mul_f16 v157, v161, v157 op_sel_hi:[0,1]
	v_pk_mul_f16 v158, v161, v158 op_sel_hi:[0,1]
	v_cvt_f16_f32_e32 v161, v142
	v_cvt_f16_f32_e32 v166, v143
	v_pk_mul_f16 v144, v144, v167 op_sel_hi:[0,1]
	v_pk_mul_f16 v155, v163, v155 op_sel_hi:[0,1]
	;; [unrolled: 1-line block ×7, first 2 shown]
	v_pk_fma_f16 v146, v92, v100, v146 op_sel_hi:[1,0,1]
	v_pk_fma_f16 v161, v92, v100, v164 op_sel:[0,1,0]
	v_pk_fma_f16 v162, v92, v101, v162 op_sel_hi:[1,0,1]
	v_pk_fma_f16 v159, v92, v101, v159 op_sel:[0,1,0]
	v_pk_fma_f16 v157, v92, v102, v157 op_sel_hi:[1,0,1]
	v_pk_fma_f16 v155, v92, v102, v155 op_sel:[0,1,0]
	v_pk_fma_f16 v153, v92, v103, v153 op_sel_hi:[1,0,1]
	v_pk_fma_f16 v92, v92, v103, v151 op_sel:[0,1,0]
	v_pk_fma_f16 v144, v93, v100, v144 op_sel_hi:[1,0,1]
	v_pk_fma_f16 v100, v93, v100, v145 op_sel:[0,1,0]
	v_pk_fma_f16 v145, v93, v101, v147 op_sel_hi:[1,0,1]
	v_pk_fma_f16 v101, v93, v101, v160 op_sel:[0,1,0]
	v_pk_fma_f16 v147, v93, v102, v158 op_sel_hi:[1,0,1]
	v_pk_fma_f16 v102, v93, v102, v156 op_sel:[0,1,0]
	v_pk_fma_f16 v151, v93, v103, v154 op_sel_hi:[1,0,1]
	v_pk_fma_f16 v93, v93, v103, v152 op_sel:[0,1,0]
	v_pk_fma_f16 v103, v94, v96, v146 op_sel_hi:[1,0,1]
	v_pk_fma_f16 v146, v94, v96, v161 op_sel:[0,1,0]
	v_pk_fma_f16 v152, v94, v97, v162 op_sel_hi:[1,0,1]
	v_pk_fma_f16 v154, v94, v97, v159 op_sel:[0,1,0]
	v_pk_fma_f16 v156, v94, v98, v157 op_sel_hi:[1,0,1]
	v_pk_fma_f16 v155, v94, v98, v155 op_sel:[0,1,0]
	v_pk_fma_f16 v153, v94, v99, v153 op_sel_hi:[1,0,1]
	v_pk_fma_f16 v92, v94, v99, v92 op_sel:[0,1,0]
	v_pk_fma_f16 v94, v95, v96, v144 op_sel_hi:[1,0,1]
	v_pk_fma_f16 v96, v95, v96, v100 op_sel:[0,1,0]
	v_pk_fma_f16 v100, v95, v97, v145 op_sel_hi:[1,0,1]
	v_pk_fma_f16 v97, v95, v97, v101 op_sel:[0,1,0]
	v_pk_fma_f16 v101, v95, v98, v147 op_sel_hi:[1,0,1]
	v_pk_fma_f16 v98, v95, v98, v102 op_sel:[0,1,0]
	v_pk_fma_f16 v102, v95, v99, v151 op_sel_hi:[1,0,1]
	v_pk_fma_f16 v93, v95, v99, v93 op_sel:[0,1,0]
	v_pk_fma_f16 v95, v84, v88, v103 op_sel_hi:[1,0,1]
	v_pk_fma_f16 v99, v84, v88, v146 op_sel:[0,1,0]
	v_pk_fma_f16 v103, v84, v89, v152 op_sel_hi:[1,0,1]
	v_pk_fma_f16 v144, v84, v89, v154 op_sel:[0,1,0]
	v_pk_fma_f16 v145, v84, v90, v156 op_sel_hi:[1,0,1]
	v_pk_fma_f16 v146, v84, v90, v155 op_sel:[0,1,0]
	v_pk_fma_f16 v147, v84, v91, v153 op_sel_hi:[1,0,1]
	v_pk_fma_f16 v84, v84, v91, v92 op_sel:[0,1,0]
	v_pk_fma_f16 v92, v85, v88, v94 op_sel_hi:[1,0,1]
	v_pk_fma_f16 v88, v85, v88, v96 op_sel:[0,1,0]
	v_pk_fma_f16 v94, v85, v89, v100 op_sel_hi:[1,0,1]
	v_pk_fma_f16 v89, v85, v89, v97 op_sel:[0,1,0]
	v_pk_fma_f16 v96, v85, v90, v101 op_sel_hi:[1,0,1]
	v_pk_fma_f16 v90, v85, v90, v98 op_sel:[0,1,0]
	v_pk_fma_f16 v97, v85, v91, v102 op_sel_hi:[1,0,1]
	v_pk_fma_f16 v85, v85, v91, v93 op_sel:[0,1,0]
	v_pk_fma_f16 v91, v86, v80, v95 op_sel_hi:[1,0,1]
	v_pk_fma_f16 v93, v86, v80, v99 op_sel:[0,1,0]
	v_pk_fma_f16 v95, v86, v81, v103 op_sel_hi:[1,0,1]
	v_pk_fma_f16 v98, v86, v81, v144 op_sel:[0,1,0]
	v_pk_fma_f16 v99, v86, v82, v145 op_sel_hi:[1,0,1]
	v_pk_fma_f16 v100, v86, v82, v146 op_sel:[0,1,0]
	v_pk_fma_f16 v101, v86, v83, v147 op_sel_hi:[1,0,1]
	v_pk_fma_f16 v84, v86, v83, v84 op_sel:[0,1,0]
	v_pk_fma_f16 v86, v87, v80, v92 op_sel_hi:[1,0,1]
	v_pk_fma_f16 v80, v87, v80, v88 op_sel:[0,1,0]
	v_pk_fma_f16 v88, v87, v81, v94 op_sel_hi:[1,0,1]
	v_pk_fma_f16 v81, v87, v81, v89 op_sel:[0,1,0]
	v_pk_fma_f16 v89, v87, v82, v96 op_sel_hi:[1,0,1]
	v_pk_fma_f16 v82, v87, v82, v90 op_sel:[0,1,0]
	v_pk_fma_f16 v90, v87, v83, v97 op_sel_hi:[1,0,1]
	v_pk_fma_f16 v83, v87, v83, v85 op_sel:[0,1,0]
	v_pk_fma_f16 v85, v68, v76, v91 op_sel_hi:[1,0,1]
	v_pk_fma_f16 v87, v68, v76, v93 op_sel:[0,1,0]
	v_pk_fma_f16 v91, v68, v77, v95 op_sel_hi:[1,0,1]
	v_pk_fma_f16 v92, v68, v77, v98 op_sel:[0,1,0]
	v_pk_fma_f16 v93, v68, v78, v99 op_sel_hi:[1,0,1]
	v_pk_fma_f16 v94, v68, v78, v100 op_sel:[0,1,0]
	v_pk_fma_f16 v95, v68, v79, v101 op_sel_hi:[1,0,1]
	v_pk_fma_f16 v68, v68, v79, v84 op_sel:[0,1,0]
	v_pk_fma_f16 v84, v69, v76, v86 op_sel_hi:[1,0,1]
	v_pk_fma_f16 v76, v69, v76, v80 op_sel:[0,1,0]
	v_pk_fma_f16 v80, v69, v77, v88 op_sel_hi:[1,0,1]
	v_pk_fma_f16 v77, v69, v77, v81 op_sel:[0,1,0]
	v_pk_fma_f16 v81, v69, v78, v89 op_sel_hi:[1,0,1]
	v_pk_fma_f16 v78, v69, v78, v82 op_sel:[0,1,0]
	v_pk_fma_f16 v82, v69, v79, v90 op_sel_hi:[1,0,1]
	v_pk_fma_f16 v69, v69, v79, v83 op_sel:[0,1,0]
	v_pk_fma_f16 v79, v70, v72, v85 op_sel_hi:[1,0,1]
	v_pk_fma_f16 v83, v70, v72, v87 op_sel:[0,1,0]
	v_pk_fma_f16 v85, v70, v73, v91 op_sel_hi:[1,0,1]
	v_pk_fma_f16 v86, v70, v73, v92 op_sel:[0,1,0]
	v_pk_fma_f16 v87, v70, v74, v93 op_sel_hi:[1,0,1]
	v_pk_fma_f16 v88, v70, v74, v94 op_sel:[0,1,0]
	v_pk_fma_f16 v89, v70, v75, v95 op_sel_hi:[1,0,1]
	v_pk_fma_f16 v68, v70, v75, v68 op_sel:[0,1,0]
	v_pk_fma_f16 v70, v71, v72, v84 op_sel_hi:[1,0,1]
	v_pk_fma_f16 v72, v71, v72, v76 op_sel:[0,1,0]
	v_pk_fma_f16 v76, v71, v73, v80 op_sel_hi:[1,0,1]
	v_pk_fma_f16 v73, v71, v73, v77 op_sel:[0,1,0]
	v_pk_fma_f16 v77, v71, v74, v81 op_sel_hi:[1,0,1]
	v_pk_fma_f16 v74, v71, v74, v78 op_sel:[0,1,0]
	v_pk_fma_f16 v78, v71, v75, v82 op_sel_hi:[1,0,1]
	v_pk_fma_f16 v69, v71, v75, v69 op_sel:[0,1,0]
	v_pk_fma_f16 v71, v56, v64, v79 op_sel_hi:[1,0,1]
	v_pk_fma_f16 v75, v56, v64, v83 op_sel:[0,1,0]
	v_pk_fma_f16 v79, v56, v65, v85 op_sel_hi:[1,0,1]
	v_pk_fma_f16 v80, v56, v65, v86 op_sel:[0,1,0]
	v_pk_fma_f16 v81, v56, v66, v87 op_sel_hi:[1,0,1]
	v_pk_fma_f16 v82, v56, v66, v88 op_sel:[0,1,0]
	v_pk_fma_f16 v83, v56, v67, v89 op_sel_hi:[1,0,1]
	v_pk_fma_f16 v56, v56, v67, v68 op_sel:[0,1,0]
	v_pk_fma_f16 v68, v57, v64, v70 op_sel_hi:[1,0,1]
	v_pk_fma_f16 v64, v57, v64, v72 op_sel:[0,1,0]
	v_pk_fma_f16 v70, v57, v65, v76 op_sel_hi:[1,0,1]
	v_pk_fma_f16 v65, v57, v65, v73 op_sel:[0,1,0]
	v_pk_fma_f16 v72, v57, v66, v77 op_sel_hi:[1,0,1]
	v_pk_fma_f16 v66, v57, v66, v74 op_sel:[0,1,0]
	v_pk_fma_f16 v73, v57, v67, v78 op_sel_hi:[1,0,1]
	v_pk_fma_f16 v57, v57, v67, v69 op_sel:[0,1,0]
	v_pk_fma_f16 v67, v58, v60, v71 op_sel_hi:[1,0,1]
	v_pk_fma_f16 v69, v58, v60, v75 op_sel:[0,1,0]
	v_pk_fma_f16 v71, v58, v61, v79 op_sel_hi:[1,0,1]
	v_pk_fma_f16 v74, v58, v61, v80 op_sel:[0,1,0]
	v_pk_fma_f16 v75, v58, v62, v81 op_sel_hi:[1,0,1]
	v_pk_fma_f16 v76, v58, v62, v82 op_sel:[0,1,0]
	v_pk_fma_f16 v77, v58, v63, v83 op_sel_hi:[1,0,1]
	v_pk_fma_f16 v56, v58, v63, v56 op_sel:[0,1,0]
	v_pk_fma_f16 v58, v59, v60, v68 op_sel_hi:[1,0,1]
	v_pk_fma_f16 v60, v59, v60, v64 op_sel:[0,1,0]
	v_pk_fma_f16 v64, v59, v61, v70 op_sel_hi:[1,0,1]
	v_pk_fma_f16 v61, v59, v61, v65 op_sel:[0,1,0]
	v_pk_fma_f16 v65, v59, v62, v72 op_sel_hi:[1,0,1]
	v_pk_fma_f16 v62, v59, v62, v66 op_sel:[0,1,0]
	v_pk_fma_f16 v66, v59, v63, v73 op_sel_hi:[1,0,1]
	v_pk_fma_f16 v57, v59, v63, v57 op_sel:[0,1,0]
	v_pk_fma_f16 v59, v44, v52, v67 op_sel_hi:[1,0,1]
	v_pk_fma_f16 v63, v44, v52, v69 op_sel:[0,1,0]
	v_pk_fma_f16 v67, v44, v53, v71 op_sel_hi:[1,0,1]
	v_pk_fma_f16 v68, v44, v53, v74 op_sel:[0,1,0]
	v_pk_fma_f16 v69, v44, v54, v75 op_sel_hi:[1,0,1]
	v_pk_fma_f16 v70, v44, v54, v76 op_sel:[0,1,0]
	v_pk_fma_f16 v71, v44, v55, v77 op_sel_hi:[1,0,1]
	v_pk_fma_f16 v44, v44, v55, v56 op_sel:[0,1,0]
	v_pk_fma_f16 v56, v45, v52, v58 op_sel_hi:[1,0,1]
	v_pk_fma_f16 v52, v45, v52, v60 op_sel:[0,1,0]
	v_pk_fma_f16 v58, v45, v53, v64 op_sel_hi:[1,0,1]
	v_pk_fma_f16 v53, v45, v53, v61 op_sel:[0,1,0]
	v_pk_fma_f16 v60, v45, v54, v65 op_sel_hi:[1,0,1]
	v_pk_fma_f16 v54, v45, v54, v62 op_sel:[0,1,0]
	v_pk_fma_f16 v61, v45, v55, v66 op_sel_hi:[1,0,1]
	v_pk_fma_f16 v45, v45, v55, v57 op_sel:[0,1,0]
	v_pk_fma_f16 v55, v46, v48, v59 op_sel_hi:[1,0,1]
	v_pk_fma_f16 v57, v46, v48, v63 op_sel:[0,1,0]
	v_pk_fma_f16 v59, v46, v49, v67 op_sel_hi:[1,0,1]
	v_pk_fma_f16 v62, v46, v49, v68 op_sel:[0,1,0]
	v_pk_fma_f16 v63, v46, v50, v69 op_sel_hi:[1,0,1]
	v_pk_fma_f16 v64, v46, v50, v70 op_sel:[0,1,0]
	v_pk_fma_f16 v65, v46, v51, v71 op_sel_hi:[1,0,1]
	v_pk_fma_f16 v44, v46, v51, v44 op_sel:[0,1,0]
	v_pk_fma_f16 v46, v47, v48, v56 op_sel_hi:[1,0,1]
	v_pk_fma_f16 v48, v47, v48, v52 op_sel:[0,1,0]
	v_pk_fma_f16 v52, v47, v49, v58 op_sel_hi:[1,0,1]
	v_pk_fma_f16 v49, v47, v49, v53 op_sel:[0,1,0]
	v_pk_fma_f16 v53, v47, v50, v60 op_sel_hi:[1,0,1]
	v_pk_fma_f16 v50, v47, v50, v54 op_sel:[0,1,0]
	v_pk_fma_f16 v54, v47, v51, v61 op_sel_hi:[1,0,1]
	v_pk_fma_f16 v45, v47, v51, v45 op_sel:[0,1,0]
	v_pk_fma_f16 v47, v32, v40, v55 op_sel_hi:[1,0,1]
	v_pk_fma_f16 v51, v32, v40, v57 op_sel:[0,1,0]
	v_pk_fma_f16 v55, v32, v41, v59 op_sel_hi:[1,0,1]
	v_pk_fma_f16 v56, v32, v41, v62 op_sel:[0,1,0]
	v_pk_fma_f16 v57, v32, v42, v63 op_sel_hi:[1,0,1]
	v_pk_fma_f16 v58, v32, v42, v64 op_sel:[0,1,0]
	v_pk_fma_f16 v59, v32, v43, v65 op_sel_hi:[1,0,1]
	v_pk_fma_f16 v32, v32, v43, v44 op_sel:[0,1,0]
	v_pk_fma_f16 v44, v33, v40, v46 op_sel_hi:[1,0,1]
	v_pk_fma_f16 v40, v33, v40, v48 op_sel:[0,1,0]
	v_pk_fma_f16 v46, v33, v41, v52 op_sel_hi:[1,0,1]
	v_pk_fma_f16 v41, v33, v41, v49 op_sel:[0,1,0]
	v_pk_fma_f16 v48, v33, v42, v53 op_sel_hi:[1,0,1]
	v_pk_fma_f16 v42, v33, v42, v50 op_sel:[0,1,0]
	v_pk_fma_f16 v49, v33, v43, v54 op_sel_hi:[1,0,1]
	v_pk_fma_f16 v33, v33, v43, v45 op_sel:[0,1,0]
	v_pk_fma_f16 v43, v34, v36, v47 op_sel_hi:[1,0,1]
	v_pk_fma_f16 v45, v34, v36, v51 op_sel:[0,1,0]
	v_pk_fma_f16 v47, v34, v37, v55 op_sel_hi:[1,0,1]
	v_pk_fma_f16 v50, v34, v37, v56 op_sel:[0,1,0]
	v_pk_fma_f16 v51, v34, v38, v57 op_sel_hi:[1,0,1]
	v_pk_fma_f16 v52, v34, v38, v58 op_sel:[0,1,0]
	v_pk_fma_f16 v53, v34, v39, v59 op_sel_hi:[1,0,1]
	v_pk_fma_f16 v32, v34, v39, v32 op_sel:[0,1,0]
	v_pk_fma_f16 v34, v35, v36, v44 op_sel_hi:[1,0,1]
	v_pk_fma_f16 v36, v35, v36, v40 op_sel:[0,1,0]
	v_pk_fma_f16 v40, v35, v37, v46 op_sel_hi:[1,0,1]
	v_pk_fma_f16 v37, v35, v37, v41 op_sel:[0,1,0]
	v_pk_fma_f16 v41, v35, v38, v48 op_sel_hi:[1,0,1]
	v_pk_fma_f16 v38, v35, v38, v42 op_sel:[0,1,0]
	v_pk_fma_f16 v42, v35, v39, v49 op_sel_hi:[1,0,1]
	v_pk_fma_f16 v33, v35, v39, v33 op_sel:[0,1,0]
	v_pk_fma_f16 v35, v20, v28, v43 op_sel_hi:[1,0,1]
	v_pk_fma_f16 v39, v20, v28, v45 op_sel:[0,1,0]
	v_pk_fma_f16 v43, v20, v29, v47 op_sel_hi:[1,0,1]
	v_pk_fma_f16 v44, v20, v29, v50 op_sel:[0,1,0]
	v_pk_fma_f16 v45, v20, v30, v51 op_sel_hi:[1,0,1]
	v_pk_fma_f16 v46, v20, v30, v52 op_sel:[0,1,0]
	v_pk_fma_f16 v47, v20, v31, v53 op_sel_hi:[1,0,1]
	v_pk_fma_f16 v20, v20, v31, v32 op_sel:[0,1,0]
	v_pk_fma_f16 v32, v21, v28, v34 op_sel_hi:[1,0,1]
	v_pk_fma_f16 v28, v21, v28, v36 op_sel:[0,1,0]
	v_pk_fma_f16 v34, v21, v29, v40 op_sel_hi:[1,0,1]
	v_pk_fma_f16 v29, v21, v29, v37 op_sel:[0,1,0]
	v_pk_fma_f16 v36, v21, v30, v41 op_sel_hi:[1,0,1]
	v_pk_fma_f16 v30, v21, v30, v38 op_sel:[0,1,0]
	v_pk_fma_f16 v37, v21, v31, v42 op_sel_hi:[1,0,1]
	v_pk_fma_f16 v21, v21, v31, v33 op_sel:[0,1,0]
	v_pk_fma_f16 v31, v22, v24, v35 op_sel_hi:[1,0,1]
	v_pk_fma_f16 v33, v22, v24, v39 op_sel:[0,1,0]
	v_pk_fma_f16 v35, v22, v25, v43 op_sel_hi:[1,0,1]
	v_pk_fma_f16 v38, v22, v25, v44 op_sel:[0,1,0]
	v_pk_fma_f16 v39, v22, v26, v45 op_sel_hi:[1,0,1]
	v_pk_fma_f16 v40, v22, v26, v46 op_sel:[0,1,0]
	v_pk_fma_f16 v41, v22, v27, v47 op_sel_hi:[1,0,1]
	v_pk_fma_f16 v20, v22, v27, v20 op_sel:[0,1,0]
	v_pk_fma_f16 v22, v23, v24, v32 op_sel_hi:[1,0,1]
	v_pk_fma_f16 v24, v23, v24, v28 op_sel:[0,1,0]
	v_pk_fma_f16 v28, v23, v25, v34 op_sel_hi:[1,0,1]
	v_pk_fma_f16 v25, v23, v25, v29 op_sel:[0,1,0]
	v_pk_fma_f16 v29, v23, v26, v36 op_sel_hi:[1,0,1]
	v_pk_fma_f16 v26, v23, v26, v30 op_sel:[0,1,0]
	v_pk_fma_f16 v30, v23, v27, v37 op_sel_hi:[1,0,1]
	v_pk_fma_f16 v21, v23, v27, v21 op_sel:[0,1,0]
	v_pk_fma_f16 v23, v8, v16, v31 op_sel_hi:[1,0,1]
	v_pk_fma_f16 v27, v8, v16, v33 op_sel:[0,1,0]
	v_pk_fma_f16 v31, v8, v17, v35 op_sel_hi:[1,0,1]
	v_pk_fma_f16 v32, v8, v17, v38 op_sel:[0,1,0]
	v_pk_fma_f16 v33, v8, v18, v39 op_sel_hi:[1,0,1]
	v_pk_fma_f16 v34, v8, v18, v40 op_sel:[0,1,0]
	v_pk_fma_f16 v35, v8, v19, v41 op_sel_hi:[1,0,1]
	v_pk_fma_f16 v8, v8, v19, v20 op_sel:[0,1,0]
	v_pk_fma_f16 v20, v9, v16, v22 op_sel_hi:[1,0,1]
	v_pk_fma_f16 v16, v9, v16, v24 op_sel:[0,1,0]
	v_pk_fma_f16 v22, v9, v17, v28 op_sel_hi:[1,0,1]
	v_pk_fma_f16 v17, v9, v17, v25 op_sel:[0,1,0]
	v_pk_fma_f16 v24, v9, v18, v29 op_sel_hi:[1,0,1]
	v_pk_fma_f16 v18, v9, v18, v26 op_sel:[0,1,0]
	v_pk_fma_f16 v25, v9, v19, v30 op_sel_hi:[1,0,1]
	v_pk_fma_f16 v9, v9, v19, v21 op_sel:[0,1,0]
	v_pk_fma_f16 v28, v10, v12, v23 op_sel_hi:[1,0,1]
	v_pk_fma_f16 v29, v10, v12, v27 op_sel:[0,1,0]
	v_pk_fma_f16 v30, v10, v13, v31 op_sel_hi:[1,0,1]
	v_pk_fma_f16 v31, v10, v13, v32 op_sel:[0,1,0]
	v_pk_fma_f16 v32, v10, v14, v33 op_sel_hi:[1,0,1]
	v_pk_fma_f16 v33, v10, v14, v34 op_sel:[0,1,0]
	v_pk_fma_f16 v34, v10, v15, v35 op_sel_hi:[1,0,1]
	v_pk_fma_f16 v35, v10, v15, v8 op_sel:[0,1,0]
	v_pk_fma_f16 v36, v11, v12, v20 op_sel_hi:[1,0,1]
	v_pk_fma_f16 v37, v11, v12, v16 op_sel:[0,1,0]
	v_pk_fma_f16 v38, v11, v13, v22 op_sel_hi:[1,0,1]
	v_pk_fma_f16 v39, v11, v13, v17 op_sel:[0,1,0]
	v_pk_fma_f16 v40, v11, v14, v24 op_sel_hi:[1,0,1]
	v_pk_fma_f16 v41, v11, v14, v18 op_sel:[0,1,0]
	v_pk_fma_f16 v42, v11, v15, v25 op_sel_hi:[1,0,1]
	v_pk_fma_f16 v43, v11, v15, v9 op_sel:[0,1,0]
	s_waitcnt lgkmcnt(0)
	s_barrier
	ds_read2_b64 v[8:11], v188 offset1:20
	ds_read_b128 v[12:15], v174 offset:256
	ds_read_b128 v[16:19], v174 offset:272
	;; [unrolled: 1-line block ×4, first 2 shown]
	v_pk_fma_f32 v[112:113], v[112:113], v[136:137], v[130:131]
	v_pk_fma_f32 v[110:111], v[110:111], v[138:139], v[128:129]
	;; [unrolled: 1-line block ×3, first 2 shown]
	s_waitcnt lgkmcnt(3)
	v_pk_fma_f16 v28, v8, v12, v28 op_sel_hi:[1,0,1]
	v_pk_fma_f16 v29, v8, v12, v29 op_sel:[0,1,0]
	v_pk_fma_f16 v30, v8, v13, v30 op_sel_hi:[1,0,1]
	v_pk_fma_f16 v31, v8, v13, v31 op_sel:[0,1,0]
	;; [unrolled: 2-line block ×8, first 2 shown]
	s_waitcnt lgkmcnt(2)
	v_pk_fma_f16 v28, v10, v16, v28 op_sel_hi:[1,0,1]
	v_pk_fma_f16 v29, v10, v16, v29 op_sel:[0,1,0]
	v_pk_fma_f16 v30, v10, v17, v30 op_sel_hi:[1,0,1]
	v_pk_fma_f16 v31, v10, v17, v31 op_sel:[0,1,0]
	;; [unrolled: 2-line block ×6, first 2 shown]
	ds_read2_b64 v[12:15], v188 offset0:40 offset1:60
	v_pk_fma_f16 v36, v11, v18, v37 op_sel_hi:[1,0,1]
	v_pk_fma_f16 v18, v11, v18, v38 op_sel:[0,1,0]
	v_pk_fma_f16 v37, v11, v19, v39 op_sel_hi:[1,0,1]
	v_pk_fma_f16 v9, v11, v19, v9 op_sel:[0,1,0]
	s_waitcnt lgkmcnt(0)
	v_pk_fma_f16 v11, v12, v20, v28 op_sel_hi:[1,0,1]
	v_pk_fma_f16 v19, v12, v20, v29 op_sel:[0,1,0]
	v_pk_fma_f16 v28, v12, v21, v30 op_sel_hi:[1,0,1]
	v_pk_fma_f16 v29, v12, v21, v31 op_sel:[0,1,0]
	;; [unrolled: 2-line block ×10, first 2 shown]
	v_pk_fma_f16 v34, v14, v27, v8 op_sel:[0,1,0]
	v_pk_fma_f16 v35, v15, v24, v10 op_sel_hi:[1,0,1]
	v_pk_fma_f16 v36, v15, v25, v16 op_sel_hi:[1,0,1]
	v_pk_fma_f16 v25, v15, v25, v17 op_sel:[0,1,0]
	ds_read2_b64 v[8:11], v188 offset0:80 offset1:100
	ds_read_b128 v[16:19], v174 offset:320
	v_pk_fma_f16 v30, v14, v26, v30 op_sel_hi:[1,0,1]
	v_pk_fma_f16 v31, v14, v26, v31 op_sel:[0,1,0]
	v_pk_fma_f16 v32, v14, v27, v32 op_sel_hi:[1,0,1]
	v_pk_fma_f16 v24, v15, v24, v12 op_sel:[0,1,0]
	;; [unrolled: 2-line block ×4, first 2 shown]
	ds_read_b128 v[12:15], v174 offset:336
	s_waitcnt lgkmcnt(1)
	v_pk_fma_f16 v23, v8, v16, v23 op_sel_hi:[1,0,1]
	v_pk_fma_f16 v27, v8, v16, v33 op_sel:[0,1,0]
	v_pk_fma_f16 v28, v8, v17, v28 op_sel_hi:[1,0,1]
	v_pk_fma_f16 v29, v8, v17, v29 op_sel:[0,1,0]
	;; [unrolled: 2-line block ×4, first 2 shown]
	v_pk_fma_f16 v20, v9, v18, v20 op_sel_hi:[1,0,1]
	v_pk_fma_f16 v30, v8, v18, v30 op_sel_hi:[1,0,1]
	v_pk_fma_f16 v31, v8, v18, v31 op_sel:[0,1,0]
	v_pk_fma_f16 v32, v8, v19, v32 op_sel_hi:[1,0,1]
	v_pk_fma_f16 v8, v8, v19, v34 op_sel:[0,1,0]
	v_pk_fma_f16 v25, v9, v18, v21 op_sel:[0,1,0]
	v_pk_fma_f16 v34, v9, v19, v22 op_sel_hi:[1,0,1]
	v_pk_fma_f16 v9, v9, v19, v26 op_sel:[0,1,0]
	s_waitcnt lgkmcnt(0)
	v_pk_fma_f16 v26, v10, v12, v23 op_sel_hi:[1,0,1]
	v_pk_fma_f16 v27, v10, v12, v27 op_sel:[0,1,0]
	v_pk_fma_f16 v28, v10, v13, v28 op_sel_hi:[1,0,1]
	v_pk_fma_f16 v29, v10, v13, v29 op_sel:[0,1,0]
	;; [unrolled: 2-line block ×4, first 2 shown]
	v_pk_fma_f16 v36, v11, v14, v20 op_sel_hi:[1,0,1]
	ds_read2_b64 v[16:19], v188 offset0:120 offset1:140
	ds_read_b128 v[20:23], v174 offset:352
	v_pk_fma_f16 v30, v10, v14, v30 op_sel_hi:[1,0,1]
	v_pk_fma_f16 v31, v10, v14, v31 op_sel:[0,1,0]
	v_pk_fma_f16 v32, v10, v15, v32 op_sel_hi:[1,0,1]
	v_pk_fma_f16 v35, v10, v15, v8 op_sel:[0,1,0]
	v_pk_fma_f16 v14, v11, v14, v25 op_sel:[0,1,0]
	v_pk_fma_f16 v25, v11, v15, v34 op_sel_hi:[1,0,1]
	v_pk_fma_f16 v15, v11, v15, v9 op_sel:[0,1,0]
	ds_read_b128 v[8:11], v174 offset:368
	s_waitcnt lgkmcnt(1)
	v_pk_fma_f16 v26, v16, v20, v26 op_sel_hi:[1,0,1]
	v_pk_fma_f16 v27, v16, v20, v27 op_sel:[0,1,0]
	v_pk_fma_f16 v28, v16, v21, v28 op_sel_hi:[1,0,1]
	v_pk_fma_f16 v29, v16, v21, v29 op_sel:[0,1,0]
	;; [unrolled: 2-line block ×8, first 2 shown]
	s_waitcnt lgkmcnt(0)
	v_pk_fma_f16 v26, v18, v8, v26 op_sel_hi:[1,0,1]
	v_pk_fma_f16 v27, v18, v8, v27 op_sel:[0,1,0]
	v_pk_fma_f16 v28, v18, v9, v28 op_sel_hi:[1,0,1]
	v_pk_fma_f16 v29, v18, v9, v29 op_sel:[0,1,0]
	;; [unrolled: 2-line block ×6, first 2 shown]
	v_pk_fma_f16 v36, v19, v10, v21 op_sel_hi:[1,0,1]
	ds_read2_b64 v[12:15], v188 offset0:160 offset1:180
	ds_read_b128 v[20:23], v174 offset:384
	v_pk_fma_f16 v24, v19, v10, v24 op_sel:[0,1,0]
	v_pk_fma_f16 v25, v19, v11, v25 op_sel_hi:[1,0,1]
	v_pk_fma_f16 v17, v19, v11, v17 op_sel:[0,1,0]
	ds_read_b128 v[8:11], v174 offset:400
	s_waitcnt lgkmcnt(1)
	v_pk_fma_f16 v19, v12, v20, v26 op_sel_hi:[1,0,1]
	v_pk_fma_f16 v26, v12, v20, v27 op_sel:[0,1,0]
	v_pk_fma_f16 v27, v12, v21, v28 op_sel_hi:[1,0,1]
	v_pk_fma_f16 v28, v12, v21, v29 op_sel:[0,1,0]
	;; [unrolled: 2-line block ×8, first 2 shown]
	s_waitcnt lgkmcnt(0)
	v_pk_fma_f16 v33, v14, v8, v19 op_sel_hi:[1,0,1]
	v_pk_fma_f16 v26, v14, v8, v26 op_sel:[0,1,0]
	v_pk_fma_f16 v27, v14, v9, v27 op_sel_hi:[1,0,1]
	v_pk_fma_f16 v28, v14, v9, v28 op_sel:[0,1,0]
	;; [unrolled: 2-line block ×6, first 2 shown]
	ds_read2_b64 v[16:19], v188 offset0:200 offset1:220
	ds_read_b128 v[20:23], v174 offset:416
	v_pk_fma_f16 v32, v15, v10, v32 op_sel_hi:[1,0,1]
	v_pk_fma_f16 v24, v15, v10, v24 op_sel:[0,1,0]
	v_pk_fma_f16 v25, v15, v11, v25 op_sel_hi:[1,0,1]
	v_pk_fma_f16 v13, v15, v11, v13 op_sel:[0,1,0]
	ds_read_b128 v[8:11], v174 offset:432
	s_waitcnt lgkmcnt(1)
	v_pk_fma_f16 v15, v16, v20, v33 op_sel_hi:[1,0,1]
	v_pk_fma_f16 v26, v16, v20, v26 op_sel:[0,1,0]
	v_pk_fma_f16 v27, v16, v21, v27 op_sel_hi:[1,0,1]
	v_pk_fma_f16 v28, v16, v21, v28 op_sel:[0,1,0]
	;; [unrolled: 2-line block ×8, first 2 shown]
	s_waitcnt lgkmcnt(0)
	v_pk_fma_f16 v33, v18, v8, v15 op_sel_hi:[1,0,1]
	v_pk_fma_f16 v26, v18, v8, v26 op_sel:[0,1,0]
	v_pk_fma_f16 v27, v18, v9, v27 op_sel_hi:[1,0,1]
	v_pk_fma_f16 v28, v18, v9, v28 op_sel:[0,1,0]
	;; [unrolled: 2-line block ×4, first 2 shown]
	v_pk_fma_f16 v34, v19, v8, v14 op_sel_hi:[1,0,1]
	v_pk_fma_f16 v35, v19, v9, v20 op_sel_hi:[1,0,1]
	v_pk_fma_f16 v36, v19, v9, v21 op_sel:[0,1,0]
	ds_read2_b64 v[12:15], v187 offset0:112 offset1:132
	ds_read_b128 v[20:23], v174 offset:448
	v_pk_fma_f16 v16, v19, v8, v16 op_sel:[0,1,0]
	v_pk_fma_f16 v32, v19, v10, v32 op_sel_hi:[1,0,1]
	v_pk_fma_f16 v24, v19, v10, v24 op_sel:[0,1,0]
	v_pk_fma_f16 v25, v19, v11, v25 op_sel_hi:[1,0,1]
	v_pk_fma_f16 v17, v19, v11, v17 op_sel:[0,1,0]
	ds_read_b128 v[8:11], v174 offset:464
	s_waitcnt lgkmcnt(1)
	v_pk_fma_f16 v19, v12, v20, v33 op_sel_hi:[1,0,1]
	v_pk_fma_f16 v26, v12, v20, v26 op_sel:[0,1,0]
	v_pk_fma_f16 v27, v12, v21, v27 op_sel_hi:[1,0,1]
	v_pk_fma_f16 v28, v12, v21, v28 op_sel:[0,1,0]
	;; [unrolled: 2-line block ×8, first 2 shown]
	s_waitcnt lgkmcnt(0)
	v_pk_fma_f16 v33, v14, v8, v19 op_sel_hi:[1,0,1]
	v_pk_fma_f16 v26, v14, v8, v26 op_sel:[0,1,0]
	v_pk_fma_f16 v27, v14, v9, v27 op_sel_hi:[1,0,1]
	v_pk_fma_f16 v28, v14, v9, v28 op_sel:[0,1,0]
	;; [unrolled: 2-line block ×6, first 2 shown]
	v_pk_fma_f16 v32, v15, v10, v32 op_sel_hi:[1,0,1]
	ds_read2_b64 v[16:19], v186 offset0:24 offset1:44
	ds_read_b128 v[20:23], v174 offset:480
	v_pk_fma_f16 v24, v15, v10, v24 op_sel:[0,1,0]
	v_pk_fma_f16 v25, v15, v11, v25 op_sel_hi:[1,0,1]
	v_pk_fma_f16 v13, v15, v11, v13 op_sel:[0,1,0]
	ds_read_b128 v[8:11], v174 offset:496
	s_waitcnt lgkmcnt(0)
	s_barrier
	s_load_dword s10, s[46:47], 0x4
	v_pk_fma_f16 v15, v16, v20, v33 op_sel_hi:[1,0,1]
	v_pk_fma_f16 v26, v16, v20, v26 op_sel:[0,1,0]
	v_pk_fma_f16 v27, v16, v21, v27 op_sel_hi:[1,0,1]
	v_pk_fma_f16 v28, v16, v21, v28 op_sel:[0,1,0]
	s_waitcnt lgkmcnt(0)
	s_lshl_b32 s10, s10, 5
	v_pk_fma_f16 v29, v16, v22, v29 op_sel_hi:[1,0,1]
	v_pk_fma_f16 v30, v16, v22, v30 op_sel:[0,1,0]
	v_pk_fma_f16 v31, v16, v23, v31 op_sel_hi:[1,0,1]
	v_pk_fma_f16 v12, v16, v23, v12 op_sel:[0,1,0]
	;; [unrolled: 2-line block ×6, first 2 shown]
	s_add_i32 s54, s10, s54
	v_pk_fma_f32 v[106:107], v[106:107], v[142:143], v[132:133]
	v_pk_fma_f16 v166, v18, v8, v15 op_sel_hi:[1,0,1]
	v_pk_fma_f16 v164, v18, v8, v26 op_sel:[0,1,0]
	v_pk_fma_f16 v162, v18, v9, v27 op_sel_hi:[1,0,1]
	v_pk_fma_f16 v159, v18, v9, v28 op_sel:[0,1,0]
	;; [unrolled: 2-line block ×7, first 2 shown]
	v_pk_fma_f16 v154, v19, v11, v24 op_sel_hi:[1,0,1]
	s_cmp_ge_i32 s54, s66
	v_pk_fma_f16 v152, v19, v11, v13 op_sel:[0,1,0]
	s_cbranch_scc1 .LBB17_37
; %bb.36:                               ;   in Loop: Header=BB17_19 Depth=1
	v_mov_b32_e32 v8, v0
	v_mov_b32_e32 v9, v1
	;; [unrolled: 1-line block ×8, first 2 shown]
	s_branch .LBB17_19
.LBB17_37:
	v_cmp_lt_i32_e32 vcc, v184, v180
	s_cmp_lg_u64 s[52:53], 0
	s_cselect_b64 s[4:5], -1, 0
	v_cndmask_b32_e32 v8, v165, v184, vcc
	v_lshlrev_b32_e32 v17, 2, v8
	ds_bpermute_b32 v12, v17, v110
	ds_bpermute_b32 v13, v17, v111
	v_cmp_lt_i32_e32 vcc, v185, v180
	ds_bpermute_b32 v8, v17, v112
	ds_bpermute_b32 v9, v17, v113
	v_cndmask_b32_e32 v10, v165, v185, vcc
	v_cmp_lt_i32_e32 vcc, v183, v180
	v_lshlrev_b32_e32 v23, 2, v10
	s_waitcnt lgkmcnt(2)
	v_pk_add_f32 v[12:13], v[110:111], v[12:13]
	v_cndmask_b32_e32 v10, v165, v183, vcc
	v_cmp_lt_i32_e32 vcc, v182, v180
	ds_bpermute_b32 v15, v23, v13
	v_lshlrev_b32_e32 v24, 2, v10
	v_cndmask_b32_e32 v14, v165, v182, vcc
	v_lshlrev_b32_e32 v25, 2, v14
	ds_bpermute_b32 v14, v23, v12
	ds_bpermute_b32 v18, v17, v106
	;; [unrolled: 1-line block ×3, first 2 shown]
	s_waitcnt lgkmcnt(4)
	v_pk_add_f32 v[8:9], v[112:113], v[8:9]
	v_cmp_lt_i32_e32 vcc, v181, v180
	s_waitcnt lgkmcnt(2)
	v_pk_add_f32 v[12:13], v[12:13], v[14:15]
	ds_bpermute_b32 v14, v24, v12
	ds_bpermute_b32 v15, v24, v13
	s_waitcnt lgkmcnt(2)
	v_pk_add_f32 v[18:19], v[106:107], v[18:19]
	ds_bpermute_b32 v10, v23, v8
	ds_bpermute_b32 v11, v23, v9
	v_cndmask_b32_e32 v16, v165, v181, vcc
	s_waitcnt lgkmcnt(2)
	v_pk_add_f32 v[12:13], v[12:13], v[14:15]
	ds_bpermute_b32 v14, v17, v108
	ds_bpermute_b32 v15, v17, v109
	;; [unrolled: 1-line block ×3, first 2 shown]
	v_lshlrev_b32_e32 v27, 2, v16
	ds_bpermute_b32 v16, v25, v12
	ds_bpermute_b32 v17, v25, v13
	s_waitcnt lgkmcnt(3)
	v_pk_add_f32 v[14:15], v[108:109], v[14:15]
	ds_bpermute_b32 v20, v23, v14
	ds_bpermute_b32 v21, v23, v15
	ds_bpermute_b32 v23, v23, v19
	v_pk_add_f32 v[8:9], v[8:9], v[10:11]
	ds_bpermute_b32 v10, v24, v8
	ds_bpermute_b32 v11, v24, v9
	s_waitcnt lgkmcnt(3)
	v_pk_add_f32 v[14:15], v[14:15], v[20:21]
	s_waitcnt lgkmcnt(2)
	v_pk_add_f32 v[18:19], v[18:19], v[22:23]
	v_pk_add_f32 v[12:13], v[12:13], v[16:17]
	ds_bpermute_b32 v16, v24, v14
	ds_bpermute_b32 v17, v24, v15
	;; [unrolled: 1-line block ×4, first 2 shown]
	s_waitcnt lgkmcnt(4)
	v_pk_add_f32 v[8:9], v[8:9], v[10:11]
	ds_bpermute_b32 v10, v25, v8
	s_waitcnt lgkmcnt(3)
	v_pk_add_f32 v[14:15], v[14:15], v[16:17]
	ds_bpermute_b32 v11, v25, v9
	;; [unrolled: 3-line block ×3, first 2 shown]
	ds_bpermute_b32 v17, v25, v15
	ds_bpermute_b32 v20, v25, v18
	ds_bpermute_b32 v21, v25, v19
	s_waitcnt lgkmcnt(4)
	v_pk_add_f32 v[8:9], v[8:9], v[10:11]
	ds_bpermute_b32 v10, v27, v8
	s_waitcnt lgkmcnt(3)
	v_pk_add_f32 v[14:15], v[14:15], v[16:17]
	ds_bpermute_b32 v11, v27, v9
	;; [unrolled: 3-line block ×3, first 2 shown]
	ds_bpermute_b32 v23, v27, v13
	ds_bpermute_b32 v16, v27, v14
	;; [unrolled: 1-line block ×5, first 2 shown]
	s_cmp_eq_u32 s3, 0
	s_cselect_b64 s[6:7], -1, 0
	s_and_b64 s[4:5], s[6:7], s[4:5]
	s_waitcnt lgkmcnt(6)
	v_pk_add_f32 v[24:25], v[8:9], v[10:11]
	s_waitcnt lgkmcnt(4)
	v_pk_add_f32 v[22:23], v[12:13], v[22:23]
	;; [unrolled: 2-line block ×4, first 2 shown]
	s_and_b64 vcc, exec, s[4:5]
	s_cbranch_vccz .LBB17_39
; %bb.38:
	s_ashr_i32 s65, s64, 31
	s_lshl_b64 s[4:5], s[64:65], 2
	s_add_u32 s4, s52, s4
	s_addc_u32 s5, s53, s5
	v_mov_b32_e32 v8, 0
	global_load_dwordx4 v[14:17], v8, s[4:5]
	v_max_f32_e32 v8, v1, v1
	v_max_f32_e32 v10, v0, v0
	s_mov_b32 s5, 0x3fb8aa3b
	v_max_f32_e32 v12, v2, v2
	v_max_f32_e32 v11, v3, v3
	s_mov_b32 s4, 0xc2ce8ed0
	s_mov_b32 s2, 0x42b17218
	v_mov_b32_e32 v26, 0x7f800000
	s_waitcnt vmcnt(0)
	v_max_f32_e32 v27, v15, v15
	v_max_f32_e32 v28, v14, v14
	;; [unrolled: 1-line block ×4, first 2 shown]
	v_pk_add_f32 v[0:1], v[0:1], v[8:9] neg_lo:[0,1] neg_hi:[0,1]
	v_max_f32_e32 v30, v16, v16
	v_mul_f32_e32 v31, 0x3fb8aa3b, v1
	v_max_f32_e32 v29, v17, v17
	v_max_f32_e32 v10, v12, v30
	v_pk_add_f32 v[12:13], v[14:15], v[8:9] neg_lo:[0,1] neg_hi:[0,1]
	v_mul_f32_e32 v32, 0x3fb8aa3b, v0
	v_fma_f32 v37, v1, s5, -v31
	v_rndne_f32_e32 v38, v31
	v_max_f32_e32 v11, v11, v29
	v_mul_f32_e32 v33, 0x3fb8aa3b, v13
	v_fma_f32 v39, v0, s5, -v32
	v_rndne_f32_e32 v40, v32
	v_fmac_f32_e32 v37, 0x32a5705f, v1
	v_sub_f32_e32 v31, v31, v38
	v_pk_add_f32 v[2:3], v[2:3], v[10:11] neg_lo:[0,1] neg_hi:[0,1]
	v_mul_f32_e32 v34, 0x3fb8aa3b, v12
	v_fma_f32 v41, v13, s5, -v33
	v_rndne_f32_e32 v42, v33
	v_fmac_f32_e32 v39, 0x32a5705f, v0
	v_sub_f32_e32 v32, v32, v40
	v_add_f32_e32 v31, v31, v37
	v_mul_f32_e32 v35, 0x3fb8aa3b, v3
	v_fma_f32 v43, v12, s5, -v34
	v_rndne_f32_e32 v44, v34
	v_cvt_i32_f32_e32 v38, v38
	v_fmac_f32_e32 v41, 0x32a5705f, v13
	v_sub_f32_e32 v33, v33, v42
	v_add_f32_e32 v32, v32, v39
	v_exp_f32_e32 v31, v31
	v_fma_f32 v45, v3, s5, -v35
	v_rndne_f32_e32 v46, v35
	v_cvt_i32_f32_e32 v40, v40
	v_fmac_f32_e32 v43, 0x32a5705f, v12
	v_sub_f32_e32 v34, v34, v44
	v_add_f32_e32 v33, v33, v41
	v_exp_f32_e32 v32, v32
	v_cvt_i32_f32_e32 v42, v42
	v_fmac_f32_e32 v45, 0x32a5705f, v3
	v_sub_f32_e32 v35, v35, v46
	v_add_f32_e32 v34, v34, v43
	v_exp_f32_e32 v33, v33
	v_cvt_i32_f32_e32 v44, v44
	v_add_f32_e32 v35, v35, v45
	v_exp_f32_e32 v34, v34
	v_cvt_i32_f32_e32 v46, v46
	v_exp_f32_e32 v35, v35
	v_ldexp_f32 v31, v31, v38
	v_cmp_ngt_f32_e32 vcc, s4, v1
	v_ldexp_f32 v32, v32, v40
	v_ldexp_f32 v33, v33, v42
	v_cndmask_b32_e32 v31, 0, v31, vcc
	v_cmp_ngt_f32_e32 vcc, s4, v0
	v_ldexp_f32 v34, v34, v44
	v_mul_f32_e32 v36, 0x3fb8aa3b, v2
	v_cndmask_b32_e32 v32, 0, v32, vcc
	v_cmp_ngt_f32_e32 vcc, s4, v13
	v_ldexp_f32 v35, v35, v46
	v_fma_f32 v47, v2, s5, -v36
	v_cndmask_b32_e32 v33, 0, v33, vcc
	v_cmp_ngt_f32_e32 vcc, s4, v12
	v_rndne_f32_e32 v48, v36
	v_fmac_f32_e32 v47, 0x32a5705f, v2
	v_cndmask_b32_e32 v34, 0, v34, vcc
	v_cmp_ngt_f32_e32 vcc, s4, v3
	v_sub_f32_e32 v36, v36, v48
	v_add_f32_e32 v36, v36, v47
	v_cndmask_b32_e32 v35, 0, v35, vcc
	v_cmp_nlt_f32_e32 vcc, s2, v1
	v_cvt_i32_f32_e32 v48, v48
	v_exp_f32_e32 v36, v36
	v_cndmask_b32_e32 v1, v26, v31, vcc
	v_cmp_nlt_f32_e32 vcc, s2, v0
	s_nop 1
	v_cndmask_b32_e32 v0, v26, v32, vcc
	v_cmp_nlt_f32_e32 vcc, s2, v13
	v_cvt_f16_f32_e32 v31, v0
	v_cvt_f16_f32_e32 v32, v1
	v_cndmask_b32_e32 v13, v26, v33, vcc
	v_cmp_nlt_f32_e32 vcc, s2, v12
	v_pk_mul_f16 v166, v31, v166 op_sel_hi:[0,1]
	v_pk_mul_f16 v167, v31, v167 op_sel_hi:[0,1]
	v_cndmask_b32_e32 v12, v26, v34, vcc
	v_pk_fma_f32 v[24:25], v[24:25], v[0:1], v[12:13]
	v_pk_add_f32 v[12:13], v[16:17], v[10:11] neg_lo:[0,1] neg_hi:[0,1]
	v_pk_mul_f16 v164, v32, v164 op_sel_hi:[0,1]
	v_mul_f32_e32 v1, 0x3fb8aa3b, v13
	v_pk_mul_f16 v163, v32, v163 op_sel_hi:[0,1]
	v_ldexp_f32 v0, v36, v48
	v_cmp_ngt_f32_e32 vcc, s4, v2
	v_fma_f32 v31, v13, s5, -v1
	v_rndne_f32_e32 v32, v1
	v_cndmask_b32_e32 v0, 0, v0, vcc
	v_cmp_nlt_f32_e32 vcc, s2, v2
	v_fmac_f32_e32 v31, 0x32a5705f, v13
	v_sub_f32_e32 v1, v1, v32
	v_cndmask_b32_e32 v0, v26, v0, vcc
	v_add_f32_e32 v1, v1, v31
	v_cvt_f16_f32_e32 v2, v0
	v_exp_f32_e32 v31, v1
	v_cvt_i32_f32_e32 v32, v32
	v_cmp_nlt_f32_e32 vcc, s2, v3
	v_mul_f32_e32 v3, 0x3fb8aa3b, v12
	v_pk_mul_f16 v162, v2, v162 op_sel_hi:[0,1]
	v_pk_mul_f16 v161, v2, v161 op_sel_hi:[0,1]
	v_ldexp_f32 v2, v31, v32
	v_fma_f32 v31, v12, s5, -v3
	v_rndne_f32_e32 v32, v3
	v_fmac_f32_e32 v31, 0x32a5705f, v12
	v_sub_f32_e32 v3, v3, v32
	v_add_f32_e32 v3, v3, v31
	v_exp_f32_e32 v31, v3
	v_cvt_i32_f32_e32 v32, v32
	v_cndmask_b32_e32 v1, v26, v35, vcc
	v_cmp_ngt_f32_e32 vcc, s4, v13
	s_nop 1
	v_cndmask_b32_e32 v2, 0, v2, vcc
	v_cmp_nlt_f32_e32 vcc, s2, v13
	v_cvt_f16_f32_e32 v13, v1
	v_pk_mul_f16 v159, v13, v159 op_sel_hi:[0,1]
	v_cndmask_b32_e32 v3, v26, v2, vcc
	v_ldexp_f32 v2, v31, v32
	v_cmp_ngt_f32_e32 vcc, s4, v12
	v_pk_mul_f16 v160, v13, v160 op_sel_hi:[0,1]
	s_nop 0
	v_cndmask_b32_e32 v2, 0, v2, vcc
	v_cmp_nlt_f32_e32 vcc, s2, v12
	s_nop 1
	v_cndmask_b32_e32 v2, v26, v2, vcc
	v_pk_fma_f32 v[22:23], v[22:23], v[0:1], v[2:3]
	v_max_f32_e32 v0, v5, v5
	v_max_f32_e32 v13, v0, v27
	;; [unrolled: 1-line block ×4, first 2 shown]
	v_pk_add_f32 v[0:1], v[4:5], v[12:13] neg_lo:[0,1] neg_hi:[0,1]
	s_nop 0
	v_mul_f32_e32 v2, 0x3fb8aa3b, v1
	v_fma_f32 v3, v1, s5, -v2
	v_rndne_f32_e32 v4, v2
	v_fmac_f32_e32 v3, 0x32a5705f, v1
	v_sub_f32_e32 v2, v2, v4
	v_add_f32_e32 v2, v2, v3
	v_cvt_i32_f32_e32 v3, v4
	v_mul_f32_e32 v4, 0x3fb8aa3b, v0
	v_fma_f32 v5, v0, s5, -v4
	v_rndne_f32_e32 v27, v4
	v_fmac_f32_e32 v5, 0x32a5705f, v0
	v_sub_f32_e32 v4, v4, v27
	v_exp_f32_e32 v2, v2
	v_add_f32_e32 v4, v4, v5
	v_exp_f32_e32 v4, v4
	v_cvt_i32_f32_e32 v5, v27
	v_ldexp_f32 v2, v2, v3
	v_cmp_ngt_f32_e32 vcc, s4, v1
	s_nop 1
	v_cndmask_b32_e32 v27, 0, v2, vcc
	v_ldexp_f32 v2, v4, v5
	v_cmp_ngt_f32_e32 vcc, s4, v0
	s_nop 1
	v_cndmask_b32_e32 v2, 0, v2, vcc
	v_cmp_nlt_f32_e32 vcc, s2, v0
	s_nop 1
	v_cndmask_b32_e32 v0, v26, v2, vcc
	v_pk_add_f32 v[2:3], v[14:15], v[12:13] neg_lo:[0,1] neg_hi:[0,1]
	v_cvt_f16_f32_e32 v4, v0
	v_mul_f32_e32 v5, 0x3fb8aa3b, v3
	v_fma_f32 v14, v3, s5, -v5
	v_rndne_f32_e32 v15, v5
	v_fmac_f32_e32 v14, 0x32a5705f, v3
	v_sub_f32_e32 v5, v5, v15
	v_add_f32_e32 v5, v5, v14
	v_exp_f32_e32 v5, v5
	v_cvt_i32_f32_e32 v14, v15
	v_pk_mul_f16 v157, v4, v157 op_sel_hi:[0,1]
	v_pk_mul_f16 v158, v4, v158 op_sel_hi:[0,1]
	v_cmp_nlt_f32_e32 vcc, s2, v1
	v_ldexp_f32 v4, v5, v14
	v_mul_f32_e32 v5, 0x3fb8aa3b, v2
	v_fma_f32 v14, v2, s5, -v5
	v_rndne_f32_e32 v15, v5
	v_fmac_f32_e32 v14, 0x32a5705f, v2
	v_sub_f32_e32 v5, v5, v15
	v_add_f32_e32 v5, v5, v14
	v_exp_f32_e32 v5, v5
	v_cvt_i32_f32_e32 v14, v15
	v_cndmask_b32_e32 v1, v26, v27, vcc
	v_cmp_ngt_f32_e32 vcc, s4, v3
	s_nop 1
	v_cndmask_b32_e32 v4, 0, v4, vcc
	v_cmp_nlt_f32_e32 vcc, s2, v3
	s_nop 1
	v_cndmask_b32_e32 v3, v26, v4, vcc
	v_ldexp_f32 v4, v5, v14
	v_cmp_ngt_f32_e32 vcc, s4, v2
	v_cvt_f16_f32_e32 v5, v1
	v_pk_mul_f16 v155, v5, v155 op_sel_hi:[0,1]
	v_cndmask_b32_e32 v4, 0, v4, vcc
	v_cmp_nlt_f32_e32 vcc, s2, v2
	v_pk_mul_f16 v156, v5, v156 op_sel_hi:[0,1]
	s_nop 0
	v_cndmask_b32_e32 v2, v26, v4, vcc
	v_pk_fma_f32 v[20:21], v[20:21], v[0:1], v[2:3]
	v_max_f32_e32 v0, v7, v7
	v_max_f32_e32 v15, v0, v29
	;; [unrolled: 1-line block ×4, first 2 shown]
	v_pk_add_f32 v[0:1], v[6:7], v[14:15] neg_lo:[0,1] neg_hi:[0,1]
	s_nop 0
	v_mul_f32_e32 v2, 0x3fb8aa3b, v1
	v_fma_f32 v3, v1, s5, -v2
	v_rndne_f32_e32 v4, v2
	v_fmac_f32_e32 v3, 0x32a5705f, v1
	v_sub_f32_e32 v2, v2, v4
	v_add_f32_e32 v2, v2, v3
	v_cvt_i32_f32_e32 v3, v4
	v_mul_f32_e32 v4, 0x3fb8aa3b, v0
	v_fma_f32 v5, v0, s5, -v4
	v_rndne_f32_e32 v6, v4
	v_fmac_f32_e32 v5, 0x32a5705f, v0
	v_sub_f32_e32 v4, v4, v6
	v_exp_f32_e32 v2, v2
	v_add_f32_e32 v4, v4, v5
	v_exp_f32_e32 v4, v4
	v_cvt_i32_f32_e32 v5, v6
	v_ldexp_f32 v2, v2, v3
	v_cmp_ngt_f32_e32 vcc, s4, v1
	s_nop 1
	v_cndmask_b32_e32 v6, 0, v2, vcc
	v_ldexp_f32 v2, v4, v5
	v_cmp_ngt_f32_e32 vcc, s4, v0
	s_nop 1
	v_cndmask_b32_e32 v2, 0, v2, vcc
	v_cmp_nlt_f32_e32 vcc, s2, v0
	s_nop 1
	v_cndmask_b32_e32 v0, v26, v2, vcc
	v_pk_add_f32 v[2:3], v[16:17], v[14:15] neg_lo:[0,1] neg_hi:[0,1]
	v_cvt_f16_f32_e32 v4, v0
	v_mul_f32_e32 v5, 0x3fb8aa3b, v3
	v_fma_f32 v7, v3, s5, -v5
	v_rndne_f32_e32 v16, v5
	v_fmac_f32_e32 v7, 0x32a5705f, v3
	v_sub_f32_e32 v5, v5, v16
	v_add_f32_e32 v5, v5, v7
	v_exp_f32_e32 v5, v5
	v_cvt_i32_f32_e32 v7, v16
	v_cmp_nlt_f32_e32 vcc, s2, v1
	v_pk_mul_f16 v153, v4, v153 op_sel_hi:[0,1]
	v_pk_mul_f16 v154, v4, v154 op_sel_hi:[0,1]
	v_ldexp_f32 v4, v5, v7
	v_mul_f32_e32 v5, 0x3fb8aa3b, v2
	v_cndmask_b32_e32 v1, v26, v6, vcc
	v_fma_f32 v6, v2, s5, -v5
	v_rndne_f32_e32 v7, v5
	v_fmac_f32_e32 v6, 0x32a5705f, v2
	v_sub_f32_e32 v5, v5, v7
	v_add_f32_e32 v5, v5, v6
	v_exp_f32_e32 v5, v5
	v_cvt_i32_f32_e32 v6, v7
	v_cmp_ngt_f32_e32 vcc, s4, v3
	s_nop 1
	v_cndmask_b32_e32 v4, 0, v4, vcc
	v_cmp_nlt_f32_e32 vcc, s2, v3
	s_nop 1
	v_cndmask_b32_e32 v3, v26, v4, vcc
	v_ldexp_f32 v4, v5, v6
	v_cvt_f16_f32_e32 v5, v1
	v_cmp_ngt_f32_e32 vcc, s4, v2
	v_pk_mul_f16 v151, v5, v151 op_sel_hi:[0,1]
	s_nop 0
	v_cndmask_b32_e32 v4, 0, v4, vcc
	v_cmp_nlt_f32_e32 vcc, s2, v2
	v_pk_mul_f16 v152, v5, v152 op_sel_hi:[0,1]
	s_nop 0
	v_cndmask_b32_e32 v2, v26, v4, vcc
	v_pk_fma_f32 v[18:19], v[18:19], v[0:1], v[2:3]
	v_mov_b64_e32 v[0:1], v[8:9]
	v_mov_b64_e32 v[2:3], v[10:11]
	;; [unrolled: 1-line block ×4, first 2 shown]
.LBB17_39:
	v_lshlrev_b32_e32 v8, 1, v150
	v_add_u32_e32 v9, s33, v8
	v_cmp_gt_i32_e32 vcc, s62, v9
	s_and_saveexec_b64 s[4:5], vcc
	s_cbranch_execz .LBB17_88
; %bb.40:
	s_load_dword s2, s[0:1], 0xd4
	v_mov_b32_e32 v10, 1.0
	s_waitcnt lgkmcnt(0)
	s_cmp_lg_u32 s2, 1
	s_cselect_b64 s[0:1], -1, 0
	s_cmp_eq_u32 s2, 1
	s_cselect_b64 s[6:7], -1, 0
	s_and_b64 vcc, exec, s[0:1]
	s_cbranch_vccnz .LBB17_42
; %bb.41:
	v_div_scale_f32 v9, s[4:5], v24, v24, 1.0
	v_rcp_f32_e32 v10, v9
	v_div_scale_f32 v11, vcc, 1.0, v24, 1.0
	v_fma_f32 v12, -v9, v10, 1.0
	v_fmac_f32_e32 v10, v12, v10
	v_mul_f32_e32 v12, v11, v10
	v_fma_f32 v13, -v9, v12, v11
	v_fmac_f32_e32 v12, v13, v10
	v_fma_f32 v9, -v9, v12, v11
	v_div_fmas_f32 v9, v9, v10, v12
	v_div_fixup_f32 v10, v9, v24, 1.0
.LBB17_42:
	s_mul_i32 s8, s70, s62
	s_add_i32 s8, s8, s33
	v_add_u32_e32 v8, s8, v8
	v_mul_lo_u32 v11, v8, s63
	v_add_u32_e32 v8, s64, v11
	v_mul_lo_u32 v8, s2, v8
	v_add_u32_e32 v8, s3, v8
	s_and_saveexec_b64 s[4:5], s[44:45]
	s_cbranch_execz .LBB17_44
; %bb.43:
	v_cvt_f32_f16_sdwa v15, v166 dst_sel:DWORD dst_unused:UNUSED_PAD src0_sel:WORD_1
	v_cvt_f32_f16_e32 v14, v166
	v_cvt_f32_f16_sdwa v17, v167 dst_sel:DWORD dst_unused:UNUSED_PAD src0_sel:WORD_1
	v_cvt_f32_f16_e32 v16, v167
	s_movk_i32 s9, 0x50
	v_mad_u64_u32 v[12:13], s[10:11], v8, s9, v[104:105]
	v_mov_b32_e32 v13, 0
	v_lshl_add_u64 v[26:27], v[12:13], 2, s[56:57]
	v_pk_mul_f32 v[12:13], v[10:11], v[14:15] op_sel_hi:[0,1]
	v_pk_mul_f32 v[14:15], v[10:11], v[16:17] op_sel_hi:[0,1]
	global_store_dwordx4 v[26:27], v[12:15], off
.LBB17_44:
	s_or_b64 exec, exec, s[4:5]
	v_cmp_eq_u32_e32 vcc, 0, v149
	s_and_b64 s[4:5], vcc, s[0:1]
	s_and_saveexec_b64 s[0:1], s[4:5]
	s_cbranch_execz .LBB17_46
; %bb.45:
	v_ashrrev_i32_e32 v9, 31, v8
	v_lshl_add_u64 v[8:9], v[8:9], 3, s[58:59]
	v_mov_b32_e32 v12, v0
	v_mov_b32_e32 v13, v24
	global_store_dwordx2 v[8:9], v[12:13], off
.LBB17_46:
	s_or_b64 exec, exec, s[0:1]
	v_cndmask_b32_e64 v0, 0, 1, s[6:7]
	v_cmp_ne_u32_e64 s[0:1], 1, v0
	s_andn2_b64 vcc, exec, s[6:7]
	v_mov_b32_e32 v0, 1.0
	s_cbranch_vccnz .LBB17_48
; %bb.47:
	v_div_scale_f32 v0, s[6:7], v25, v25, 1.0
	v_rcp_f32_e32 v8, v0
	v_div_scale_f32 v9, vcc, 1.0, v25, 1.0
	v_fma_f32 v10, -v0, v8, 1.0
	v_fmac_f32_e32 v8, v10, v8
	v_mul_f32_e32 v10, v9, v8
	v_fma_f32 v12, -v0, v10, v9
	v_fmac_f32_e32 v10, v12, v8
	v_fma_f32 v0, -v0, v10, v9
	v_div_fmas_f32 v0, v0, v8, v10
	v_div_fixup_f32 v0, v0, v25, 1.0
.LBB17_48:
	s_add_i32 s11, s64, 1
	v_add_u32_e32 v8, s11, v11
	v_mul_lo_u32 v8, s2, v8
	v_add_u32_e32 v8, s3, v8
	s_and_saveexec_b64 s[6:7], s[44:45]
	s_cbranch_execnz .LBB17_89
; %bb.49:
	s_or_b64 exec, exec, s[6:7]
	s_and_saveexec_b64 s[6:7], s[4:5]
	s_cbranch_execnz .LBB17_90
.LBB17_50:
	s_or_b64 exec, exec, s[6:7]
	s_and_b64 vcc, exec, s[0:1]
	v_mov_b32_e32 v8, 1.0
	s_cbranch_vccnz .LBB17_52
.LBB17_51:
	v_div_scale_f32 v0, s[6:7], v22, v22, 1.0
	v_rcp_f32_e32 v1, v0
	v_div_scale_f32 v8, vcc, 1.0, v22, 1.0
	v_fma_f32 v9, -v0, v1, 1.0
	v_fmac_f32_e32 v1, v9, v1
	v_mul_f32_e32 v9, v8, v1
	v_fma_f32 v10, -v0, v9, v8
	v_fmac_f32_e32 v9, v10, v1
	v_fma_f32 v0, -v0, v9, v8
	v_div_fmas_f32 v0, v0, v1, v9
	v_div_fixup_f32 v8, v0, v22, 1.0
.LBB17_52:
	s_add_i32 s10, s64, 2
	v_add_u32_e32 v0, s10, v11
	v_mul_lo_u32 v0, s2, v0
	v_add_u32_e32 v0, s3, v0
	s_and_saveexec_b64 s[6:7], s[44:45]
	s_cbranch_execnz .LBB17_91
; %bb.53:
	s_or_b64 exec, exec, s[6:7]
	s_and_saveexec_b64 s[6:7], s[4:5]
	s_cbranch_execnz .LBB17_92
.LBB17_54:
	s_or_b64 exec, exec, s[6:7]
	s_and_b64 vcc, exec, s[0:1]
	v_mov_b32_e32 v2, 1.0
	s_cbranch_vccnz .LBB17_56
.LBB17_55:
	v_div_scale_f32 v0, s[6:7], v23, v23, 1.0
	v_rcp_f32_e32 v1, v0
	v_div_scale_f32 v2, vcc, 1.0, v23, 1.0
	v_fma_f32 v8, -v0, v1, 1.0
	v_fmac_f32_e32 v1, v8, v1
	v_mul_f32_e32 v8, v2, v1
	v_fma_f32 v9, -v0, v8, v2
	v_fmac_f32_e32 v8, v9, v1
	v_fma_f32 v0, -v0, v8, v2
	v_div_fmas_f32 v0, v0, v1, v8
	v_div_fixup_f32 v2, v0, v23, 1.0
.LBB17_56:
	s_add_i32 s9, s64, 3
	v_add_u32_e32 v0, s9, v11
	v_mul_lo_u32 v0, s2, v0
	v_add_u32_e32 v0, s3, v0
	s_and_saveexec_b64 s[6:7], s[44:45]
	s_cbranch_execz .LBB17_58
; %bb.57:
	v_cvt_f32_f16_sdwa v11, v159 dst_sel:DWORD dst_unused:UNUSED_PAD src0_sel:WORD_1
	v_cvt_f32_f16_e32 v10, v159
	v_cvt_f32_f16_sdwa v13, v160 dst_sel:DWORD dst_unused:UNUSED_PAD src0_sel:WORD_1
	v_cvt_f32_f16_e32 v12, v160
	s_movk_i32 s12, 0x50
	v_mad_u64_u32 v[8:9], s[12:13], v0, s12, v[104:105]
	v_mov_b32_e32 v9, 0
	v_lshl_add_u64 v[14:15], v[8:9], 2, s[56:57]
	v_pk_mul_f32 v[8:9], v[2:3], v[10:11] op_sel_hi:[0,1]
	v_pk_mul_f32 v[10:11], v[2:3], v[12:13] op_sel_hi:[0,1]
	global_store_dwordx4 v[14:15], v[8:11], off
.LBB17_58:
	s_or_b64 exec, exec, s[6:7]
	s_and_saveexec_b64 s[6:7], s[4:5]
	s_cbranch_execz .LBB17_60
; %bb.59:
	v_ashrrev_i32_e32 v1, 31, v0
	v_lshl_add_u64 v[0:1], v[0:1], 3, s[58:59]
	v_mov_b32_e32 v22, v3
	global_store_dwordx2 v[0:1], v[22:23], off
.LBB17_60:
	s_or_b64 exec, exec, s[6:7]
	v_add_u32_e32 v0, s33, v148
	v_cmp_gt_i32_e32 vcc, s62, v0
	s_and_b64 exec, exec, vcc
	s_cbranch_execz .LBB17_88
; %bb.61:
	s_and_b64 vcc, exec, s[0:1]
	v_mov_b32_e32 v2, 1.0
	s_cbranch_vccnz .LBB17_63
; %bb.62:
	v_div_scale_f32 v0, s[6:7], v20, v20, 1.0
	v_rcp_f32_e32 v1, v0
	v_div_scale_f32 v2, vcc, 1.0, v20, 1.0
	v_fma_f32 v3, -v0, v1, 1.0
	v_fmac_f32_e32 v1, v3, v1
	v_mul_f32_e32 v3, v2, v1
	v_fma_f32 v8, -v0, v3, v2
	v_fmac_f32_e32 v3, v8, v1
	v_fma_f32 v0, -v0, v3, v2
	v_div_fmas_f32 v0, v0, v1, v3
	v_div_fixup_f32 v2, v0, v20, 1.0
.LBB17_63:
	v_add_u32_e32 v0, s8, v148
	v_mul_lo_u32 v0, v0, s63
	v_add_u32_e32 v0, s64, v0
	v_mul_lo_u32 v0, s2, v0
	v_add_u32_e32 v0, s3, v0
	s_and_saveexec_b64 s[6:7], s[44:45]
	s_cbranch_execz .LBB17_65
; %bb.64:
	v_cvt_f32_f16_sdwa v11, v157 dst_sel:DWORD dst_unused:UNUSED_PAD src0_sel:WORD_1
	v_cvt_f32_f16_e32 v10, v157
	v_cvt_f32_f16_sdwa v13, v158 dst_sel:DWORD dst_unused:UNUSED_PAD src0_sel:WORD_1
	v_cvt_f32_f16_e32 v12, v158
	s_movk_i32 s12, 0x50
	v_mad_u64_u32 v[8:9], s[12:13], v0, s12, v[104:105]
	v_mov_b32_e32 v9, 0
	v_lshl_add_u64 v[14:15], v[8:9], 2, s[56:57]
	v_pk_mul_f32 v[8:9], v[2:3], v[10:11] op_sel_hi:[0,1]
	v_pk_mul_f32 v[10:11], v[2:3], v[12:13] op_sel_hi:[0,1]
	global_store_dwordx4 v[14:15], v[8:11], off
.LBB17_65:
	s_or_b64 exec, exec, s[6:7]
	s_and_saveexec_b64 s[6:7], s[4:5]
	s_cbranch_execz .LBB17_67
; %bb.66:
	v_ashrrev_i32_e32 v1, 31, v0
	v_lshl_add_u64 v[0:1], v[0:1], 3, s[58:59]
	v_mov_b32_e32 v2, v4
	v_mov_b32_e32 v3, v20
	global_store_dwordx2 v[0:1], v[2:3], off
.LBB17_67:
	s_or_b64 exec, exec, s[6:7]
	v_lshrrev_b32_e32 v0, 2, v125
	v_add_u32_e32 v1, s33, v0
	v_cmp_gt_i32_e32 vcc, s62, v1
	s_and_b64 exec, exec, vcc
	s_cbranch_execz .LBB17_88
; %bb.68:
	s_and_b64 vcc, exec, s[0:1]
	v_mov_b32_e32 v2, 1.0
	s_cbranch_vccnz .LBB17_70
; %bb.69:
	v_div_scale_f32 v1, s[6:7], v21, v21, 1.0
	v_rcp_f32_e32 v2, v1
	v_div_scale_f32 v3, vcc, 1.0, v21, 1.0
	v_fma_f32 v4, -v1, v2, 1.0
	v_fmac_f32_e32 v2, v4, v2
	v_mul_f32_e32 v4, v3, v2
	v_fma_f32 v8, -v1, v4, v3
	v_fmac_f32_e32 v4, v8, v2
	v_fma_f32 v1, -v1, v4, v3
	v_div_fmas_f32 v1, v1, v2, v4
	v_div_fixup_f32 v2, v1, v21, 1.0
.LBB17_70:
	v_add_u32_e32 v0, s8, v0
	v_mul_lo_u32 v0, v0, s63
	v_add_u32_e32 v0, s11, v0
	v_mul_lo_u32 v0, s2, v0
	v_add_u32_e32 v0, s3, v0
	s_and_saveexec_b64 s[6:7], s[44:45]
	s_cbranch_execz .LBB17_72
; %bb.71:
	v_cvt_f32_f16_sdwa v11, v155 dst_sel:DWORD dst_unused:UNUSED_PAD src0_sel:WORD_1
	v_cvt_f32_f16_e32 v10, v155
	v_cvt_f32_f16_sdwa v13, v156 dst_sel:DWORD dst_unused:UNUSED_PAD src0_sel:WORD_1
	v_cvt_f32_f16_e32 v12, v156
	s_movk_i32 s11, 0x50
	v_mad_u64_u32 v[8:9], s[12:13], v0, s11, v[104:105]
	v_mov_b32_e32 v9, 0
	v_lshl_add_u64 v[14:15], v[8:9], 2, s[56:57]
	v_pk_mul_f32 v[8:9], v[2:3], v[10:11] op_sel_hi:[0,1]
	v_pk_mul_f32 v[10:11], v[2:3], v[12:13] op_sel_hi:[0,1]
	global_store_dwordx4 v[14:15], v[8:11], off
.LBB17_72:
	s_or_b64 exec, exec, s[6:7]
	s_and_saveexec_b64 s[6:7], s[4:5]
	s_cbranch_execz .LBB17_74
; %bb.73:
	v_ashrrev_i32_e32 v1, 31, v0
	v_lshl_add_u64 v[0:1], v[0:1], 3, s[58:59]
	v_mov_b32_e32 v20, v5
	global_store_dwordx2 v[0:1], v[20:21], off
.LBB17_74:
	s_or_b64 exec, exec, s[6:7]
	v_lshrrev_b32_e32 v0, 2, v121
	v_add_u32_e32 v1, s33, v0
	v_cmp_gt_i32_e32 vcc, s62, v1
	s_and_b64 exec, exec, vcc
	s_cbranch_execz .LBB17_88
; %bb.75:
	s_and_b64 vcc, exec, s[0:1]
	v_mov_b32_e32 v2, 1.0
	s_cbranch_vccnz .LBB17_77
; %bb.76:
	v_div_scale_f32 v1, s[6:7], v18, v18, 1.0
	v_rcp_f32_e32 v2, v1
	v_div_scale_f32 v3, vcc, 1.0, v18, 1.0
	v_fma_f32 v4, -v1, v2, 1.0
	v_fmac_f32_e32 v2, v4, v2
	v_mul_f32_e32 v4, v3, v2
	v_fma_f32 v5, -v1, v4, v3
	v_fmac_f32_e32 v4, v5, v2
	v_fma_f32 v1, -v1, v4, v3
	v_div_fmas_f32 v1, v1, v2, v4
	v_div_fixup_f32 v2, v1, v18, 1.0
.LBB17_77:
	v_add_u32_e32 v0, s8, v0
	v_mul_lo_u32 v0, v0, s63
	v_add_u32_e32 v0, s10, v0
	v_mul_lo_u32 v0, s2, v0
	v_add_u32_e32 v0, s3, v0
	s_and_saveexec_b64 s[6:7], s[44:45]
	s_cbranch_execz .LBB17_79
; %bb.78:
	v_cvt_f32_f16_sdwa v9, v153 dst_sel:DWORD dst_unused:UNUSED_PAD src0_sel:WORD_1
	v_cvt_f32_f16_e32 v8, v153
	v_cvt_f32_f16_sdwa v11, v154 dst_sel:DWORD dst_unused:UNUSED_PAD src0_sel:WORD_1
	v_cvt_f32_f16_e32 v10, v154
	s_movk_i32 s10, 0x50
	v_mad_u64_u32 v[4:5], s[10:11], v0, s10, v[104:105]
	v_mov_b32_e32 v5, 0
	v_lshl_add_u64 v[4:5], v[4:5], 2, s[56:57]
	v_pk_mul_f32 v[8:9], v[2:3], v[8:9] op_sel_hi:[0,1]
	v_pk_mul_f32 v[10:11], v[2:3], v[10:11] op_sel_hi:[0,1]
	global_store_dwordx4 v[4:5], v[8:11], off
.LBB17_79:
	s_or_b64 exec, exec, s[6:7]
	s_and_saveexec_b64 s[6:7], s[4:5]
	s_cbranch_execz .LBB17_81
; %bb.80:
	v_ashrrev_i32_e32 v1, 31, v0
	v_lshl_add_u64 v[0:1], v[0:1], 3, s[58:59]
	v_mov_b32_e32 v2, v6
	v_mov_b32_e32 v3, v18
	global_store_dwordx2 v[0:1], v[2:3], off
.LBB17_81:
	s_or_b64 exec, exec, s[6:7]
	v_lshrrev_b32_e32 v0, 2, v105
	v_add_u32_e32 v1, s33, v0
	v_cmp_gt_i32_e32 vcc, s62, v1
	s_and_b64 exec, exec, vcc
	s_cbranch_execz .LBB17_88
; %bb.82:
	s_and_b64 vcc, exec, s[0:1]
	v_mov_b32_e32 v2, 1.0
	s_cbranch_vccnz .LBB17_84
; %bb.83:
	v_div_scale_f32 v1, s[0:1], v19, v19, 1.0
	v_rcp_f32_e32 v2, v1
	v_div_scale_f32 v3, vcc, 1.0, v19, 1.0
	v_fma_f32 v4, -v1, v2, 1.0
	v_fmac_f32_e32 v2, v4, v2
	v_mul_f32_e32 v4, v3, v2
	v_fma_f32 v5, -v1, v4, v3
	v_fmac_f32_e32 v4, v5, v2
	v_fma_f32 v1, -v1, v4, v3
	v_div_fmas_f32 v1, v1, v2, v4
	v_div_fixup_f32 v2, v1, v19, 1.0
.LBB17_84:
	v_add_u32_e32 v0, s8, v0
	v_mul_lo_u32 v0, v0, s63
	v_add_u32_e32 v0, s9, v0
	v_mul_lo_u32 v0, s2, v0
	v_add_u32_e32 v0, s3, v0
	s_and_saveexec_b64 s[0:1], s[44:45]
	s_cbranch_execz .LBB17_86
; %bb.85:
	v_cvt_f32_f16_sdwa v9, v151 dst_sel:DWORD dst_unused:UNUSED_PAD src0_sel:WORD_1
	v_cvt_f32_f16_e32 v8, v151
	v_cvt_f32_f16_sdwa v11, v152 dst_sel:DWORD dst_unused:UNUSED_PAD src0_sel:WORD_1
	v_cvt_f32_f16_e32 v10, v152
	s_movk_i32 s2, 0x50
	v_mad_u64_u32 v[4:5], s[2:3], v0, s2, v[104:105]
	v_mov_b32_e32 v5, 0
	v_lshl_add_u64 v[4:5], v[4:5], 2, s[56:57]
	v_pk_mul_f32 v[8:9], v[2:3], v[8:9] op_sel_hi:[0,1]
	v_pk_mul_f32 v[10:11], v[2:3], v[10:11] op_sel_hi:[0,1]
	global_store_dwordx4 v[4:5], v[8:11], off
.LBB17_86:
	s_or_b64 exec, exec, s[0:1]
	s_and_b64 exec, exec, s[4:5]
	s_cbranch_execz .LBB17_88
; %bb.87:
	v_ashrrev_i32_e32 v1, 31, v0
	v_lshl_add_u64 v[0:1], v[0:1], 3, s[58:59]
	v_mov_b32_e32 v18, v7
	global_store_dwordx2 v[0:1], v[18:19], off
.LBB17_88:
	s_endpgm
.LBB17_89:
	v_cvt_f32_f16_sdwa v15, v164 dst_sel:DWORD dst_unused:UNUSED_PAD src0_sel:WORD_1
	v_cvt_f32_f16_e32 v14, v164
	v_cvt_f32_f16_sdwa v17, v163 dst_sel:DWORD dst_unused:UNUSED_PAD src0_sel:WORD_1
	v_cvt_f32_f16_e32 v16, v163
	s_movk_i32 s9, 0x50
	v_mad_u64_u32 v[12:13], s[12:13], v8, s9, v[104:105]
	v_mov_b32_e32 v13, 0
	v_lshl_add_u64 v[26:27], v[12:13], 2, s[56:57]
	v_pk_mul_f32 v[12:13], v[0:1], v[14:15] op_sel_hi:[0,1]
	v_pk_mul_f32 v[14:15], v[0:1], v[16:17] op_sel_hi:[0,1]
	global_store_dwordx4 v[26:27], v[12:15], off
	s_or_b64 exec, exec, s[6:7]
	s_and_saveexec_b64 s[6:7], s[4:5]
	s_cbranch_execz .LBB17_50
.LBB17_90:
	v_ashrrev_i32_e32 v9, 31, v8
	v_lshl_add_u64 v[8:9], v[8:9], 3, s[58:59]
	v_mov_b32_e32 v24, v1
	global_store_dwordx2 v[8:9], v[24:25], off
	s_or_b64 exec, exec, s[6:7]
	s_and_b64 vcc, exec, s[0:1]
	v_mov_b32_e32 v8, 1.0
	s_cbranch_vccz .LBB17_51
	s_branch .LBB17_52
.LBB17_91:
	v_cvt_f32_f16_sdwa v15, v162 dst_sel:DWORD dst_unused:UNUSED_PAD src0_sel:WORD_1
	v_cvt_f32_f16_e32 v14, v162
	v_cvt_f32_f16_sdwa v17, v161 dst_sel:DWORD dst_unused:UNUSED_PAD src0_sel:WORD_1
	v_cvt_f32_f16_e32 v16, v161
	s_movk_i32 s9, 0x50
	v_mad_u64_u32 v[12:13], s[12:13], v0, s9, v[104:105]
	v_mov_b32_e32 v13, 0
	v_lshl_add_u64 v[24:25], v[12:13], 2, s[56:57]
	v_pk_mul_f32 v[12:13], v[8:9], v[14:15] op_sel_hi:[0,1]
	v_pk_mul_f32 v[14:15], v[8:9], v[16:17] op_sel_hi:[0,1]
	global_store_dwordx4 v[24:25], v[12:15], off
	s_or_b64 exec, exec, s[6:7]
	s_and_saveexec_b64 s[6:7], s[4:5]
	s_cbranch_execz .LBB17_54
.LBB17_92:
	v_ashrrev_i32_e32 v1, 31, v0
	v_lshl_add_u64 v[0:1], v[0:1], 3, s[58:59]
	v_mov_b32_e32 v8, v2
	v_mov_b32_e32 v9, v22
	global_store_dwordx2 v[0:1], v[8:9], off
	s_or_b64 exec, exec, s[6:7]
	s_and_b64 vcc, exec, s[0:1]
	v_mov_b32_e32 v2, 1.0
	s_cbranch_vccz .LBB17_55
	s_branch .LBB17_56
	.section	.rodata,"a",@progbits
	.p2align	6, 0x0
	.amdhsa_kernel _ZL15flash_attn_tileILi80ELi80ELi16ELi4ELb0EEvPKcS1_S1_S1_S1_PKiPfP15HIP_vector_typeIfLj2EEffffjfiS5_IjLj3EEiiiiiiiiiiiliiliiiiil
		.amdhsa_group_segment_fixed_size 17600
		.amdhsa_private_segment_fixed_size 0
		.amdhsa_kernarg_size 464
		.amdhsa_user_sgpr_count 2
		.amdhsa_user_sgpr_dispatch_ptr 0
		.amdhsa_user_sgpr_queue_ptr 0
		.amdhsa_user_sgpr_kernarg_segment_ptr 1
		.amdhsa_user_sgpr_dispatch_id 0
		.amdhsa_user_sgpr_kernarg_preload_length 0
		.amdhsa_user_sgpr_kernarg_preload_offset 0
		.amdhsa_user_sgpr_private_segment_size 0
		.amdhsa_uses_dynamic_stack 0
		.amdhsa_enable_private_segment 0
		.amdhsa_system_sgpr_workgroup_id_x 1
		.amdhsa_system_sgpr_workgroup_id_y 1
		.amdhsa_system_sgpr_workgroup_id_z 1
		.amdhsa_system_sgpr_workgroup_info 0
		.amdhsa_system_vgpr_workitem_id 1
		.amdhsa_next_free_vgpr 194
		.amdhsa_next_free_sgpr 75
		.amdhsa_accum_offset 196
		.amdhsa_reserve_vcc 1
		.amdhsa_float_round_mode_32 0
		.amdhsa_float_round_mode_16_64 0
		.amdhsa_float_denorm_mode_32 3
		.amdhsa_float_denorm_mode_16_64 3
		.amdhsa_dx10_clamp 1
		.amdhsa_ieee_mode 1
		.amdhsa_fp16_overflow 0
		.amdhsa_tg_split 0
		.amdhsa_exception_fp_ieee_invalid_op 0
		.amdhsa_exception_fp_denorm_src 0
		.amdhsa_exception_fp_ieee_div_zero 0
		.amdhsa_exception_fp_ieee_overflow 0
		.amdhsa_exception_fp_ieee_underflow 0
		.amdhsa_exception_fp_ieee_inexact 0
		.amdhsa_exception_int_div_zero 0
	.end_amdhsa_kernel
	.section	.text._ZL15flash_attn_tileILi80ELi80ELi16ELi4ELb0EEvPKcS1_S1_S1_S1_PKiPfP15HIP_vector_typeIfLj2EEffffjfiS5_IjLj3EEiiiiiiiiiiiliiliiiiil,"axG",@progbits,_ZL15flash_attn_tileILi80ELi80ELi16ELi4ELb0EEvPKcS1_S1_S1_S1_PKiPfP15HIP_vector_typeIfLj2EEffffjfiS5_IjLj3EEiiiiiiiiiiiliiliiiiil,comdat
.Lfunc_end17:
	.size	_ZL15flash_attn_tileILi80ELi80ELi16ELi4ELb0EEvPKcS1_S1_S1_S1_PKiPfP15HIP_vector_typeIfLj2EEffffjfiS5_IjLj3EEiiiiiiiiiiiliiliiiiil, .Lfunc_end17-_ZL15flash_attn_tileILi80ELi80ELi16ELi4ELb0EEvPKcS1_S1_S1_S1_PKiPfP15HIP_vector_typeIfLj2EEffffjfiS5_IjLj3EEiiiiiiiiiiiliiliiiiil
                                        ; -- End function
	.section	.AMDGPU.csdata,"",@progbits
; Kernel info:
; codeLenInByte = 19664
; NumSgprs: 81
; NumVgprs: 194
; NumAgprs: 0
; TotalNumVgprs: 194
; ScratchSize: 0
; MemoryBound: 0
; FloatMode: 240
; IeeeMode: 1
; LDSByteSize: 17600 bytes/workgroup (compile time only)
; SGPRBlocks: 10
; VGPRBlocks: 24
; NumSGPRsForWavesPerEU: 81
; NumVGPRsForWavesPerEU: 194
; AccumOffset: 196
; Occupancy: 2
; WaveLimiterHint : 1
; COMPUTE_PGM_RSRC2:SCRATCH_EN: 0
; COMPUTE_PGM_RSRC2:USER_SGPR: 2
; COMPUTE_PGM_RSRC2:TRAP_HANDLER: 0
; COMPUTE_PGM_RSRC2:TGID_X_EN: 1
; COMPUTE_PGM_RSRC2:TGID_Y_EN: 1
; COMPUTE_PGM_RSRC2:TGID_Z_EN: 1
; COMPUTE_PGM_RSRC2:TIDIG_COMP_CNT: 1
; COMPUTE_PGM_RSRC3_GFX90A:ACCUM_OFFSET: 48
; COMPUTE_PGM_RSRC3_GFX90A:TG_SPLIT: 0
	.section	.text._ZL25flash_attn_mask_to_KV_maxILi16EEvPK7__half2Piiii,"axG",@progbits,_ZL25flash_attn_mask_to_KV_maxILi16EEvPK7__half2Piiii,comdat
	.globl	_ZL25flash_attn_mask_to_KV_maxILi16EEvPK7__half2Piiii ; -- Begin function _ZL25flash_attn_mask_to_KV_maxILi16EEvPK7__half2Piiii
	.p2align	8
	.type	_ZL25flash_attn_mask_to_KV_maxILi16EEvPK7__half2Piiii,@function
_ZL25flash_attn_mask_to_KV_maxILi16EEvPK7__half2Piiii: ; @_ZL25flash_attn_mask_to_KV_maxILi16EEvPK7__half2Piiii
; %bb.0:
	s_load_dwordx4 s[4:7], s[0:1], 0x0
	v_cmp_gt_u32_e32 vcc, 32, v0
	s_and_saveexec_b64 s[8:9], vcc
	s_cbranch_execz .LBB18_2
; %bb.1:
	v_lshlrev_b32_e32 v1, 2, v0
	v_mov_b32_e32 v2, 1
	ds_write_b32 v1, v2
.LBB18_2:
	s_or_b64 exec, exec, s[8:9]
	s_load_dwordx4 s[8:11], s[0:1], 0x10
	s_load_dword s33, s[0:1], 0x20
	v_and_b32_e32 v2, 31, v0
	v_lshlrev_b32_e32 v6, 2, v2
	v_lshrrev_b32_e32 v1, 3, v0
	s_waitcnt lgkmcnt(0)
	s_mul_i32 s1, s2, s9
	s_mul_i32 s0, s3, s10
	s_lshl_b32 s1, s1, 4
	s_add_i32 s0, s0, s1
	s_ashr_i32 s1, s0, 31
	s_lshl_b64 s[0:1], s[0:1], 2
	s_add_u32 s10, s4, s0
	s_addc_u32 s11, s5, s1
	v_cmp_eq_u32_e64 s[0:1], 0, v2
	v_mbcnt_lo_u32_b32 v2, -1, 0
	s_lshl_b32 s8, s8, 8
	s_mov_b64 s[12:13], 0
	v_mov_b32_e32 v3, 0
	s_movk_i32 s76, 0x204
	s_movk_i32 s77, 0x7fff
	s_movk_i32 s78, 0x7c00
	v_mbcnt_hi_u32_b32 v7, -1, v2
	s_barrier
	s_waitcnt lgkmcnt(0)
                                        ; implicit-def: $sgpr4_sgpr5
	s_branch .LBB18_5
.LBB18_3:                               ;   in Loop: Header=BB18_5 Depth=1
	s_or_b64 exec, exec, s[14:15]
	s_waitcnt lgkmcnt(0)
	s_barrier
	ds_read_b32 v10, v6
	s_waitcnt lgkmcnt(0)
	s_barrier
	ds_bpermute_b32 v2, v2, v10
	v_cmp_ne_u32_e32 vcc, 0, v10
	s_waitcnt lgkmcnt(0)
	v_cmp_ne_u32_e64 s[4:5], 0, v2
	s_and_b64 s[4:5], vcc, s[4:5]
	s_nop 0
	v_cndmask_b32_e64 v2, 0, 1, s[4:5]
	ds_bpermute_b32 v2, v4, v2
	s_waitcnt lgkmcnt(0)
	v_cmp_ne_u32_e32 vcc, 0, v2
	s_and_b64 s[4:5], vcc, s[4:5]
	v_cndmask_b32_e64 v2, 0, 1, s[4:5]
	ds_bpermute_b32 v2, v5, v2
	s_waitcnt lgkmcnt(0)
	v_cmp_ne_u32_e32 vcc, 0, v2
	s_and_b64 s[4:5], vcc, s[4:5]
	;; [unrolled: 5-line block ×3, first 2 shown]
	v_cndmask_b32_e64 v2, 0, 1, s[4:5]
	ds_bpermute_b32 v2, v9, v2
	s_xor_b64 s[4:5], s[4:5], -1
	s_waitcnt lgkmcnt(0)
	v_cmp_eq_u32_e32 vcc, 0, v2
	s_or_b64 s[4:5], vcc, s[4:5]
.LBB18_4:                               ;   in Loop: Header=BB18_5 Depth=1
	s_and_b64 s[14:15], exec, s[4:5]
	s_or_b64 s[12:13], s[14:15], s[12:13]
	v_mov_b32_e32 v2, s8
	s_mov_b32 s8, s79
	s_andn2_b64 exec, exec, s[12:13]
	s_cbranch_execz .LBB18_68
.LBB18_5:                               ; =>This Inner Loop Header: Depth=1
	s_add_i32 s79, s8, 0xffffff00
	s_or_b64 s[4:5], s[4:5], exec
	s_cmp_lt_i32 s79, 0
	s_cbranch_scc1 .LBB18_4
; %bb.6:                                ;   in Loop: Header=BB18_5 Depth=1
	s_lshr_b32 s4, s79, 1
	v_add_u32_e32 v2, s4, v0
	v_lshl_add_u64 v[4:5], v[2:3], 2, s[10:11]
	global_load_dword v4, v[4:5], off
	s_mov_b64 s[14:15], 0
	s_waitcnt vmcnt(0)
	v_cmp_class_f16_e64 s[4:5], v4, s76
	v_and_b32_sdwa v4, s77, v4 dst_sel:DWORD dst_unused:UNUSED_PAD src0_sel:DWORD src1_sel:WORD_1
	v_cmp_eq_f16_e32 vcc, s78, v4
	s_and_b64 s[16:17], s[4:5], vcc
	s_and_saveexec_b64 s[4:5], s[16:17]
	s_cbranch_execz .LBB18_66
; %bb.7:                                ;   in Loop: Header=BB18_5 Depth=1
	v_add_u32_e32 v4, s9, v2
	v_ashrrev_i32_e32 v5, 31, v4
	v_lshl_add_u64 v[8:9], v[4:5], 2, s[10:11]
	global_load_dword v2, v[8:9], off
	s_mov_b64 s[16:17], 0
	s_waitcnt vmcnt(0)
	v_cmp_class_f16_e64 s[18:19], v2, s76
	s_and_saveexec_b64 s[14:15], s[18:19]
	s_cbranch_execz .LBB18_65
; %bb.8:                                ;   in Loop: Header=BB18_5 Depth=1
	v_cmp_class_f16_sdwa s[20:21], v2, s76 src0_sel:WORD_1 src1_sel:DWORD
	s_mov_b64 s[18:19], 0
	s_and_saveexec_b64 s[16:17], s[20:21]
	s_cbranch_execz .LBB18_64
; %bb.9:                                ;   in Loop: Header=BB18_5 Depth=1
	v_add_u32_e32 v4, s9, v4
	v_ashrrev_i32_e32 v5, 31, v4
	v_lshl_add_u64 v[8:9], v[4:5], 2, s[10:11]
	global_load_dword v2, v[8:9], off
	s_mov_b64 s[20:21], 0
	s_waitcnt vmcnt(0)
	v_cmp_class_f16_e64 s[22:23], v2, s76
	s_and_saveexec_b64 s[18:19], s[22:23]
	s_cbranch_execz .LBB18_63
; %bb.10:                               ;   in Loop: Header=BB18_5 Depth=1
	v_cmp_class_f16_sdwa s[24:25], v2, s76 src0_sel:WORD_1 src1_sel:DWORD
	s_mov_b64 s[22:23], 0
	s_and_saveexec_b64 s[20:21], s[24:25]
	s_cbranch_execz .LBB18_62
; %bb.11:                               ;   in Loop: Header=BB18_5 Depth=1
	v_add_u32_e32 v4, s9, v4
	v_ashrrev_i32_e32 v5, 31, v4
	v_lshl_add_u64 v[8:9], v[4:5], 2, s[10:11]
	global_load_dword v2, v[8:9], off
	s_mov_b64 s[24:25], 0
	s_waitcnt vmcnt(0)
	v_cmp_class_f16_e64 s[26:27], v2, s76
	s_and_saveexec_b64 s[22:23], s[26:27]
	s_cbranch_execz .LBB18_61
; %bb.12:                               ;   in Loop: Header=BB18_5 Depth=1
	v_cmp_class_f16_sdwa s[28:29], v2, s76 src0_sel:WORD_1 src1_sel:DWORD
	s_mov_b64 s[26:27], 0
	s_and_saveexec_b64 s[24:25], s[28:29]
	s_cbranch_execz .LBB18_60
; %bb.13:                               ;   in Loop: Header=BB18_5 Depth=1
	;; [unrolled: 15-line block ×13, first 2 shown]
	v_add_u32_e32 v4, s9, v4
	v_ashrrev_i32_e32 v5, 31, v4
	v_lshl_add_u64 v[4:5], v[4:5], 2, s[10:11]
	global_load_dword v2, v[4:5], off
	s_waitcnt vmcnt(0)
	v_cmp_class_f16_e64 s[80:81], v2, s76
	s_and_saveexec_b64 s[74:75], s[80:81]
; %bb.36:                               ;   in Loop: Header=BB18_5 Depth=1
	v_cmp_class_f16_sdwa s[72:73], v2, s76 src0_sel:WORD_1 src1_sel:DWORD
	s_and_b64 s[72:73], s[72:73], exec
; %bb.37:                               ;   in Loop: Header=BB18_5 Depth=1
	s_or_b64 exec, exec, s[74:75]
	s_and_b64 s[72:73], s[72:73], exec
.LBB18_38:                              ;   in Loop: Header=BB18_5 Depth=1
	s_or_b64 exec, exec, s[70:71]
	s_and_b64 s[70:71], s[72:73], exec
.LBB18_39:                              ;   in Loop: Header=BB18_5 Depth=1
	s_or_b64 exec, exec, s[68:69]
	s_and_b64 s[68:69], s[70:71], exec
.LBB18_40:                              ;   in Loop: Header=BB18_5 Depth=1
	s_or_b64 exec, exec, s[66:67]
	s_and_b64 s[66:67], s[68:69], exec
.LBB18_41:                              ;   in Loop: Header=BB18_5 Depth=1
	s_or_b64 exec, exec, s[64:65]
	s_and_b64 s[64:65], s[66:67], exec
.LBB18_42:                              ;   in Loop: Header=BB18_5 Depth=1
	s_or_b64 exec, exec, s[62:63]
	s_and_b64 s[62:63], s[64:65], exec
.LBB18_43:                              ;   in Loop: Header=BB18_5 Depth=1
	s_or_b64 exec, exec, s[60:61]
	s_and_b64 s[60:61], s[62:63], exec
.LBB18_44:                              ;   in Loop: Header=BB18_5 Depth=1
	s_or_b64 exec, exec, s[58:59]
	s_and_b64 s[58:59], s[60:61], exec
.LBB18_45:                              ;   in Loop: Header=BB18_5 Depth=1
	s_or_b64 exec, exec, s[56:57]
	s_and_b64 s[56:57], s[58:59], exec
.LBB18_46:                              ;   in Loop: Header=BB18_5 Depth=1
	s_or_b64 exec, exec, s[54:55]
	s_and_b64 s[54:55], s[56:57], exec
.LBB18_47:                              ;   in Loop: Header=BB18_5 Depth=1
	s_or_b64 exec, exec, s[52:53]
	s_and_b64 s[52:53], s[54:55], exec
.LBB18_48:                              ;   in Loop: Header=BB18_5 Depth=1
	s_or_b64 exec, exec, s[50:51]
	s_and_b64 s[50:51], s[52:53], exec
.LBB18_49:                              ;   in Loop: Header=BB18_5 Depth=1
	s_or_b64 exec, exec, s[48:49]
	s_and_b64 s[48:49], s[50:51], exec
.LBB18_50:                              ;   in Loop: Header=BB18_5 Depth=1
	s_or_b64 exec, exec, s[46:47]
	s_and_b64 s[46:47], s[48:49], exec
.LBB18_51:                              ;   in Loop: Header=BB18_5 Depth=1
	s_or_b64 exec, exec, s[44:45]
	s_and_b64 s[44:45], s[46:47], exec
.LBB18_52:                              ;   in Loop: Header=BB18_5 Depth=1
	s_or_b64 exec, exec, s[42:43]
	s_and_b64 s[42:43], s[44:45], exec
.LBB18_53:                              ;   in Loop: Header=BB18_5 Depth=1
	s_or_b64 exec, exec, s[40:41]
	s_and_b64 s[40:41], s[42:43], exec
.LBB18_54:                              ;   in Loop: Header=BB18_5 Depth=1
	s_or_b64 exec, exec, s[38:39]
	s_and_b64 s[38:39], s[40:41], exec
.LBB18_55:                              ;   in Loop: Header=BB18_5 Depth=1
	s_or_b64 exec, exec, s[36:37]
	s_and_b64 s[36:37], s[38:39], exec
.LBB18_56:                              ;   in Loop: Header=BB18_5 Depth=1
	s_or_b64 exec, exec, s[34:35]
	s_and_b64 s[34:35], s[36:37], exec
.LBB18_57:                              ;   in Loop: Header=BB18_5 Depth=1
	s_or_b64 exec, exec, s[30:31]
	s_and_b64 s[30:31], s[34:35], exec
.LBB18_58:                              ;   in Loop: Header=BB18_5 Depth=1
	s_or_b64 exec, exec, s[28:29]
	s_and_b64 s[28:29], s[30:31], exec
.LBB18_59:                              ;   in Loop: Header=BB18_5 Depth=1
	s_or_b64 exec, exec, s[26:27]
	s_and_b64 s[26:27], s[28:29], exec
.LBB18_60:                              ;   in Loop: Header=BB18_5 Depth=1
	s_or_b64 exec, exec, s[24:25]
	s_and_b64 s[24:25], s[26:27], exec
.LBB18_61:                              ;   in Loop: Header=BB18_5 Depth=1
	s_or_b64 exec, exec, s[22:23]
	s_and_b64 s[22:23], s[24:25], exec
.LBB18_62:                              ;   in Loop: Header=BB18_5 Depth=1
	s_or_b64 exec, exec, s[20:21]
	s_and_b64 s[20:21], s[22:23], exec
.LBB18_63:                              ;   in Loop: Header=BB18_5 Depth=1
	s_or_b64 exec, exec, s[18:19]
	s_and_b64 s[18:19], s[20:21], exec
.LBB18_64:                              ;   in Loop: Header=BB18_5 Depth=1
	s_or_b64 exec, exec, s[16:17]
	s_and_b64 s[16:17], s[18:19], exec
.LBB18_65:                              ;   in Loop: Header=BB18_5 Depth=1
	s_or_b64 exec, exec, s[14:15]
	s_and_b64 s[14:15], s[16:17], exec
.LBB18_66:                              ;   in Loop: Header=BB18_5 Depth=1
	s_or_b64 exec, exec, s[4:5]
	v_and_b32_e32 v2, 0x60, v7
	v_add_u32_e32 v9, 32, v2
	v_xor_b32_e32 v2, 16, v7
	v_cmp_lt_i32_e32 vcc, v2, v9
	v_cndmask_b32_e64 v4, 0, 1, s[14:15]
	v_xor_b32_e32 v11, 1, v7
	v_cndmask_b32_e32 v2, v7, v2, vcc
	v_lshlrev_b32_e32 v2, 2, v2
	ds_bpermute_b32 v4, v2, v4
	s_waitcnt lgkmcnt(0)
	v_cmp_ne_u32_e32 vcc, 0, v4
	v_xor_b32_e32 v4, 8, v7
	s_and_b64 s[4:5], s[14:15], vcc
	v_cmp_lt_i32_e32 vcc, v4, v9
	v_cndmask_b32_e64 v5, 0, 1, s[4:5]
	s_nop 0
	v_cndmask_b32_e32 v4, v7, v4, vcc
	v_lshlrev_b32_e32 v4, 2, v4
	ds_bpermute_b32 v5, v4, v5
	s_waitcnt lgkmcnt(0)
	v_cmp_ne_u32_e32 vcc, 0, v5
	v_xor_b32_e32 v5, 4, v7
	s_and_b64 s[4:5], vcc, s[4:5]
	v_cmp_lt_i32_e32 vcc, v5, v9
	v_cndmask_b32_e64 v8, 0, 1, s[4:5]
	s_nop 0
	v_cndmask_b32_e32 v5, v7, v5, vcc
	v_lshlrev_b32_e32 v5, 2, v5
	ds_bpermute_b32 v8, v5, v8
	s_waitcnt lgkmcnt(0)
	v_cmp_ne_u32_e32 vcc, 0, v8
	v_xor_b32_e32 v8, 2, v7
	s_and_b64 s[4:5], vcc, s[4:5]
	v_cmp_lt_i32_e32 vcc, v8, v9
	v_cndmask_b32_e64 v10, 0, 1, s[4:5]
	s_nop 0
	v_cndmask_b32_e32 v8, v7, v8, vcc
	v_lshlrev_b32_e32 v8, 2, v8
	ds_bpermute_b32 v10, v8, v10
	s_waitcnt lgkmcnt(0)
	v_cmp_ne_u32_e32 vcc, 0, v10
	s_and_b64 s[4:5], vcc, s[4:5]
	v_cmp_lt_i32_e32 vcc, v11, v9
	v_cndmask_b32_e64 v10, 0, 1, s[4:5]
	s_nop 0
	v_cndmask_b32_e32 v9, v7, v11, vcc
	v_lshlrev_b32_e32 v9, 2, v9
	ds_bpermute_b32 v10, v9, v10
	s_and_saveexec_b64 s[14:15], s[0:1]
	s_cbranch_execz .LBB18_3
; %bb.67:                               ;   in Loop: Header=BB18_5 Depth=1
	s_waitcnt lgkmcnt(0)
	v_cmp_ne_u32_e32 vcc, 0, v10
	s_and_b64 s[4:5], vcc, s[4:5]
	v_cndmask_b32_e64 v10, 0, 1, s[4:5]
	ds_write_b32 v1, v10
	s_branch .LBB18_3
.LBB18_68:
	s_or_b64 exec, exec, s[12:13]
	v_cmp_eq_u32_e32 vcc, 0, v0
	s_and_saveexec_b64 s[0:1], vcc
	s_cbranch_execz .LBB18_70
; %bb.69:
	s_mul_i32 s0, s33, s3
	s_add_i32 s0, s0, s2
	s_ashr_i32 s1, s0, 31
	s_lshl_b64 s[0:1], s[0:1], 2
	s_add_u32 s0, s6, s0
	s_addc_u32 s1, s7, s1
	v_mov_b32_e32 v0, 0
	global_store_dword v0, v2, s[0:1]
.LBB18_70:
	s_endpgm
	.section	.rodata,"a",@progbits
	.p2align	6, 0x0
	.amdhsa_kernel _ZL25flash_attn_mask_to_KV_maxILi16EEvPK7__half2Piiii
		.amdhsa_group_segment_fixed_size 128
		.amdhsa_private_segment_fixed_size 0
		.amdhsa_kernarg_size 288
		.amdhsa_user_sgpr_count 2
		.amdhsa_user_sgpr_dispatch_ptr 0
		.amdhsa_user_sgpr_queue_ptr 0
		.amdhsa_user_sgpr_kernarg_segment_ptr 1
		.amdhsa_user_sgpr_dispatch_id 0
		.amdhsa_user_sgpr_kernarg_preload_length 0
		.amdhsa_user_sgpr_kernarg_preload_offset 0
		.amdhsa_user_sgpr_private_segment_size 0
		.amdhsa_uses_dynamic_stack 0
		.amdhsa_enable_private_segment 0
		.amdhsa_system_sgpr_workgroup_id_x 1
		.amdhsa_system_sgpr_workgroup_id_y 1
		.amdhsa_system_sgpr_workgroup_id_z 0
		.amdhsa_system_sgpr_workgroup_info 0
		.amdhsa_system_vgpr_workitem_id 0
		.amdhsa_next_free_vgpr 12
		.amdhsa_next_free_sgpr 82
		.amdhsa_accum_offset 12
		.amdhsa_reserve_vcc 1
		.amdhsa_float_round_mode_32 0
		.amdhsa_float_round_mode_16_64 0
		.amdhsa_float_denorm_mode_32 3
		.amdhsa_float_denorm_mode_16_64 3
		.amdhsa_dx10_clamp 1
		.amdhsa_ieee_mode 1
		.amdhsa_fp16_overflow 0
		.amdhsa_tg_split 0
		.amdhsa_exception_fp_ieee_invalid_op 0
		.amdhsa_exception_fp_denorm_src 0
		.amdhsa_exception_fp_ieee_div_zero 0
		.amdhsa_exception_fp_ieee_overflow 0
		.amdhsa_exception_fp_ieee_underflow 0
		.amdhsa_exception_fp_ieee_inexact 0
		.amdhsa_exception_int_div_zero 0
	.end_amdhsa_kernel
	.section	.text._ZL25flash_attn_mask_to_KV_maxILi16EEvPK7__half2Piiii,"axG",@progbits,_ZL25flash_attn_mask_to_KV_maxILi16EEvPK7__half2Piiii,comdat
.Lfunc_end18:
	.size	_ZL25flash_attn_mask_to_KV_maxILi16EEvPK7__half2Piiii, .Lfunc_end18-_ZL25flash_attn_mask_to_KV_maxILi16EEvPK7__half2Piiii
                                        ; -- End function
	.section	.AMDGPU.csdata,"",@progbits
; Kernel info:
; codeLenInByte = 2020
; NumSgprs: 88
; NumVgprs: 12
; NumAgprs: 0
; TotalNumVgprs: 12
; ScratchSize: 0
; MemoryBound: 0
; FloatMode: 240
; IeeeMode: 1
; LDSByteSize: 128 bytes/workgroup (compile time only)
; SGPRBlocks: 10
; VGPRBlocks: 1
; NumSGPRsForWavesPerEU: 88
; NumVGPRsForWavesPerEU: 12
; AccumOffset: 12
; Occupancy: 8
; WaveLimiterHint : 0
; COMPUTE_PGM_RSRC2:SCRATCH_EN: 0
; COMPUTE_PGM_RSRC2:USER_SGPR: 2
; COMPUTE_PGM_RSRC2:TRAP_HANDLER: 0
; COMPUTE_PGM_RSRC2:TGID_X_EN: 1
; COMPUTE_PGM_RSRC2:TGID_Y_EN: 1
; COMPUTE_PGM_RSRC2:TGID_Z_EN: 0
; COMPUTE_PGM_RSRC2:TIDIG_COMP_CNT: 0
; COMPUTE_PGM_RSRC3_GFX90A:ACCUM_OFFSET: 2
; COMPUTE_PGM_RSRC3_GFX90A:TG_SPLIT: 0
	.section	.text._ZL33flash_attn_stream_k_fixup_uniformILi80ELi16ELi4EEvPfPK15HIP_vector_typeIfLj2EEiiiiiiS1_IjLj3EES5_S5_,"axG",@progbits,_ZL33flash_attn_stream_k_fixup_uniformILi80ELi16ELi4EEvPfPK15HIP_vector_typeIfLj2EEiiiiiiS1_IjLj3EES5_S5_,comdat
	.globl	_ZL33flash_attn_stream_k_fixup_uniformILi80ELi16ELi4EEvPfPK15HIP_vector_typeIfLj2EEiiiiiiS1_IjLj3EES5_S5_ ; -- Begin function _ZL33flash_attn_stream_k_fixup_uniformILi80ELi16ELi4EEvPfPK15HIP_vector_typeIfLj2EEiiiiiiS1_IjLj3EES5_S5_
	.p2align	8
	.type	_ZL33flash_attn_stream_k_fixup_uniformILi80ELi16ELi4EEvPfPK15HIP_vector_typeIfLj2EEiiiiiiS1_IjLj3EES5_S5_,@function
_ZL33flash_attn_stream_k_fixup_uniformILi80ELi16ELi4EEvPfPK15HIP_vector_typeIfLj2EEiiiiiiS1_IjLj3EES5_S5_: ; @_ZL33flash_attn_stream_k_fixup_uniformILi80ELi16ELi4EEvPfPK15HIP_vector_typeIfLj2EEiiiiiiS1_IjLj3EES5_S5_
; %bb.0:
	s_load_dwordx8 s[8:15], s[0:1], 0x1c
	s_load_dwordx2 s[6:7], s[0:1], 0x10
	s_load_dwordx4 s[16:19], s[0:1], 0x3c
	s_waitcnt lgkmcnt(0)
	s_mul_hi_u32 s5, s11, s2
	s_add_i32 s5, s2, s5
	s_lshr_b32 s5, s5, s12
	s_mul_i32 s11, s5, s13
	s_sub_i32 s12, s2, s11
	s_mul_hi_u32 s11, s12, s14
	s_add_i32 s11, s12, s11
	s_lshr_b32 s11, s11, s15
	s_mul_i32 s13, s11, s16
	s_sub_i32 s12, s12, s13
	;; [unrolled: 5-line block ×3, first 2 shown]
	s_lshl_b32 s12, s16, 4
	s_lshl_b32 s17, s13, 2
	s_add_i32 s12, s12, s3
	s_cmp_lt_i32 s12, s6
	s_cselect_b64 s[12:13], -1, 0
	s_add_i32 s17, s17, s4
	s_cmp_lt_i32 s17, s9
	s_cselect_b64 s[14:15], -1, 0
	s_and_b64 s[12:13], s[12:13], s[14:15]
	s_andn2_b64 vcc, exec, s[12:13]
	s_cbranch_vccnz .LBB19_6
; %bb.1:
	s_load_dwordx4 s[12:15], s[0:1], 0x0
	s_mul_i32 s0, s5, s6
	s_mul_i32 s11, s11, s9
	s_add_i32 s0, s0, s3
	s_mul_i32 s0, s0, s7
	s_add_i32 s5, s17, s11
	s_mul_i32 s1, s7, s16
	s_add_i32 s0, s5, s0
	s_mulk_i32 s1, 0x500
	s_mulk_i32 s0, 0x50
	s_add_i32 s0, s0, s1
	v_add_u32_e32 v4, s0, v0
	s_waitcnt lgkmcnt(0)
	v_mov_b32_e32 v2, s12
	v_mov_b32_e32 v3, s13
	v_ashrrev_i32_e32 v5, 31, v4
	v_lshl_add_u64 v[2:3], v[4:5], 2, v[2:3]
	global_load_dword v7, v[2:3], off
	s_mul_i32 s5, s2, s10
	s_lshl_b32 s11, s3, 2
	s_add_i32 s9, s5, s10
	s_add_i32 s0, s11, s4
	s_lshl_b32 s1, s9, 6
	s_add_i32 s0, s0, s1
	s_sub_i32 s0, s0, 64
	s_ashr_i32 s1, s0, 31
	s_lshl_b64 s[0:1], s[0:1], 3
	s_add_u32 s0, s14, s0
	s_addc_u32 s1, s15, s1
	s_load_dword s12, s[0:1], 0x4
	s_add_i32 s6, s9, -2
	s_cmp_lt_i32 s6, s5
	s_cbranch_scc1 .LBB19_4
; %bb.2:
	s_lshl_b32 s6, s8, 8
	s_ashr_i32 s7, s6, 31
	s_lshl_b64 s[6:7], s[6:7], 2
	s_add_u32 s6, s14, s6
	s_addc_u32 s7, s15, s7
	s_add_i32 s2, s2, 1
	s_load_dword s0, s[0:1], 0x0
	s_mul_i32 s1, s10, s2
	s_lshl_b32 s2, s1, 6
	s_add_i32 s2, s4, s2
	s_mulk_i32 s3, 0x140
	s_mulk_i32 s4, 0x50
	s_lshl_b32 s8, s8, 6
	s_mulk_i32 s1, 0x1400
	s_add_i32 s3, s4, s3
	s_add_i32 s2, s2, s8
	;; [unrolled: 1-line block ×4, first 2 shown]
	v_add_u32_e32 v0, s3, v0
	s_add_i32 s9, s9, -1
	s_addk_i32 s2, 0xff80
	v_add_u32_e32 v0, 0xffffd800, v0
	s_waitcnt lgkmcnt(0)
	v_mov_b32_e32 v6, s12
	v_mov_b32_e32 v5, s0
	s_mov_b32 s4, 0x3fb8aa3b
	s_mov_b32 s8, 0xc2ce8ed0
	;; [unrolled: 1-line block ×3, first 2 shown]
	v_mov_b32_e32 v4, 0x7f800000
	s_mov_b32 s11, 0xc1a00000
.LBB19_3:                               ; =>This Inner Loop Header: Depth=1
	v_ashrrev_i32_e32 v1, 31, v0
	v_lshl_add_u64 v[8:9], v[0:1], 2, s[6:7]
	global_load_dword v1, v[8:9], off
	s_ashr_i32 s3, s2, 31
	s_lshl_b64 s[0:1], s[2:3], 3
	s_add_u32 s0, s14, s0
	s_addc_u32 s1, s15, s1
	s_load_dwordx2 s[12:13], s[0:1], 0x0
	s_waitcnt vmcnt(1)
	v_mov_b32_e32 v8, v7
	v_max_f32_e32 v7, v5, v5
	v_mov_b32_e32 v9, v6
	s_add_i32 s9, s9, -1
	s_waitcnt lgkmcnt(0)
	v_max_f32_e64 v6, s12, s12
	v_max_f32_e32 v6, v7, v6
	v_sub_f32_e32 v10, s12, v6
	v_sub_f32_e32 v7, v5, v6
	v_mul_f32_e32 v11, 0x3fb8aa3b, v10
	v_mov_b32_e32 v5, v6
	v_mul_f32_e32 v6, 0x3fb8aa3b, v7
	v_fma_f32 v14, v10, s4, -v11
	v_rndne_f32_e32 v15, v11
	v_fma_f32 v12, v7, s4, -v6
	v_rndne_f32_e32 v13, v6
	v_fmac_f32_e32 v14, 0x32a5705f, v10
	v_sub_f32_e32 v11, v11, v15
	v_fmac_f32_e32 v12, 0x32a5705f, v7
	v_sub_f32_e32 v6, v6, v13
	v_add_f32_e32 v11, v11, v14
	v_cvt_i32_f32_e32 v15, v15
	v_add_f32_e32 v6, v6, v12
	v_exp_f32_e32 v11, v11
	v_cvt_i32_f32_e32 v13, v13
	v_exp_f32_e32 v6, v6
	v_cmp_ngt_f32_e32 vcc, s8, v10
	v_ldexp_f32 v11, v11, v15
	v_cmp_ngt_f32_e64 s[0:1], s8, v7
	v_ldexp_f32 v6, v6, v13
	v_cndmask_b32_e32 v11, 0, v11, vcc
	v_cmp_nlt_f32_e32 vcc, s10, v10
	v_cndmask_b32_e64 v6, 0, v6, s[0:1]
	v_cmp_nlt_f32_e64 s[0:1], s10, v7
	v_cndmask_b32_e32 v11, v4, v11, vcc
	v_cmp_le_f32_e32 vcc, s11, v10
	v_cndmask_b32_e64 v6, v4, v6, s[0:1]
	v_cmp_le_f32_e64 s[0:1], s11, v7
	v_cndmask_b32_e32 v7, 0, v11, vcc
	s_sub_i32 s2, s2, 64
	v_cndmask_b32_e64 v10, 0, v6, s[0:1]
	v_mul_f32_e32 v6, s13, v7
	v_add_u32_e32 v0, 0xffffec00, v0
	s_cmp_le_i32 s9, s5
	v_fmac_f32_e32 v6, v9, v10
	s_waitcnt vmcnt(0)
	v_mul_f32_e32 v7, v1, v7
	v_fmac_f32_e32 v7, v8, v10
	s_cbranch_scc0 .LBB19_3
	s_branch .LBB19_5
.LBB19_4:
	s_waitcnt lgkmcnt(0)
	v_mov_b32_e32 v6, s12
.LBB19_5:
	s_waitcnt vmcnt(0)
	v_div_scale_f32 v0, s[0:1], v6, v6, v7
	v_rcp_f32_e32 v1, v0
	v_div_scale_f32 v4, vcc, v7, v6, v7
	v_fma_f32 v5, -v0, v1, 1.0
	v_fmac_f32_e32 v1, v5, v1
	v_mul_f32_e32 v5, v4, v1
	v_fma_f32 v8, -v0, v5, v4
	v_fmac_f32_e32 v5, v8, v1
	v_fma_f32 v0, -v0, v5, v4
	v_div_fmas_f32 v0, v0, v1, v5
	v_div_fixup_f32 v0, v0, v6, v7
	global_store_dword v[2:3], v0, off
.LBB19_6:
	s_endpgm
	.section	.rodata,"a",@progbits
	.p2align	6, 0x0
	.amdhsa_kernel _ZL33flash_attn_stream_k_fixup_uniformILi80ELi16ELi4EEvPfPK15HIP_vector_typeIfLj2EEiiiiiiS1_IjLj3EES5_S5_
		.amdhsa_group_segment_fixed_size 0
		.amdhsa_private_segment_fixed_size 0
		.amdhsa_kernarg_size 76
		.amdhsa_user_sgpr_count 2
		.amdhsa_user_sgpr_dispatch_ptr 0
		.amdhsa_user_sgpr_queue_ptr 0
		.amdhsa_user_sgpr_kernarg_segment_ptr 1
		.amdhsa_user_sgpr_dispatch_id 0
		.amdhsa_user_sgpr_kernarg_preload_length 0
		.amdhsa_user_sgpr_kernarg_preload_offset 0
		.amdhsa_user_sgpr_private_segment_size 0
		.amdhsa_uses_dynamic_stack 0
		.amdhsa_enable_private_segment 0
		.amdhsa_system_sgpr_workgroup_id_x 1
		.amdhsa_system_sgpr_workgroup_id_y 1
		.amdhsa_system_sgpr_workgroup_id_z 1
		.amdhsa_system_sgpr_workgroup_info 0
		.amdhsa_system_vgpr_workitem_id 0
		.amdhsa_next_free_vgpr 16
		.amdhsa_next_free_sgpr 20
		.amdhsa_accum_offset 16
		.amdhsa_reserve_vcc 1
		.amdhsa_float_round_mode_32 0
		.amdhsa_float_round_mode_16_64 0
		.amdhsa_float_denorm_mode_32 3
		.amdhsa_float_denorm_mode_16_64 3
		.amdhsa_dx10_clamp 1
		.amdhsa_ieee_mode 1
		.amdhsa_fp16_overflow 0
		.amdhsa_tg_split 0
		.amdhsa_exception_fp_ieee_invalid_op 0
		.amdhsa_exception_fp_denorm_src 0
		.amdhsa_exception_fp_ieee_div_zero 0
		.amdhsa_exception_fp_ieee_overflow 0
		.amdhsa_exception_fp_ieee_underflow 0
		.amdhsa_exception_fp_ieee_inexact 0
		.amdhsa_exception_int_div_zero 0
	.end_amdhsa_kernel
	.section	.text._ZL33flash_attn_stream_k_fixup_uniformILi80ELi16ELi4EEvPfPK15HIP_vector_typeIfLj2EEiiiiiiS1_IjLj3EES5_S5_,"axG",@progbits,_ZL33flash_attn_stream_k_fixup_uniformILi80ELi16ELi4EEvPfPK15HIP_vector_typeIfLj2EEiiiiiiS1_IjLj3EES5_S5_,comdat
.Lfunc_end19:
	.size	_ZL33flash_attn_stream_k_fixup_uniformILi80ELi16ELi4EEvPfPK15HIP_vector_typeIfLj2EEiiiiiiS1_IjLj3EES5_S5_, .Lfunc_end19-_ZL33flash_attn_stream_k_fixup_uniformILi80ELi16ELi4EEvPfPK15HIP_vector_typeIfLj2EEiiiiiiS1_IjLj3EES5_S5_
                                        ; -- End function
	.section	.AMDGPU.csdata,"",@progbits
; Kernel info:
; codeLenInByte = 836
; NumSgprs: 26
; NumVgprs: 16
; NumAgprs: 0
; TotalNumVgprs: 16
; ScratchSize: 0
; MemoryBound: 0
; FloatMode: 240
; IeeeMode: 1
; LDSByteSize: 0 bytes/workgroup (compile time only)
; SGPRBlocks: 3
; VGPRBlocks: 1
; NumSGPRsForWavesPerEU: 26
; NumVGPRsForWavesPerEU: 16
; AccumOffset: 16
; Occupancy: 8
; WaveLimiterHint : 0
; COMPUTE_PGM_RSRC2:SCRATCH_EN: 0
; COMPUTE_PGM_RSRC2:USER_SGPR: 2
; COMPUTE_PGM_RSRC2:TRAP_HANDLER: 0
; COMPUTE_PGM_RSRC2:TGID_X_EN: 1
; COMPUTE_PGM_RSRC2:TGID_Y_EN: 1
; COMPUTE_PGM_RSRC2:TGID_Z_EN: 1
; COMPUTE_PGM_RSRC2:TIDIG_COMP_CNT: 0
; COMPUTE_PGM_RSRC3_GFX90A:ACCUM_OFFSET: 3
; COMPUTE_PGM_RSRC3_GFX90A:TG_SPLIT: 0
	.section	.text._ZL33flash_attn_stream_k_fixup_generalILi80ELi16ELi4EEvPfPK15HIP_vector_typeIfLj2EEiiiiS1_IjLj3EES5_S5_S5_,"axG",@progbits,_ZL33flash_attn_stream_k_fixup_generalILi80ELi16ELi4EEvPfPK15HIP_vector_typeIfLj2EEiiiiS1_IjLj3EES5_S5_S5_,comdat
	.globl	_ZL33flash_attn_stream_k_fixup_generalILi80ELi16ELi4EEvPfPK15HIP_vector_typeIfLj2EEiiiiS1_IjLj3EES5_S5_S5_ ; -- Begin function _ZL33flash_attn_stream_k_fixup_generalILi80ELi16ELi4EEvPfPK15HIP_vector_typeIfLj2EEiiiiS1_IjLj3EES5_S5_S5_
	.p2align	8
	.type	_ZL33flash_attn_stream_k_fixup_generalILi80ELi16ELi4EEvPfPK15HIP_vector_typeIfLj2EEiiiiS1_IjLj3EES5_S5_S5_,@function
_ZL33flash_attn_stream_k_fixup_generalILi80ELi16ELi4EEvPfPK15HIP_vector_typeIfLj2EEiiiiS1_IjLj3EES5_S5_S5_: ; @_ZL33flash_attn_stream_k_fixup_generalILi80ELi16ELi4EEvPfPK15HIP_vector_typeIfLj2EEiiiiS1_IjLj3EES5_S5_S5_
; %bb.0:
	s_load_dwordx4 s[12:15], s[0:1], 0x10
	s_load_dword s22, s[0:1], 0x50
	s_mov_b32 s8, 0
	s_waitcnt lgkmcnt(0)
	s_mul_hi_i32 s9, s15, s2
	s_cmp_lg_u64 s[8:9], 0
	s_mul_i32 s5, s15, s2
	s_cbranch_scc0 .LBB20_21
; %bb.1:
	v_cvt_f32_u32_e32 v1, s22
	v_cvt_f32_ubyte0_e32 v2, 0
	s_sub_u32 s8, 0, s22
	s_subb_u32 s10, 0, 0
	v_fmamk_f32 v1, v2, 0x4f800000, v1
	v_rcp_f32_e32 v1, v1
	s_nop 0
	v_mul_f32_e32 v1, 0x5f7ffffc, v1
	v_mul_f32_e32 v2, 0x2f800000, v1
	v_trunc_f32_e32 v2, v2
	v_fmamk_f32 v1, v2, 0xcf800000, v1
	v_cvt_u32_f32_e32 v2, v2
	v_cvt_u32_f32_e32 v1, v1
	v_readfirstlane_b32 s11, v2
	v_readfirstlane_b32 s16, v1
	s_mul_i32 s17, s8, s11
	s_mul_hi_u32 s19, s8, s16
	s_mul_i32 s18, s10, s16
	s_add_i32 s17, s19, s17
	s_add_i32 s17, s17, s18
	s_mul_i32 s20, s8, s16
	s_mul_hi_u32 s18, s16, s17
	s_mul_i32 s19, s16, s17
	s_mul_hi_u32 s16, s16, s20
	s_add_u32 s16, s16, s19
	s_addc_u32 s18, 0, s18
	s_mul_hi_u32 s21, s11, s20
	s_mul_i32 s20, s11, s20
	s_add_u32 s16, s16, s20
	s_mul_hi_u32 s19, s11, s17
	s_addc_u32 s16, s18, s21
	s_addc_u32 s18, s19, 0
	s_mul_i32 s17, s11, s17
	s_add_u32 s16, s16, s17
	s_addc_u32 s17, 0, s18
	v_add_co_u32_e32 v1, vcc, s16, v1
	s_cmp_lg_u64 vcc, 0
	s_addc_u32 s11, s11, s17
	v_readfirstlane_b32 s17, v1
	s_mul_i32 s16, s8, s11
	s_mul_hi_u32 s18, s8, s17
	s_add_i32 s16, s18, s16
	s_mul_i32 s10, s10, s17
	s_add_i32 s16, s16, s10
	s_mul_i32 s8, s8, s17
	s_mul_hi_u32 s18, s11, s8
	s_mul_i32 s19, s11, s8
	s_mul_i32 s21, s17, s16
	s_mul_hi_u32 s8, s17, s8
	s_mul_hi_u32 s20, s17, s16
	s_add_u32 s8, s8, s21
	s_addc_u32 s17, 0, s20
	s_add_u32 s8, s8, s19
	s_mul_hi_u32 s10, s11, s16
	s_addc_u32 s8, s17, s18
	s_addc_u32 s10, s10, 0
	s_mul_i32 s16, s11, s16
	s_add_u32 s8, s8, s16
	s_addc_u32 s10, 0, s10
	v_add_co_u32_e32 v1, vcc, s8, v1
	s_cmp_lg_u64 vcc, 0
	s_addc_u32 s16, s11, s10
	s_ashr_i32 s10, s9, 31
	s_add_u32 s8, s5, s10
	s_mov_b32 s11, s10
	s_addc_u32 s9, s9, s10
	s_xor_b64 s[8:9], s[8:9], s[10:11]
	v_readfirstlane_b32 s19, v1
	s_mul_i32 s18, s8, s16
	s_mul_hi_u32 s20, s8, s19
	s_mul_hi_u32 s17, s8, s16
	s_add_u32 s18, s20, s18
	s_addc_u32 s17, 0, s17
	s_mul_hi_u32 s21, s9, s19
	s_mul_i32 s19, s9, s19
	s_add_u32 s18, s18, s19
	s_mul_hi_u32 s20, s9, s16
	s_addc_u32 s17, s17, s21
	s_addc_u32 s18, s20, 0
	s_mul_i32 s16, s9, s16
	s_add_u32 s16, s17, s16
	s_addc_u32 s17, 0, s18
	s_add_u32 s18, s16, 1
	s_addc_u32 s19, s17, 0
	s_add_u32 s20, s16, 2
	s_mul_i32 s23, s22, s17
	s_mul_hi_u32 s24, s22, s16
	s_addc_u32 s21, s17, 0
	s_add_i32 s24, s24, s23
	s_mul_i32 s23, s22, s16
	v_mov_b32_e32 v1, s23
	v_sub_co_u32_e32 v1, vcc, s8, v1
	s_cmp_lg_u64 vcc, 0
	s_subb_u32 s8, s9, s24
	v_subrev_co_u32_e32 v2, vcc, s22, v1
	s_cmp_lg_u64 vcc, 0
	s_subb_u32 s9, s8, 0
	v_readfirstlane_b32 s23, v2
	s_cmp_ge_u32 s23, s22
	s_cselect_b32 s23, -1, 0
	s_cmp_eq_u32 s9, 0
	s_cselect_b32 s9, s23, -1
	s_cmp_lg_u32 s9, 0
	s_cselect_b32 s9, s21, s19
	v_readfirstlane_b32 s19, v1
	s_cselect_b32 s18, s20, s18
	s_cmp_ge_u32 s19, s22
	s_cselect_b32 s19, -1, 0
	s_cmp_eq_u32 s8, 0
	s_cselect_b32 s8, s19, -1
	s_cmp_lg_u32 s8, 0
	s_cselect_b32 s9, s9, s17
	s_cselect_b32 s8, s18, s16
	s_xor_b64 s[8:9], s[8:9], s[10:11]
	s_sub_u32 s20, s8, s10
	s_load_dwordx4 s[16:19], s[0:1], 0x44
	s_cbranch_execnz .LBB20_3
.LBB20_2:
	v_cvt_f32_u32_e32 v1, s22
	s_sub_i32 s6, 0, s22
	v_rcp_iflag_f32_e32 v1, v1
	s_nop 0
	v_mul_f32_e32 v1, 0x4f7ffffe, v1
	v_cvt_u32_f32_e32 v1, v1
	s_nop 0
	v_readfirstlane_b32 s7, v1
	s_mul_i32 s6, s6, s7
	s_mul_hi_u32 s6, s7, s6
	s_add_i32 s7, s7, s6
	s_mul_hi_u32 s6, s5, s7
	s_mul_i32 s8, s6, s22
	s_sub_i32 s5, s5, s8
	s_add_i32 s7, s6, 1
	s_sub_i32 s8, s5, s22
	s_cmp_ge_u32 s5, s22
	s_cselect_b32 s6, s7, s6
	s_cselect_b32 s5, s8, s5
	s_add_i32 s7, s6, 1
	s_cmp_ge_u32 s5, s22
	s_cselect_b32 s20, s7, s6
.LBB20_3:
	s_add_i32 s5, s2, 1
	s_mul_hi_i32 s9, s15, s5
	s_mov_b32 s8, 0
	s_cmp_lg_u64 s[8:9], 0
	s_mul_i32 s5, s15, s5
	s_cbranch_scc0 .LBB20_22
; %bb.4:
	v_cvt_f32_u32_e32 v1, s22
	v_cvt_f32_ubyte0_e32 v2, 0
	s_sub_u32 s8, 0, s22
	s_subb_u32 s10, 0, 0
	v_fmamk_f32 v1, v2, 0x4f800000, v1
	v_rcp_f32_e32 v1, v1
	s_nop 0
	v_mul_f32_e32 v1, 0x5f7ffffc, v1
	v_mul_f32_e32 v2, 0x2f800000, v1
	v_trunc_f32_e32 v2, v2
	v_fmamk_f32 v1, v2, 0xcf800000, v1
	v_cvt_u32_f32_e32 v2, v2
	v_cvt_u32_f32_e32 v1, v1
	v_readfirstlane_b32 s11, v2
	s_waitcnt lgkmcnt(0)
	v_readfirstlane_b32 s19, v1
	s_mul_i32 s21, s8, s11
	s_mul_hi_u32 s24, s8, s19
	s_mul_i32 s23, s10, s19
	s_add_i32 s21, s24, s21
	s_add_i32 s21, s21, s23
	s_mul_i32 s25, s8, s19
	s_mul_hi_u32 s23, s19, s21
	s_mul_i32 s24, s19, s21
	s_mul_hi_u32 s19, s19, s25
	s_add_u32 s19, s19, s24
	s_addc_u32 s23, 0, s23
	s_mul_hi_u32 s26, s11, s25
	s_mul_i32 s25, s11, s25
	s_add_u32 s19, s19, s25
	s_mul_hi_u32 s24, s11, s21
	s_addc_u32 s19, s23, s26
	s_addc_u32 s23, s24, 0
	s_mul_i32 s21, s11, s21
	s_add_u32 s19, s19, s21
	s_addc_u32 s21, 0, s23
	v_add_co_u32_e32 v1, vcc, s19, v1
	s_cmp_lg_u64 vcc, 0
	s_addc_u32 s11, s11, s21
	v_readfirstlane_b32 s21, v1
	s_mul_i32 s19, s8, s11
	s_mul_hi_u32 s23, s8, s21
	s_add_i32 s19, s23, s19
	s_mul_i32 s10, s10, s21
	s_add_i32 s19, s19, s10
	s_mul_i32 s8, s8, s21
	s_mul_hi_u32 s23, s11, s8
	s_mul_i32 s24, s11, s8
	s_mul_i32 s26, s21, s19
	s_mul_hi_u32 s8, s21, s8
	s_mul_hi_u32 s25, s21, s19
	s_add_u32 s8, s8, s26
	s_addc_u32 s21, 0, s25
	s_add_u32 s8, s8, s24
	s_mul_hi_u32 s10, s11, s19
	s_addc_u32 s8, s21, s23
	s_addc_u32 s10, s10, 0
	s_mul_i32 s19, s11, s19
	s_add_u32 s8, s8, s19
	s_addc_u32 s10, 0, s10
	v_add_co_u32_e32 v1, vcc, s8, v1
	s_cmp_lg_u64 vcc, 0
	s_addc_u32 s19, s11, s10
	s_ashr_i32 s10, s9, 31
	s_add_u32 s8, s5, s10
	s_mov_b32 s11, s10
	s_addc_u32 s9, s9, s10
	s_xor_b64 s[8:9], s[8:9], s[10:11]
	v_readfirstlane_b32 s23, v1
	s_mul_i32 s21, s8, s19
	s_mul_hi_u32 s24, s8, s23
	s_mul_hi_u32 s11, s8, s19
	s_add_u32 s21, s24, s21
	s_addc_u32 s11, 0, s11
	s_mul_hi_u32 s25, s9, s23
	s_mul_i32 s23, s9, s23
	s_add_u32 s21, s21, s23
	s_mul_hi_u32 s24, s9, s19
	s_addc_u32 s11, s11, s25
	s_addc_u32 s21, s24, 0
	s_mul_i32 s19, s9, s19
	s_add_u32 s11, s11, s19
	s_addc_u32 s19, 0, s21
	s_mul_i32 s19, s22, s19
	s_mul_hi_u32 s24, s22, s11
	s_add_i32 s24, s24, s19
	s_mul_i32 s19, s22, s11
	v_mov_b32_e32 v1, s19
	s_add_u32 s21, s11, 1
	s_add_u32 s23, s11, 2
	v_sub_co_u32_e32 v1, vcc, s8, v1
	s_cmp_lg_u64 vcc, 0
	s_subb_u32 s8, s9, s24
	v_subrev_co_u32_e32 v2, vcc, s22, v1
	s_cmp_lg_u64 vcc, 0
	s_subb_u32 s9, s8, 0
	v_cmp_le_u32_e32 vcc, s22, v2
	s_cmp_eq_u32 s9, 0
	v_mov_b32_e32 v3, s21
	v_cndmask_b32_e64 v2, 0, -1, vcc
	s_cselect_b64 vcc, -1, 0
	v_cndmask_b32_e32 v2, -1, v2, vcc
	v_mov_b32_e32 v4, s23
	v_cmp_ne_u32_e32 vcc, 0, v2
	s_cmp_eq_u32 s8, 0
	s_nop 0
	v_cndmask_b32_e32 v2, v3, v4, vcc
	v_cmp_le_u32_e32 vcc, s22, v1
	v_mov_b32_e32 v3, s11
	s_nop 0
	v_cndmask_b32_e64 v1, 0, -1, vcc
	s_cselect_b64 vcc, -1, 0
	v_cndmask_b32_e32 v1, -1, v1, vcc
	v_cmp_ne_u32_e32 vcc, 0, v1
	s_nop 1
	v_cndmask_b32_e32 v1, v3, v2, vcc
	v_xor_b32_e32 v1, s10, v1
	v_subrev_co_u32_e32 v2, vcc, s10, v1
	s_cbranch_execnz .LBB20_6
.LBB20_5:
	v_cvt_f32_u32_e32 v1, s22
	s_sub_i32 s6, 0, s22
	s_mov_b32 s7, 0
	v_rcp_iflag_f32_e32 v1, v1
	s_nop 0
	v_mul_f32_e32 v1, 0x4f7ffffe, v1
	v_cvt_u32_f32_e32 v1, v1
	s_nop 0
	v_readfirstlane_b32 s8, v1
	s_mul_i32 s6, s6, s8
	s_mul_hi_u32 s6, s8, s6
	s_add_i32 s8, s8, s6
	s_mul_hi_u32 s6, s5, s8
	s_mul_i32 s9, s6, s22
	s_sub_i32 s5, s5, s9
	s_add_i32 s8, s6, 1
	s_sub_i32 s9, s5, s22
	s_cmp_ge_u32 s5, s22
	s_cselect_b32 s6, s8, s6
	s_cselect_b32 s5, s9, s5
	s_add_i32 s8, s6, 1
	s_cmp_ge_u32 s5, s22
	s_cselect_b32 s6, s8, s6
	v_mov_b64_e32 v[2:3], s[6:7]
.LBB20_6:
	s_waitcnt lgkmcnt(0)
	s_mul_hi_u32 s5, s20, s16
	s_add_i32 s5, s5, s20
	v_mul_hi_u32 v1, v2, s16
	s_lshr_b32 s19, s5, s17
	v_add_u32_e32 v1, v1, v2
	s_mul_i32 s5, s19, s18
	v_lshrrev_b32_e32 v1, s17, v1
	s_cmp_eq_u32 s5, s20
	v_cmp_eq_u32_e64 s[6:7], s19, v1
	v_mul_lo_u32 v1, v1, s18
	v_cmp_eq_u32_e32 vcc, s20, v2
	s_cselect_b64 s[10:11], -1, 0
	v_cmp_ne_u32_e64 s[8:9], v1, v2
	s_and_b64 s[6:7], s[6:7], s[8:9]
	s_or_b64 s[8:9], vcc, s[10:11]
	s_or_b64 s[6:7], s[8:9], s[6:7]
	s_and_b64 vcc, exec, s[6:7]
	s_cbranch_vccnz .LBB20_24
; %bb.7:
	s_load_dwordx8 s[24:31], s[0:1], 0x20
	s_load_dword s5, s[0:1], 0x40
	s_waitcnt lgkmcnt(0)
	s_mul_hi_u32 s6, s20, s24
	s_add_i32 s6, s6, s20
	s_lshr_b32 s7, s6, s25
	s_mul_i32 s6, s7, s26
	s_sub_i32 s6, s20, s6
	s_mul_hi_u32 s8, s6, s27
	s_add_i32 s8, s6, s8
	s_lshr_b32 s23, s8, s28
	s_mul_i32 s8, s23, s29
	s_sub_i32 s6, s6, s8
	;; [unrolled: 5-line block ×3, first 2 shown]
	s_mul_hi_u32 s6, s5, s16
	s_add_i32 s5, s5, s6
	s_lshr_b32 s24, s5, s17
	s_lshl_b32 s5, s24, 4
	s_lshl_b32 s25, s8, 2
	s_add_i32 s5, s5, s3
	s_cmp_lt_i32 s5, s12
	s_cselect_b64 s[8:9], -1, 0
	s_add_i32 s25, s25, s4
	s_cmp_lt_i32 s25, s14
	s_cselect_b64 s[10:11], -1, 0
	s_and_b64 s[8:9], s[8:9], s[10:11]
	s_andn2_b64 vcc, exec, s[8:9]
	s_mov_b32 s6, 0
	s_cbranch_vccnz .LBB20_24
; %bb.8:
	s_load_dwordx4 s[8:11], s[0:1], 0x0
	s_lshl_b32 s21, s3, 2
	s_lshl_b32 s0, s22, 8
	s_mov_b32 s1, s6
	s_add_i32 s21, s21, s4
	s_lshl_b64 s[0:1], s[0:1], 2
	s_waitcnt lgkmcnt(0)
	s_add_u32 s4, s10, s0
	s_mul_i32 s0, s7, s12
	s_addc_u32 s5, s11, s1
	s_mul_i32 s23, s23, s14
	s_add_i32 s0, s0, s3
	s_mul_i32 s0, s0, s13
	s_add_i32 s3, s25, s23
	s_mul_i32 s1, s13, s24
	s_add_i32 s0, s3, s0
	s_mulk_i32 s1, 0x500
	s_mulk_i32 s0, 0x50
	s_add_i32 s1, s1, s0
	v_add_u32_e32 v4, s1, v0
	v_mov_b32_e32 v2, s8
	v_mov_b32_e32 v3, s9
	v_ashrrev_i32_e32 v5, 31, v4
	v_lshl_add_u64 v[2:3], v[4:5], 2, v[2:3]
	global_load_dword v5, v[2:3], off
	s_lshl_b32 s0, s2, 6
	s_add_i32 s0, s21, s0
	s_ashr_i32 s1, s0, 31
	s_lshl_b64 s[0:1], s[0:1], 3
	s_add_u32 s0, s10, s0
	s_addc_u32 s1, s11, s1
	s_add_i32 s12, s2, -1
	s_mul_i32 s2, s21, 0x50
	v_add_u32_e32 v4, s2, v0
	v_cvt_f32_u32_e32 v0, s22
	v_cvt_f32_ubyte0_e32 v1, 0
	s_load_dwordx2 s[0:1], s[0:1], 0x0
	v_mov_b32_e32 v8, s20
	v_fmac_f32_e32 v0, 0x4f800000, v1
	v_rcp_f32_e32 v0, v0
	v_cvt_f32_u32_e32 v1, s22
	s_waitcnt lgkmcnt(0)
	v_mov_b32_e32 v6, s1
	v_mov_b32_e32 v7, s0
	v_mul_f32_e32 v0, 0x5f7ffffc, v0
	v_rcp_iflag_f32_e32 v1, v1
	v_mul_f32_e32 v9, 0x2f800000, v0
	v_trunc_f32_e32 v10, v9
	v_fmac_f32_e32 v0, 0xcf800000, v10
	v_cvt_u32_f32_e32 v9, v0
	v_mul_f32_e32 v0, 0x4f7ffffe, v1
	v_cvt_u32_f32_e32 v10, v10
	v_cvt_u32_f32_e32 v11, v0
	s_mov_b32 s8, 0x3fb8aa3b
	s_mov_b32 s9, 0xc2ce8ed0
	s_mov_b32 s13, 0x42b17218
	s_mov_b32 s14, 0xc1a00000
	v_mov_b32_e32 v12, 0x7f800000
	s_mul_hi_i32 s7, s12, s15
	s_cmp_lg_u64 s[6:7], 0
	s_mul_i32 s2, s12, s15
	s_cbranch_scc0 .LBB20_15
.LBB20_9:
	s_sub_u32 s0, 0, s22
	v_readfirstlane_b32 s3, v9
	v_readfirstlane_b32 s24, v10
	s_subb_u32 s1, 0, 0
	s_mul_hi_u32 s23, s0, s3
	s_mul_i32 s25, s0, s24
	s_mul_i32 s20, s1, s3
	s_add_i32 s23, s23, s25
	s_add_i32 s23, s23, s20
	s_mul_i32 s26, s0, s3
	s_mul_hi_u32 s20, s3, s23
	s_mul_i32 s25, s3, s23
	s_mul_hi_u32 s3, s3, s26
	s_add_u32 s3, s3, s25
	s_addc_u32 s20, 0, s20
	s_mul_hi_u32 s27, s24, s26
	s_mul_i32 s26, s24, s26
	s_add_u32 s3, s3, s26
	s_mul_hi_u32 s25, s24, s23
	s_addc_u32 s3, s20, s27
	s_addc_u32 s20, s25, 0
	s_mul_i32 s23, s24, s23
	s_add_u32 s3, s3, s23
	s_addc_u32 s20, 0, s20
	v_add_co_u32_e32 v0, vcc, s3, v9
	s_cmp_lg_u64 vcc, 0
	s_addc_u32 s3, s24, s20
	v_readfirstlane_b32 s23, v0
	s_mul_i32 s20, s0, s3
	s_mul_hi_u32 s24, s0, s23
	s_add_i32 s20, s24, s20
	s_mul_i32 s1, s1, s23
	s_add_i32 s20, s20, s1
	s_mul_i32 s0, s0, s23
	s_mul_hi_u32 s24, s3, s0
	s_mul_i32 s25, s3, s0
	s_mul_i32 s27, s23, s20
	s_mul_hi_u32 s0, s23, s0
	s_mul_hi_u32 s26, s23, s20
	s_add_u32 s0, s0, s27
	s_addc_u32 s23, 0, s26
	s_add_u32 s0, s0, s25
	s_mul_hi_u32 s1, s3, s20
	s_addc_u32 s0, s23, s24
	s_addc_u32 s1, s1, 0
	s_mul_i32 s20, s3, s20
	s_add_u32 s0, s0, s20
	s_addc_u32 s1, 0, s1
	v_add_co_u32_e32 v0, vcc, s0, v0
	s_cmp_lg_u64 vcc, 0
	s_addc_u32 s3, s3, s1
	s_ashr_i32 s0, s7, 31
	s_add_u32 s24, s2, s0
	s_mov_b32 s1, s0
	s_addc_u32 s25, s7, s0
	s_xor_b64 s[24:25], s[24:25], s[0:1]
	v_readfirstlane_b32 s20, v0
	s_mul_i32 s7, s24, s3
	s_mul_hi_u32 s23, s24, s20
	s_mul_hi_u32 s1, s24, s3
	s_add_u32 s7, s23, s7
	s_addc_u32 s1, 0, s1
	s_mul_hi_u32 s26, s25, s20
	s_mul_i32 s20, s25, s20
	s_add_u32 s7, s7, s20
	s_mul_hi_u32 s23, s25, s3
	s_addc_u32 s1, s1, s26
	s_addc_u32 s7, s23, 0
	s_mul_i32 s3, s25, s3
	s_add_u32 s1, s1, s3
	s_addc_u32 s3, 0, s7
	s_mul_i32 s3, s22, s3
	s_mul_hi_u32 s23, s22, s1
	s_add_i32 s23, s23, s3
	s_mul_i32 s3, s22, s1
	v_mov_b32_e32 v0, s3
	s_add_u32 s7, s1, 1
	s_add_u32 s20, s1, 2
	v_sub_co_u32_e32 v0, vcc, s24, v0
	s_cmp_lg_u64 vcc, 0
	s_subb_u32 s3, s25, s23
	v_subrev_co_u32_e32 v1, vcc, s22, v0
	s_cmp_lg_u64 vcc, 0
	s_subb_u32 s23, s3, 0
	v_cmp_le_u32_e32 vcc, s22, v1
	s_cmp_eq_u32 s23, 0
	v_mov_b32_e32 v13, s7
	v_cndmask_b32_e64 v1, 0, -1, vcc
	s_cselect_b64 vcc, -1, 0
	v_cndmask_b32_e32 v1, -1, v1, vcc
	v_mov_b32_e32 v14, s20
	v_cmp_ne_u32_e32 vcc, 0, v1
	s_cmp_eq_u32 s3, 0
	s_nop 0
	v_cndmask_b32_e32 v1, v13, v14, vcc
	v_cmp_le_u32_e32 vcc, s22, v0
	v_mov_b32_e32 v13, s1
	s_nop 0
	v_cndmask_b32_e64 v0, 0, -1, vcc
	s_cselect_b64 vcc, -1, 0
	v_cndmask_b32_e32 v0, -1, v0, vcc
	v_cmp_ne_u32_e32 vcc, 0, v0
	s_nop 1
	v_cndmask_b32_e32 v0, v13, v1, vcc
	v_xor_b32_e32 v0, s0, v0
	v_subrev_co_u32_e32 v0, vcc, s0, v0
	s_cbranch_execnz .LBB20_11
.LBB20_10:
	s_sub_i32 s0, 0, s22
	v_mul_lo_u32 v0, s0, v11
	v_mul_hi_u32 v0, v11, v0
	v_add_u32_e32 v0, v11, v0
	v_mul_hi_u32 v0, s2, v0
	v_mul_lo_u32 v13, v0, s22
	v_sub_u32_e32 v13, s2, v13
	v_add_u32_e32 v1, 1, v0
	v_subrev_u32_e32 v14, s22, v13
	v_cmp_le_u32_e32 vcc, s22, v13
	s_nop 1
	v_cndmask_b32_e32 v13, v13, v14, vcc
	v_cndmask_b32_e32 v0, v0, v1, vcc
	v_add_u32_e32 v1, 1, v0
	v_cmp_le_u32_e32 vcc, s22, v13
	s_nop 1
	v_cndmask_b32_e32 v0, v0, v1, vcc
.LBB20_11:
	v_cmp_ne_u32_e32 vcc, v8, v0
	s_cbranch_vccz .LBB20_14
; %bb.12:
	s_add_i32 s0, s12, s22
	s_lshl_b32 s0, s0, 6
	v_mul_hi_u32 v1, v0, s16
	s_add_i32 s0, s0, s21
	s_mov_b32 s1, s6
	v_add_u32_e32 v1, v1, v0
	s_lshl_b64 s[0:1], s[0:1], 3
	v_lshrrev_b32_e32 v1, s17, v1
	s_add_u32 s2, s10, s0
	v_mul_lo_u32 v13, v1, s18
	s_addc_u32 s3, s11, s1
	v_cmp_eq_u32_e32 vcc, v13, v0
	v_cmp_gt_u32_e64 s[0:1], s19, v1
	s_or_b64 s[0:1], s[0:1], vcc
	s_and_b64 vcc, exec, s[0:1]
	s_cbranch_vccnz .LBB20_16
; %bb.13:
	s_add_i32 s7, s12, -1
	s_mov_b64 s[0:1], 0
	s_branch .LBB20_17
.LBB20_14:
                                        ; implicit-def: $sgpr0_sgpr1
                                        ; implicit-def: $vgpr14
                                        ; implicit-def: $vgpr1
                                        ; implicit-def: $vgpr13
                                        ; implicit-def: $sgpr7
                                        ; implicit-def: $vgpr0
	s_branch .LBB20_18
.LBB20_15:
                                        ; implicit-def: $vgpr0_vgpr1
	s_branch .LBB20_10
.LBB20_16:
	s_mov_b64 s[0:1], -1
	s_mov_b32 s7, s12
	v_mov_b32_e32 v0, v8
.LBB20_17:
	s_mul_i32 s20, s12, 0x1400
	v_add_u32_e32 v14, s20, v4
	v_ashrrev_i32_e32 v15, 31, v14
	v_lshl_add_u64 v[14:15], v[14:15], 2, s[4:5]
	global_load_dword v14, v[14:15], off
	s_load_dwordx2 s[2:3], s[2:3], 0x0
	v_max_f32_e32 v1, v7, v7
	s_waitcnt lgkmcnt(0)
	v_max_f32_e64 v13, s2, s2
	v_max_f32_e32 v1, v1, v13
	v_sub_f32_e32 v13, v7, v1
	v_sub_f32_e32 v15, s2, v1
	v_mul_f32_e32 v16, 0x3fb8aa3b, v13
	v_mul_f32_e32 v17, 0x3fb8aa3b, v15
	v_fma_f32 v18, v13, s8, -v16
	v_rndne_f32_e32 v19, v16
	v_fma_f32 v20, v15, s8, -v17
	v_rndne_f32_e32 v21, v17
	v_fmac_f32_e32 v18, 0x32a5705f, v13
	v_sub_f32_e32 v16, v16, v19
	v_fmac_f32_e32 v20, 0x32a5705f, v15
	v_sub_f32_e32 v17, v17, v21
	v_add_f32_e32 v16, v16, v18
	v_cvt_i32_f32_e32 v19, v19
	v_add_f32_e32 v17, v17, v20
	v_exp_f32_e32 v16, v16
	v_cvt_i32_f32_e32 v21, v21
	v_exp_f32_e32 v17, v17
	v_cmp_ngt_f32_e32 vcc, s9, v13
	v_ldexp_f32 v16, v16, v19
	v_ldexp_f32 v17, v17, v21
	v_cndmask_b32_e32 v16, 0, v16, vcc
	v_cmp_ngt_f32_e32 vcc, s9, v15
	s_nop 1
	v_cndmask_b32_e32 v17, 0, v17, vcc
	v_cmp_nlt_f32_e32 vcc, s13, v13
	s_nop 1
	v_cndmask_b32_e32 v16, v12, v16, vcc
	v_cmp_nlt_f32_e32 vcc, s13, v15
	s_nop 1
	v_cndmask_b32_e32 v17, v12, v17, vcc
	v_cmp_le_f32_e32 vcc, s14, v13
	s_nop 1
	v_cndmask_b32_e32 v16, 0, v16, vcc
	v_cmp_le_f32_e32 vcc, s14, v15
	s_nop 1
	v_cndmask_b32_e32 v15, 0, v17, vcc
	v_mul_f32_e32 v13, s3, v15
	v_fmac_f32_e32 v13, v6, v16
	s_waitcnt vmcnt(0)
	v_mul_f32_e32 v14, v14, v15
	v_fmac_f32_e32 v14, v5, v16
	s_cbranch_execnz .LBB20_19
.LBB20_18:
	s_add_i32 s7, s12, -1
	s_mov_b64 s[0:1], 0
	v_mov_b32_e32 v0, v8
	v_mov_b32_e32 v13, v6
	;; [unrolled: 1-line block ×3, first 2 shown]
	s_waitcnt vmcnt(0)
	v_mov_b32_e32 v14, v5
.LBB20_19:
	s_andn2_b64 vcc, exec, s[0:1]
	s_cbranch_vccz .LBB20_23
; %bb.20:
	v_mov_b32_e32 v8, v0
	s_mov_b32 s12, s7
	v_mov_b32_e32 v6, v13
	v_mov_b32_e32 v7, v1
	s_waitcnt vmcnt(0)
	v_mov_b32_e32 v5, v14
	s_mul_hi_i32 s7, s12, s15
	s_cmp_lg_u64 s[6:7], 0
	s_mul_i32 s2, s12, s15
	s_cbranch_scc1 .LBB20_9
	s_branch .LBB20_15
.LBB20_21:
                                        ; implicit-def: $sgpr20_sgpr21
	s_load_dwordx4 s[16:19], s[0:1], 0x44
	s_branch .LBB20_2
.LBB20_22:
                                        ; implicit-def: $vgpr2_vgpr3
	s_branch .LBB20_5
.LBB20_23:
	v_div_scale_f32 v0, s[0:1], v13, v13, v14
	v_rcp_f32_e32 v1, v0
	v_div_scale_f32 v4, vcc, v14, v13, v14
	s_waitcnt vmcnt(0)
	v_fma_f32 v5, -v0, v1, 1.0
	v_fmac_f32_e32 v1, v5, v1
	v_mul_f32_e32 v5, v4, v1
	v_fma_f32 v6, -v0, v5, v4
	v_fmac_f32_e32 v5, v6, v1
	v_fma_f32 v0, -v0, v5, v4
	v_div_fmas_f32 v0, v0, v1, v5
	v_div_fixup_f32 v0, v0, v13, v14
	global_store_dword v[2:3], v0, off
.LBB20_24:
	s_endpgm
	.section	.rodata,"a",@progbits
	.p2align	6, 0x0
	.amdhsa_kernel _ZL33flash_attn_stream_k_fixup_generalILi80ELi16ELi4EEvPfPK15HIP_vector_typeIfLj2EEiiiiS1_IjLj3EES5_S5_S5_
		.amdhsa_group_segment_fixed_size 0
		.amdhsa_private_segment_fixed_size 0
		.amdhsa_kernarg_size 336
		.amdhsa_user_sgpr_count 2
		.amdhsa_user_sgpr_dispatch_ptr 0
		.amdhsa_user_sgpr_queue_ptr 0
		.amdhsa_user_sgpr_kernarg_segment_ptr 1
		.amdhsa_user_sgpr_dispatch_id 0
		.amdhsa_user_sgpr_kernarg_preload_length 0
		.amdhsa_user_sgpr_kernarg_preload_offset 0
		.amdhsa_user_sgpr_private_segment_size 0
		.amdhsa_uses_dynamic_stack 0
		.amdhsa_enable_private_segment 0
		.amdhsa_system_sgpr_workgroup_id_x 1
		.amdhsa_system_sgpr_workgroup_id_y 1
		.amdhsa_system_sgpr_workgroup_id_z 1
		.amdhsa_system_sgpr_workgroup_info 0
		.amdhsa_system_vgpr_workitem_id 0
		.amdhsa_next_free_vgpr 22
		.amdhsa_next_free_sgpr 32
		.amdhsa_accum_offset 24
		.amdhsa_reserve_vcc 1
		.amdhsa_float_round_mode_32 0
		.amdhsa_float_round_mode_16_64 0
		.amdhsa_float_denorm_mode_32 3
		.amdhsa_float_denorm_mode_16_64 3
		.amdhsa_dx10_clamp 1
		.amdhsa_ieee_mode 1
		.amdhsa_fp16_overflow 0
		.amdhsa_tg_split 0
		.amdhsa_exception_fp_ieee_invalid_op 0
		.amdhsa_exception_fp_denorm_src 0
		.amdhsa_exception_fp_ieee_div_zero 0
		.amdhsa_exception_fp_ieee_overflow 0
		.amdhsa_exception_fp_ieee_underflow 0
		.amdhsa_exception_fp_ieee_inexact 0
		.amdhsa_exception_int_div_zero 0
	.end_amdhsa_kernel
	.section	.text._ZL33flash_attn_stream_k_fixup_generalILi80ELi16ELi4EEvPfPK15HIP_vector_typeIfLj2EEiiiiS1_IjLj3EES5_S5_S5_,"axG",@progbits,_ZL33flash_attn_stream_k_fixup_generalILi80ELi16ELi4EEvPfPK15HIP_vector_typeIfLj2EEiiiiS1_IjLj3EES5_S5_S5_,comdat
.Lfunc_end20:
	.size	_ZL33flash_attn_stream_k_fixup_generalILi80ELi16ELi4EEvPfPK15HIP_vector_typeIfLj2EEiiiiS1_IjLj3EES5_S5_S5_, .Lfunc_end20-_ZL33flash_attn_stream_k_fixup_generalILi80ELi16ELi4EEvPfPK15HIP_vector_typeIfLj2EEiiiiS1_IjLj3EES5_S5_S5_
                                        ; -- End function
	.section	.AMDGPU.csdata,"",@progbits
; Kernel info:
; codeLenInByte = 2868
; NumSgprs: 38
; NumVgprs: 22
; NumAgprs: 0
; TotalNumVgprs: 22
; ScratchSize: 0
; MemoryBound: 0
; FloatMode: 240
; IeeeMode: 1
; LDSByteSize: 0 bytes/workgroup (compile time only)
; SGPRBlocks: 4
; VGPRBlocks: 2
; NumSGPRsForWavesPerEU: 38
; NumVGPRsForWavesPerEU: 22
; AccumOffset: 24
; Occupancy: 8
; WaveLimiterHint : 0
; COMPUTE_PGM_RSRC2:SCRATCH_EN: 0
; COMPUTE_PGM_RSRC2:USER_SGPR: 2
; COMPUTE_PGM_RSRC2:TRAP_HANDLER: 0
; COMPUTE_PGM_RSRC2:TGID_X_EN: 1
; COMPUTE_PGM_RSRC2:TGID_Y_EN: 1
; COMPUTE_PGM_RSRC2:TGID_Z_EN: 1
; COMPUTE_PGM_RSRC2:TIDIG_COMP_CNT: 0
; COMPUTE_PGM_RSRC3_GFX90A:ACCUM_OFFSET: 5
; COMPUTE_PGM_RSRC3_GFX90A:TG_SPLIT: 0
	.section	.text._ZL15flash_attn_tileILi80ELi80ELi8ELi4ELb0EEvPKcS1_S1_S1_S1_PKiPfP15HIP_vector_typeIfLj2EEffffjfiS5_IjLj3EEiiiiiiiiiiiliiliiiiil,"axG",@progbits,_ZL15flash_attn_tileILi80ELi80ELi8ELi4ELb0EEvPKcS1_S1_S1_S1_PKiPfP15HIP_vector_typeIfLj2EEffffjfiS5_IjLj3EEiiiiiiiiiiiliiliiiiil,comdat
	.globl	_ZL15flash_attn_tileILi80ELi80ELi8ELi4ELb0EEvPKcS1_S1_S1_S1_PKiPfP15HIP_vector_typeIfLj2EEffffjfiS5_IjLj3EEiiiiiiiiiiiliiliiiiil ; -- Begin function _ZL15flash_attn_tileILi80ELi80ELi8ELi4ELb0EEvPKcS1_S1_S1_S1_PKiPfP15HIP_vector_typeIfLj2EEffffjfiS5_IjLj3EEiiiiiiiiiiiliiliiiiil
	.p2align	8
	.type	_ZL15flash_attn_tileILi80ELi80ELi8ELi4ELb0EEvPKcS1_S1_S1_S1_PKiPfP15HIP_vector_typeIfLj2EEffffjfiS5_IjLj3EEiiiiiiiiiiiliiliiiiil,@function
_ZL15flash_attn_tileILi80ELi80ELi8ELi4ELb0EEvPKcS1_S1_S1_S1_PKiPfP15HIP_vector_typeIfLj2EEffffjfiS5_IjLj3EEiiiiiiiiiiiliiliiiiil: ; @_ZL15flash_attn_tileILi80ELi80ELi8ELi4ELb0EEvPKcS1_S1_S1_S1_PKiPfP15HIP_vector_typeIfLj2EEffffjfiS5_IjLj3EEiiiiiiiiiiiliiliiiiil
; %bb.0:
	s_load_dwordx4 s[28:31], s[0:1], 0x5c
	s_load_dwordx2 s[52:53], s[0:1], 0x80
	s_load_dwordx16 s[36:51], s[0:1], 0x0
	s_mov_b64 s[54:55], 0
	s_waitcnt lgkmcnt(0)
	s_ashr_i32 s5, s31, 31
	s_lshr_b32 s5, s5, 30
	s_add_i32 s5, s31, s5
	s_ashr_i32 s5, s5, 2
	v_cvt_f32_u32_e32 v1, s5
	s_sub_i32 s6, 0, s5
	v_rcp_iflag_f32_e32 v1, v1
	s_nop 0
	v_mul_f32_e32 v1, 0x4f7ffffe, v1
	v_cvt_u32_f32_e32 v1, v1
	s_nop 0
	v_readfirstlane_b32 s7, v1
	s_mul_i32 s6, s6, s7
	s_mul_hi_u32 s6, s7, s6
	s_add_i32 s7, s7, s6
	s_mul_hi_u32 s6, s4, s7
	s_mul_i32 s7, s6, s5
	s_sub_i32 s7, s4, s7
	s_add_i32 s8, s6, 1
	s_sub_i32 s9, s7, s5
	s_cmp_ge_u32 s7, s5
	s_cselect_b32 s6, s8, s6
	s_cselect_b32 s7, s9, s7
	s_add_i32 s8, s6, 1
	s_cmp_ge_u32 s7, s5
	s_cselect_b32 s33, s8, s6
	s_abs_i32 s5, s53
	v_cvt_f32_u32_e32 v1, s5
	s_sub_i32 s8, 0, s5
	s_abs_i32 s7, s31
	s_xor_b32 s6, s31, s53
	v_rcp_iflag_f32_e32 v1, v1
	s_lshl_b32 s4, s4, 2
	s_ashr_i32 s6, s6, 31
	v_mul_f32_e32 v1, 0x4f7ffffe, v1
	v_cvt_u32_f32_e32 v1, v1
	s_nop 0
	v_readfirstlane_b32 s9, v1
	s_mul_i32 s8, s8, s9
	s_mul_hi_u32 s8, s9, s8
	s_add_i32 s9, s9, s8
	s_mul_hi_u32 s8, s7, s9
	s_mul_i32 s9, s8, s5
	s_sub_i32 s7, s7, s9
	s_add_i32 s10, s8, 1
	s_sub_i32 s9, s7, s5
	s_cmp_ge_u32 s7, s5
	s_cselect_b32 s8, s10, s8
	s_cselect_b32 s7, s9, s7
	s_add_i32 s9, s8, 1
	s_cmp_ge_u32 s7, s5
	s_cselect_b32 s5, s9, s8
	s_xor_b32 s5, s5, s6
	s_sub_i32 s13, s5, s6
	s_abs_i32 s12, s13
	v_cvt_f32_u32_e32 v1, s12
	s_load_dwordx2 s[8:9], s[0:1], 0xb8
	s_mul_i32 s5, s33, s31
	s_cmp_eq_u64 s[42:43], 0
	v_rcp_iflag_f32_e32 v1, v1
	s_nop 0
	v_mul_f32_e32 v1, 0x4f7ffffe, v1
	v_cvt_u32_f32_e32 v1, v1
	s_nop 0
	v_readfirstlane_b32 s14, v1
	s_cbranch_scc1 .LBB21_2
; %bb.1:
	s_waitcnt lgkmcnt(0)
	s_abs_i32 s8, s8
	v_cvt_f32_u32_e32 v1, s8
	s_sub_i32 s15, 0, s8
	s_abs_i32 s11, s33
	s_ashr_i32 s10, s33, 31
	v_rcp_iflag_f32_e32 v1, v1
	s_load_dwordx2 s[6:7], s[0:1], 0xc8
	v_mul_f32_e32 v1, 0x4f7ffffe, v1
	v_cvt_u32_f32_e32 v1, v1
	s_nop 0
	v_readfirstlane_b32 s16, v1
	s_mul_i32 s15, s15, s16
	s_mul_hi_u32 s15, s16, s15
	s_add_i32 s16, s16, s15
	s_mul_hi_u32 s15, s11, s16
	s_mul_i32 s15, s15, s8
	s_sub_i32 s11, s11, s15
	s_sub_i32 s15, s11, s8
	s_cmp_ge_u32 s11, s8
	s_cselect_b32 s11, s15, s11
	s_sub_i32 s15, s11, s8
	s_cmp_ge_u32 s11, s8
	s_cselect_b32 s8, s15, s11
	s_xor_b32 s8, s8, s10
	s_sub_i32 s8, s8, s10
	s_ashr_i32 s10, s8, 31
	s_waitcnt lgkmcnt(0)
	s_mul_i32 s7, s8, s7
	s_mul_hi_u32 s11, s8, s6
	s_add_i32 s7, s11, s7
	s_mul_i32 s10, s10, s6
	s_add_i32 s7, s7, s10
	s_mul_i32 s8, s8, s6
	s_add_u32 s54, s42, s8
	s_addc_u32 s55, s43, s7
.LBB21_2:
	v_bfe_u32 v4, v0, 10, 10
	v_lshl_add_u32 v69, s2, 3, v4
	v_and_b32_e32 v70, 0x3ff, v0
	v_mul_hi_u32 v0, s28, v69
	v_add_u32_e32 v0, v69, v0
	v_lshrrev_b32_e32 v0, s29, v0
	v_mul_lo_u32 v0, v0, s30
	s_sub_i32 s34, s4, s5
	v_cmp_gt_u32_e64 s[26:27], 20, v70
	v_sub_u32_e32 v5, v69, v0
	v_lshlrev_b32_e32 v68, 2, v70
	s_and_saveexec_b64 s[10:11], s[26:27]
	s_cbranch_execz .LBB21_4
; %bb.3:
	s_load_dwordx4 s[4:7], s[0:1], 0x70
	v_lshlrev_b32_e32 v18, 1, v70
	v_mul_u32_u24_e32 v19, 0xa0, v4
	v_add_lshl_u32 v18, v19, v18, 2
	s_waitcnt lgkmcnt(0)
	s_mul_i32 s6, s33, s6
	s_ashr_i32 s8, s6, 31
	s_mul_i32 s7, s34, s5
	s_add_u32 s6, s36, s6
	s_addc_u32 s8, s37, s8
	s_ashr_i32 s15, s7, 31
	s_add_u32 s6, s6, s7
	v_mov_b32_e32 v0, s4
	s_addc_u32 s7, s8, s15
	s_ashr_i32 s4, s4, 31
	v_alignbit_b32 v0, s4, v0, 2
	v_mad_u64_u32 v[0:1], s[16:17], v0, v5, 0
	v_mov_b32_e32 v2, v1
	s_lshr_b32 s4, s4, 2
	v_mad_u64_u32 v[2:3], s[16:17], s4, v5, v[2:3]
	v_mov_b32_e32 v1, v2
	v_lshl_add_u64 v[0:1], v[0:1], 2, s[6:7]
	v_lshlrev_b32_e32 v2, 2, v68
	v_mov_b32_e32 v3, 0
	s_ashr_i32 s7, s5, 31
	s_mov_b32 s6, s5
	v_mov_b32_e32 v16, s5
	v_lshl_add_u64 v[14:15], v[0:1], 0, v[2:3]
	s_lshr_b64 s[16:17], s[6:7], 2
	s_and_b32 s6, s5, -4
	v_alignbit_b32 v16, s7, v16, 2
	global_load_dwordx4 v[0:3], v[14:15], off
	v_lshl_add_u64 v[6:7], v[14:15], 0, s[6:7]
	v_lshl_add_u64 v[10:11], s[16:17], 3, v[14:15]
	v_mad_u64_u32 v[14:15], s[4:5], v16, 12, v[14:15]
	v_mov_b32_e32 v16, v15
	s_lshr_b32 s4, s7, 2
	v_mad_u64_u32 v[16:17], s[4:5], s4, 12, v[16:17]
	global_load_dwordx4 v[6:9], v[6:7], off
	v_mov_b32_e32 v15, v16
	global_load_dwordx4 v[10:13], v[10:11], off
	s_load_dword s4, s[0:1], 0x40
	global_load_dwordx4 v[14:17], v[14:15], off
	s_waitcnt vmcnt(3) lgkmcnt(0)
	v_pk_mul_f32 v[0:1], v[0:1], s[4:5] op_sel_hi:[1,0]
	v_pk_mul_f32 v[2:3], v[2:3], s[4:5] op_sel_hi:[1,0]
	v_cvt_f16_f32_e32 v19, v1
	v_cvt_f16_f32_e32 v20, v0
	;; [unrolled: 1-line block ×4, first 2 shown]
	s_waitcnt vmcnt(2)
	v_pk_mul_f32 v[0:1], v[6:7], s[4:5] op_sel_hi:[1,0]
	v_pk_mul_f32 v[2:3], v[8:9], s[4:5] op_sel_hi:[1,0]
	s_waitcnt vmcnt(1)
	v_pk_mul_f32 v[6:7], v[10:11], s[4:5] op_sel_hi:[1,0]
	v_pk_mul_f32 v[8:9], v[12:13], s[4:5] op_sel_hi:[1,0]
	v_cvt_f16_f32_e32 v10, v1
	v_cvt_f16_f32_e32 v11, v0
	;; [unrolled: 1-line block ×4, first 2 shown]
	s_waitcnt vmcnt(0)
	v_pk_mul_f32 v[0:1], v[14:15], s[4:5] op_sel_hi:[1,0]
	v_pk_mul_f32 v[2:3], v[16:17], s[4:5] op_sel_hi:[1,0]
	v_cvt_f16_f32_e32 v23, v7
	v_cvt_f16_f32_e32 v24, v6
	;; [unrolled: 1-line block ×8, first 2 shown]
	v_pack_b32_f16 v7, v22, v21
	v_pack_b32_f16 v6, v20, v19
	;; [unrolled: 1-line block ×6, first 2 shown]
	ds_write2_b64 v18, v[6:7], v[0:1] offset1:20
	v_pack_b32_f16 v1, v17, v16
	v_pack_b32_f16 v0, v15, v14
	ds_write2_b64 v18, v[2:3], v[0:1] offset0:40 offset1:60
.LBB21_4:
	s_or_b64 exec, exec, s[10:11]
	s_cmp_eq_u64 s[46:47], 0
	s_waitcnt lgkmcnt(0)
	s_barrier
	s_cbranch_scc1 .LBB21_6
; %bb.5:
	s_load_dword s4, s[0:1], 0xd0
	s_mov_b32 s5, 0
	s_waitcnt lgkmcnt(0)
	s_mul_i32 s4, s4, s33
	s_add_i32 s4, s4, s2
	s_lshl_b64 s[4:5], s[4:5], 2
	s_add_u32 s4, s46, s4
	s_addc_u32 s5, s47, s5
	s_load_dword s52, s[4:5], 0x0
.LBB21_6:
	s_lshl_b32 s35, s3, 5
	s_waitcnt lgkmcnt(0)
	s_cmp_lt_i32 s35, s52
	v_mbcnt_lo_u32_b32 v6, -1, 0
	s_cbranch_scc1 .LBB21_8
; %bb.7:
	v_mbcnt_hi_u32_b32 v91, -1, v6
	v_and_b32_e32 v0, 0x60, v91
	s_mov_b32 s2, 0
	v_add_u32_e32 v117, 32, v0
	v_xor_b32_e32 v119, 16, v91
	v_xor_b32_e32 v120, 8, v91
	;; [unrolled: 1-line block ×5, first 2 shown]
	s_mov_b64 s[4:5], 0
	s_mov_b32 s6, 0xfeffffff
	s_branch .LBB21_9
.LBB21_8:
	s_mov_b64 s[4:5], -1
                                        ; implicit-def: $sgpr6
                                        ; implicit-def: $sgpr2
                                        ; implicit-def: $vgpr91
                                        ; implicit-def: $vgpr117
                                        ; implicit-def: $vgpr119
                                        ; implicit-def: $vgpr120
                                        ; implicit-def: $vgpr121
                                        ; implicit-def: $vgpr118
                                        ; implicit-def: $vgpr116
.LBB21_9:
	s_andn2_b64 vcc, exec, s[4:5]
	v_mov_b32_e32 v3, s6
	v_mov_b32_e32 v79, s2
	;; [unrolled: 1-line block ×16, first 2 shown]
	s_cbranch_vccnz .LBB21_29
; %bb.10:
	s_load_dwordx2 s[10:11], s[0:1], 0x8c
	s_load_dwordx4 s[4:7], s[0:1], 0x98
	s_sub_i32 s2, 0, s12
	s_mul_i32 s2, s2, s14
	s_mul_hi_u32 s2, s14, s2
	s_waitcnt lgkmcnt(0)
	s_ashr_i32 s43, s10, 2
	s_ashr_i32 s42, s6, 2
	;; [unrolled: 1-line block ×4, first 2 shown]
	s_mul_i32 s5, s33, s5
	s_mul_hi_u32 s10, s33, s4
	s_add_i32 s5, s10, s5
	s_mul_i32 s10, s9, s4
	s_abs_i32 s8, s34
	s_add_i32 s14, s14, s2
	s_ashr_i32 s16, s34, 31
	s_ashr_i32 s13, s13, 31
	s_add_i32 s5, s5, s10
	s_mul_i32 s4, s33, s4
	s_mul_hi_u32 s2, s8, s14
	s_add_u32 s4, s38, s4
	s_addc_u32 s5, s39, s5
	s_xor_b32 s10, s16, s13
	s_mul_i32 s13, s2, s12
	s_sub_i32 s8, s8, s13
	s_add_i32 s13, s2, 1
	s_sub_i32 s16, s8, s12
	s_cmp_ge_u32 s8, s12
	s_cselect_b32 s2, s13, s2
	s_cselect_b32 s8, s16, s8
	s_add_i32 s13, s2, 1
	s_cmp_ge_u32 s8, s12
	s_cselect_b32 s2, s13, s2
	s_load_dwordx2 s[14:15], s[0:1], 0xa8
	s_xor_b32 s2, s2, s10
	s_sub_i32 s2, s2, s10
	s_mul_i32 s8, s2, s11
	s_ashr_i32 s10, s8, 31
	s_add_u32 s46, s4, s8
	s_addc_u32 s47, s5, s10
	s_waitcnt lgkmcnt(0)
	s_mul_i32 s4, s33, s15
	s_mul_hi_u32 s5, s33, s14
	s_add_i32 s4, s5, s4
	s_mul_i32 s9, s9, s14
	s_add_i32 s4, s4, s9
	s_mul_i32 s5, s33, s14
	s_add_u32 s5, s40, s5
	s_mul_i32 s2, s2, s7
	s_addc_u32 s4, s41, s4
	s_ashr_i32 s7, s2, 31
	v_lshrrev_b32_e32 v1, 2, v70
	s_add_u32 s40, s5, s2
	v_lshl_add_u32 v0, v4, 5, v70
	v_lshl_add_u32 v1, v4, 3, v1
	s_movk_i32 s2, 0x60
	v_mov_b32_e32 v2, 0x1440
	s_addc_u32 s41, s4, s7
	v_cmp_gt_u32_e64 s[4:5], 32, v1
	v_mad_u32_u24 v109, v0, s2, v2
	v_mul_u32_u24_e32 v2, 0x60, v1
	v_mul_lo_u32 v86, s43, v1
	v_mov_b32_e32 v1, 0x20c0
	v_cmp_gt_u32_e32 vcc, 32, v0
	v_mul_lo_u32 v82, s43, v0
	v_and_b32_e32 v0, 12, v68
	v_lshl_add_u32 v111, v4, 8, v1
	v_lshrrev_b32_e32 v1, 1, v70
	v_lshlrev_b32_e32 v3, 2, v0
	s_movk_i32 s2, 0x1400
	v_lshl_add_u32 v1, v4, 4, v1
	v_add3_u32 v110, v2, v3, s2
	v_lshrrev_b32_e32 v2, 3, v70
	v_and_b32_e32 v90, 4, v68
	v_mul_u32_u24_e32 v3, 0xa0, v1
	v_mad_u64_u32 v[88:89], s[6:7], v5, s6, v[70:71]
	v_lshl_add_u32 v2, v4, 2, v2
	v_lshl_or_b32 v3, v90, 2, v3
	v_and_b32_e32 v94, 28, v68
	v_mov_b32_e32 v85, 0
	v_cmp_gt_u32_e64 s[6:7], 16, v1
	v_add_u32_e32 v113, 0x1480, v3
	v_mul_lo_u32 v92, s42, v1
	v_mul_u32_u24_e32 v1, 0xa0, v2
	v_lshlrev_b32_e32 v3, 2, v94
	v_mul_lo_u32 v96, s42, v2
	s_add_u32 s28, s0, 0xd0
	v_mul_u32_u24_e32 v95, 0x60, v70
	v_mul_u32_u24_e32 v108, 0x280, v4
	v_ashrrev_i32_e32 v83, 31, v82
	v_ashrrev_i32_e32 v87, 31, v86
	v_lshlrev_b32_e32 v112, 3, v70
	v_cmp_gt_u32_e64 s[8:9], 16, v2
	v_ashrrev_i32_e32 v93, 31, v92
	v_add3_u32 v114, v1, v3, s2
	v_ashrrev_i32_e32 v97, 31, v96
	s_addc_u32 s29, s1, 0
	v_mov_b32_e32 v8, 0xfeffffff
	v_mbcnt_hi_u32_b32 v91, -1, v6
	s_mov_b32 s2, 0x40051340
	s_mov_b32 s53, 0x3fb8aa3b
	;; [unrolled: 1-line block ×4, first 2 shown]
	v_lshlrev_b32_e32 v84, 2, v0
	v_mov_b32_e32 v115, 0x7f800000
	v_mov_b32_e32 v73, v85
	;; [unrolled: 1-line block ×16, first 2 shown]
.LBB21_11:                              ; =>This Inner Loop Header: Depth=1
	s_mul_hi_i32 s11, s35, s43
	s_mul_i32 s10, s35, s43
	s_lshl_b64 s[10:11], s[10:11], 2
	s_add_u32 s10, s46, s10
	s_addc_u32 s11, s47, s11
	v_lshl_add_u64 v[6:7], v[82:83], 2, s[10:11]
	s_and_saveexec_b64 s[12:13], vcc
	s_cbranch_execz .LBB21_13
; %bb.12:                               ;   in Loop: Header=BB21_11 Depth=1
	global_load_dwordx4 v[0:3], v[6:7], off offset:64
	s_waitcnt vmcnt(0)
	ds_write_b128 v109, v[0:3]
.LBB21_13:                              ;   in Loop: Header=BB21_11 Depth=1
	s_or_b64 exec, exec, s[12:13]
	v_lshl_add_u64 v[4:5], v[86:87], 2, s[10:11]
	s_and_saveexec_b64 s[10:11], s[4:5]
	s_cbranch_execz .LBB21_15
; %bb.14:                               ;   in Loop: Header=BB21_11 Depth=1
	v_lshl_add_u64 v[0:1], v[4:5], 0, v[84:85]
	global_load_dwordx4 v[0:3], v[0:1], off
	s_waitcnt vmcnt(0)
	ds_write_b128 v110, v[0:3]
.LBB21_15:                              ;   in Loop: Header=BB21_11 Depth=1
	s_or_b64 exec, exec, s[10:11]
	s_waitcnt lgkmcnt(0)
	s_barrier
	ds_read_b128 v[12:15], v95 offset:5120
	ds_read_b128 v[16:19], v108
	ds_read_b128 v[20:23], v108 offset:160
	ds_read_b128 v[24:27], v108 offset:320
	;; [unrolled: 1-line block ×3, first 2 shown]
	v_mov_b32_e32 v0, 0
	s_waitcnt lgkmcnt(3)
	;;#ASMSTART
	v_dot2_f32_f16 v0, v12, v16, v0
	;;#ASMEND
	v_mov_b32_e32 v1, 0
	;;#ASMSTART
	v_dot2_f32_f16 v0, v13, v17, v0
	;;#ASMEND
	v_mov_b32_e32 v2, 0
	;; [unrolled: 4-line block ×3, first 2 shown]
	;;#ASMSTART
	v_dot2_f32_f16 v0, v15, v19, v0
	;;#ASMEND
	s_waitcnt lgkmcnt(2)
	;;#ASMSTART
	v_dot2_f32_f16 v1, v12, v20, v1
	;;#ASMEND
	s_nop 0
	;;#ASMSTART
	v_dot2_f32_f16 v1, v13, v21, v1
	;;#ASMEND
	s_nop 0
	;;#ASMSTART
	v_dot2_f32_f16 v1, v14, v22, v1
	;;#ASMEND
	s_nop 0
	;;#ASMSTART
	v_dot2_f32_f16 v1, v15, v23, v1
	;;#ASMEND
	s_waitcnt lgkmcnt(1)
	;;#ASMSTART
	v_dot2_f32_f16 v2, v12, v24, v2
	;;#ASMEND
	s_nop 0
	;;#ASMSTART
	v_dot2_f32_f16 v2, v13, v25, v2
	;;#ASMEND
	s_nop 0
	;;#ASMSTART
	v_dot2_f32_f16 v2, v14, v26, v2
	;;#ASMEND
	s_nop 0
	;; [unrolled: 16-line block ×3, first 2 shown]
	;;#ASMSTART
	v_dot2_f32_f16 v3, v15, v31, v3
	;;#ASMEND
	ds_read_b128 v[12:15], v95 offset:5136
	ds_read_b128 v[16:19], v108 offset:16
	;; [unrolled: 1-line block ×5, first 2 shown]
	s_waitcnt lgkmcnt(3)
	;;#ASMSTART
	v_dot2_f32_f16 v0, v12, v16, v0
	;;#ASMEND
	s_nop 0
	;;#ASMSTART
	v_dot2_f32_f16 v0, v13, v17, v0
	;;#ASMEND
	s_nop 0
	;;#ASMSTART
	v_dot2_f32_f16 v0, v14, v18, v0
	;;#ASMEND
	s_nop 0
	;;#ASMSTART
	v_dot2_f32_f16 v0, v15, v19, v0
	;;#ASMEND
	s_waitcnt lgkmcnt(2)
	;;#ASMSTART
	v_dot2_f32_f16 v1, v12, v20, v1
	;;#ASMEND
	s_nop 0
	;;#ASMSTART
	v_dot2_f32_f16 v1, v13, v21, v1
	;;#ASMEND
	s_nop 0
	;;#ASMSTART
	v_dot2_f32_f16 v1, v14, v22, v1
	;;#ASMEND
	s_nop 0
	;;#ASMSTART
	v_dot2_f32_f16 v1, v15, v23, v1
	;;#ASMEND
	;; [unrolled: 16-line block ×4, first 2 shown]
	ds_read_b128 v[12:15], v95 offset:5152
	ds_read_b128 v[16:19], v108 offset:32
	;; [unrolled: 1-line block ×5, first 2 shown]
	s_waitcnt lgkmcnt(3)
	;;#ASMSTART
	v_dot2_f32_f16 v0, v12, v16, v0
	;;#ASMEND
	s_nop 0
	;;#ASMSTART
	v_dot2_f32_f16 v0, v13, v17, v0
	;;#ASMEND
	s_nop 0
	;;#ASMSTART
	v_dot2_f32_f16 v0, v14, v18, v0
	;;#ASMEND
	s_nop 0
	;;#ASMSTART
	v_dot2_f32_f16 v0, v15, v19, v0
	;;#ASMEND
	s_waitcnt lgkmcnt(2)
	;;#ASMSTART
	v_dot2_f32_f16 v1, v12, v20, v1
	;;#ASMEND
	s_nop 0
	;;#ASMSTART
	v_dot2_f32_f16 v1, v13, v21, v1
	;;#ASMEND
	s_nop 0
	;;#ASMSTART
	v_dot2_f32_f16 v1, v14, v22, v1
	;;#ASMEND
	s_nop 0
	;;#ASMSTART
	v_dot2_f32_f16 v1, v15, v23, v1
	;;#ASMEND
	;; [unrolled: 16-line block ×4, first 2 shown]
	ds_read_b128 v[12:15], v95 offset:5168
	ds_read_b128 v[16:19], v108 offset:48
	;; [unrolled: 1-line block ×5, first 2 shown]
	s_waitcnt lgkmcnt(3)
	;;#ASMSTART
	v_dot2_f32_f16 v0, v12, v16, v0
	;;#ASMEND
	s_nop 0
	;;#ASMSTART
	v_dot2_f32_f16 v0, v13, v17, v0
	;;#ASMEND
	s_nop 0
	;;#ASMSTART
	v_dot2_f32_f16 v0, v14, v18, v0
	;;#ASMEND
	s_nop 0
	;;#ASMSTART
	v_dot2_f32_f16 v0, v15, v19, v0
	;;#ASMEND
	s_waitcnt lgkmcnt(2)
	;;#ASMSTART
	v_dot2_f32_f16 v1, v12, v20, v1
	;;#ASMEND
	s_nop 0
	;;#ASMSTART
	v_dot2_f32_f16 v1, v13, v21, v1
	;;#ASMEND
	s_nop 0
	;;#ASMSTART
	v_dot2_f32_f16 v1, v14, v22, v1
	;;#ASMEND
	s_nop 0
	;;#ASMSTART
	v_dot2_f32_f16 v1, v15, v23, v1
	;;#ASMEND
	;; [unrolled: 16-line block ×4, first 2 shown]
	ds_read_b128 v[12:15], v95 offset:5184
	ds_read_b128 v[16:19], v108 offset:64
	;; [unrolled: 1-line block ×5, first 2 shown]
	s_waitcnt lgkmcnt(3)
	;;#ASMSTART
	v_dot2_f32_f16 v0, v12, v16, v0
	;;#ASMEND
	s_nop 0
	;;#ASMSTART
	v_dot2_f32_f16 v0, v13, v17, v0
	;;#ASMEND
	s_nop 0
	;;#ASMSTART
	v_dot2_f32_f16 v0, v14, v18, v0
	;;#ASMEND
	s_nop 0
	;;#ASMSTART
	v_dot2_f32_f16 v0, v15, v19, v0
	;;#ASMEND
	s_waitcnt lgkmcnt(2)
	;;#ASMSTART
	v_dot2_f32_f16 v1, v12, v20, v1
	;;#ASMEND
	s_nop 0
	;;#ASMSTART
	v_dot2_f32_f16 v1, v13, v21, v1
	;;#ASMEND
	s_nop 0
	;;#ASMSTART
	v_dot2_f32_f16 v1, v14, v22, v1
	;;#ASMEND
	s_nop 0
	;;#ASMSTART
	v_dot2_f32_f16 v1, v15, v23, v1
	;;#ASMEND
	;; [unrolled: 16-line block ×4, first 2 shown]
	s_barrier
	s_and_saveexec_b64 s[10:11], vcc
	s_cbranch_execz .LBB21_17
; %bb.16:                               ;   in Loop: Header=BB21_11 Depth=1
	global_load_dwordx4 v[12:15], v[6:7], off offset:144
	s_waitcnt vmcnt(0)
	ds_write_b128 v109, v[12:15]
.LBB21_17:                              ;   in Loop: Header=BB21_11 Depth=1
	s_or_b64 exec, exec, s[10:11]
	s_and_saveexec_b64 s[10:11], s[4:5]
	s_cbranch_execz .LBB21_19
; %bb.18:                               ;   in Loop: Header=BB21_11 Depth=1
	v_lshl_add_u64 v[4:5], v[4:5], 0, v[84:85]
	global_load_dwordx4 v[4:7], v[4:5], off offset:80
	s_waitcnt vmcnt(0)
	ds_write_b128 v110, v[4:7]
.LBB21_19:                              ;   in Loop: Header=BB21_11 Depth=1
	s_or_b64 exec, exec, s[10:11]
	s_waitcnt lgkmcnt(0)
	s_barrier
	ds_read_b128 v[4:7], v95 offset:5120
	ds_read_b128 v[12:15], v108 offset:80
	;; [unrolled: 1-line block ×5, first 2 shown]
	s_waitcnt lgkmcnt(3)
	;;#ASMSTART
	v_dot2_f32_f16 v0, v4, v12, v0
	;;#ASMEND
	s_nop 0
	;;#ASMSTART
	v_dot2_f32_f16 v0, v5, v13, v0
	;;#ASMEND
	v_xor_b32_e32 v119, 16, v91
	;;#ASMSTART
	v_dot2_f32_f16 v0, v6, v14, v0
	;;#ASMEND
	v_xor_b32_e32 v120, 8, v91
	;;#ASMSTART
	v_dot2_f32_f16 v0, v7, v15, v0
	;;#ASMEND
	s_waitcnt lgkmcnt(2)
	;;#ASMSTART
	v_dot2_f32_f16 v1, v4, v16, v1
	;;#ASMEND
	v_xor_b32_e32 v121, 4, v91
	;;#ASMSTART
	v_dot2_f32_f16 v1, v5, v17, v1
	;;#ASMEND
	v_xor_b32_e32 v118, 2, v91
	;; [unrolled: 4-line block ×3, first 2 shown]
	;;#ASMSTART
	v_dot2_f32_f16 v1, v7, v19, v1
	;;#ASMEND
	s_waitcnt lgkmcnt(1)
	;;#ASMSTART
	v_dot2_f32_f16 v2, v4, v20, v2
	;;#ASMEND
	v_lshlrev_b32_e32 v102, 2, v90
	;;#ASMSTART
	v_dot2_f32_f16 v2, v5, v21, v2
	;;#ASMEND
	s_nop 0
	;;#ASMSTART
	v_dot2_f32_f16 v2, v6, v22, v2
	;;#ASMEND
	s_nop 0
	;;#ASMSTART
	v_dot2_f32_f16 v2, v7, v23, v2
	;;#ASMEND
	s_waitcnt lgkmcnt(0)
	;;#ASMSTART
	v_dot2_f32_f16 v3, v4, v24, v3
	;;#ASMEND
	s_nop 0
	;;#ASMSTART
	v_dot2_f32_f16 v3, v5, v25, v3
	;;#ASMEND
	s_nop 0
	;; [unrolled: 4-line block ×3, first 2 shown]
	;;#ASMSTART
	v_dot2_f32_f16 v3, v7, v27, v3
	;;#ASMEND
	ds_read_b128 v[4:7], v95 offset:5136
	ds_read_b128 v[12:15], v108 offset:96
	;; [unrolled: 1-line block ×5, first 2 shown]
	s_waitcnt lgkmcnt(3)
	;;#ASMSTART
	v_dot2_f32_f16 v0, v4, v12, v0
	;;#ASMEND
	s_nop 0
	;;#ASMSTART
	v_dot2_f32_f16 v0, v5, v13, v0
	;;#ASMEND
	s_nop 0
	;;#ASMSTART
	v_dot2_f32_f16 v0, v6, v14, v0
	;;#ASMEND
	s_nop 0
	;;#ASMSTART
	v_dot2_f32_f16 v0, v7, v15, v0
	;;#ASMEND
	s_waitcnt lgkmcnt(2)
	;;#ASMSTART
	v_dot2_f32_f16 v1, v4, v16, v1
	;;#ASMEND
	s_nop 0
	;;#ASMSTART
	v_dot2_f32_f16 v1, v5, v17, v1
	;;#ASMEND
	s_nop 0
	;;#ASMSTART
	v_dot2_f32_f16 v1, v6, v18, v1
	;;#ASMEND
	s_nop 0
	;;#ASMSTART
	v_dot2_f32_f16 v1, v7, v19, v1
	;;#ASMEND
	;; [unrolled: 16-line block ×4, first 2 shown]
	ds_read_b128 v[4:7], v95 offset:5152
	ds_read_b128 v[12:15], v108 offset:112
	;; [unrolled: 1-line block ×5, first 2 shown]
	s_waitcnt lgkmcnt(3)
	;;#ASMSTART
	v_dot2_f32_f16 v0, v4, v12, v0
	;;#ASMEND
	s_nop 0
	;;#ASMSTART
	v_dot2_f32_f16 v0, v5, v13, v0
	;;#ASMEND
	s_nop 0
	;;#ASMSTART
	v_dot2_f32_f16 v0, v6, v14, v0
	;;#ASMEND
	s_nop 0
	;;#ASMSTART
	v_dot2_f32_f16 v0, v7, v15, v0
	;;#ASMEND
	s_waitcnt lgkmcnt(2)
	;;#ASMSTART
	v_dot2_f32_f16 v1, v4, v16, v1
	;;#ASMEND
	s_nop 0
	;;#ASMSTART
	v_dot2_f32_f16 v1, v5, v17, v1
	;;#ASMEND
	s_nop 0
	;;#ASMSTART
	v_dot2_f32_f16 v1, v6, v18, v1
	;;#ASMEND
	s_nop 0
	;;#ASMSTART
	v_dot2_f32_f16 v1, v7, v19, v1
	;;#ASMEND
	;; [unrolled: 16-line block ×4, first 2 shown]
	ds_read_b128 v[4:7], v95 offset:5168
	ds_read_b128 v[12:15], v108 offset:128
	ds_read_b128 v[16:19], v108 offset:288
	ds_read_b128 v[20:23], v108 offset:448
	ds_read_b128 v[24:27], v108 offset:608
	s_waitcnt lgkmcnt(3)
	;;#ASMSTART
	v_dot2_f32_f16 v0, v4, v12, v0
	;;#ASMEND
	s_nop 0
	;;#ASMSTART
	v_dot2_f32_f16 v0, v5, v13, v0
	;;#ASMEND
	s_nop 0
	;;#ASMSTART
	v_dot2_f32_f16 v0, v6, v14, v0
	;;#ASMEND
	s_nop 0
	;;#ASMSTART
	v_dot2_f32_f16 v0, v7, v15, v0
	;;#ASMEND
	s_waitcnt lgkmcnt(2)
	;;#ASMSTART
	v_dot2_f32_f16 v1, v4, v16, v1
	;;#ASMEND
	s_nop 0
	;;#ASMSTART
	v_dot2_f32_f16 v1, v5, v17, v1
	;;#ASMEND
	s_nop 0
	;;#ASMSTART
	v_dot2_f32_f16 v1, v6, v18, v1
	;;#ASMEND
	s_nop 0
	;;#ASMSTART
	v_dot2_f32_f16 v1, v7, v19, v1
	;;#ASMEND
	;; [unrolled: 16-line block ×4, first 2 shown]
	ds_read_b128 v[4:7], v95 offset:5184
	ds_read_b128 v[12:15], v108 offset:144
	;; [unrolled: 1-line block ×5, first 2 shown]
	s_waitcnt lgkmcnt(3)
	;;#ASMSTART
	v_dot2_f32_f16 v0, v4, v12, v0
	;;#ASMEND
	s_nop 0
	;;#ASMSTART
	v_dot2_f32_f16 v0, v5, v13, v0
	;;#ASMEND
	v_max_f32_e32 v12, v11, v11
	;;#ASMSTART
	v_dot2_f32_f16 v0, v6, v14, v0
	;;#ASMEND
	v_max_f32_e32 v13, v10, v10
	;;#ASMSTART
	v_dot2_f32_f16 v0, v7, v15, v0
	;;#ASMEND
	s_waitcnt lgkmcnt(2)
	;;#ASMSTART
	v_dot2_f32_f16 v1, v4, v16, v1
	;;#ASMEND
	v_max_f32_e32 v14, v9, v9
	;;#ASMSTART
	v_dot2_f32_f16 v1, v5, v17, v1
	;;#ASMEND
	v_max_f32_e32 v15, v8, v8
	;;#ASMSTART
	v_dot2_f32_f16 v1, v6, v18, v1
	;;#ASMEND
	s_nop 0
	;;#ASMSTART
	v_dot2_f32_f16 v1, v7, v19, v1
	;;#ASMEND
	s_waitcnt lgkmcnt(1)
	;;#ASMSTART
	v_dot2_f32_f16 v2, v4, v20, v2
	;;#ASMEND
	s_nop 0
	;;#ASMSTART
	v_dot2_f32_f16 v2, v5, v21, v2
	;;#ASMEND
	s_nop 0
	;; [unrolled: 4-line block ×3, first 2 shown]
	;;#ASMSTART
	v_dot2_f32_f16 v2, v7, v23, v2
	;;#ASMEND
	s_waitcnt lgkmcnt(0)
	;;#ASMSTART
	v_dot2_f32_f16 v3, v4, v24, v3
	;;#ASMEND
	v_add_u32_e32 v4, s35, v88
	;;#ASMSTART
	v_dot2_f32_f16 v3, v5, v25, v3
	;;#ASMEND
	v_ashrrev_i32_e32 v5, 31, v4
	;;#ASMSTART
	v_dot2_f32_f16 v3, v6, v26, v3
	;;#ASMEND
	v_lshl_add_u64 v[4:5], v[4:5], 1, s[54:55]
	;;#ASMSTART
	v_dot2_f32_f16 v3, v7, v27, v3
	;;#ASMEND
	flat_load_ushort v4, v[4:5]
	v_and_b32_e32 v5, 0x60, v91
	v_add_u32_e32 v117, 32, v5
	v_cmp_lt_i32_e64 s[10:11], v119, v117
	s_waitcnt lgkmcnt(0)
	s_barrier
	v_cndmask_b32_e64 v5, v91, v119, s[10:11]
	v_lshlrev_b32_e32 v20, 2, v5
	v_cmp_lt_i32_e64 s[10:11], v120, v117
	s_waitcnt vmcnt(0)
	v_cvt_f32_f16_e32 v4, v4
	v_cndmask_b32_e64 v16, v91, v120, s[10:11]
	v_lshlrev_b32_e32 v16, 2, v16
	v_cmp_lt_i32_e64 s[10:11], v121, v117
	v_pk_add_f32 v[6:7], v[2:3], v[4:5] op_sel_hi:[1,0]
	v_pk_add_f32 v[4:5], v[0:1], v[4:5] op_sel_hi:[1,0]
	;; [unrolled: 1-line block ×4, first 2 shown]
	v_max_f32_e32 v3, v12, v3
	ds_bpermute_b32 v12, v20, v3
	v_max_f32_e32 v2, v13, v2
	v_max_f32_e32 v1, v14, v1
	ds_bpermute_b32 v13, v20, v2
	ds_bpermute_b32 v14, v20, v1
	v_max_f32_e32 v0, v15, v0
	s_waitcnt lgkmcnt(2)
	v_max_f32_e32 v12, v12, v12
	ds_bpermute_b32 v15, v20, v0
	v_max_f32_e32 v3, v3, v12
	ds_bpermute_b32 v12, v16, v3
	s_waitcnt lgkmcnt(3)
	v_max_f32_e32 v13, v13, v13
	s_waitcnt lgkmcnt(2)
	v_max_f32_e32 v14, v14, v14
	v_max_f32_e32 v2, v2, v13
	;; [unrolled: 1-line block ×3, first 2 shown]
	ds_bpermute_b32 v13, v16, v2
	ds_bpermute_b32 v14, v16, v1
	s_waitcnt lgkmcnt(3)
	v_max_f32_e32 v15, v15, v15
	v_cndmask_b32_e64 v17, v91, v121, s[10:11]
	v_max_f32_e32 v0, v0, v15
	s_waitcnt lgkmcnt(2)
	v_max_f32_e32 v12, v12, v12
	ds_bpermute_b32 v15, v16, v0
	v_lshlrev_b32_e32 v16, 2, v17
	v_max_f32_e32 v3, v3, v12
	ds_bpermute_b32 v12, v16, v3
	s_waitcnt lgkmcnt(3)
	v_max_f32_e32 v13, v13, v13
	s_waitcnt lgkmcnt(2)
	v_max_f32_e32 v14, v14, v14
	v_max_f32_e32 v2, v2, v13
	;; [unrolled: 1-line block ×3, first 2 shown]
	ds_bpermute_b32 v13, v16, v2
	ds_bpermute_b32 v14, v16, v1
	v_cmp_lt_i32_e64 s[10:11], v118, v117
	s_waitcnt lgkmcnt(3)
	v_max_f32_e32 v15, v15, v15
	v_max_f32_e32 v0, v0, v15
	v_cndmask_b32_e64 v18, v91, v118, s[10:11]
	s_waitcnt lgkmcnt(2)
	v_max_f32_e32 v12, v12, v12
	ds_bpermute_b32 v15, v16, v0
	v_lshlrev_b32_e32 v16, 2, v18
	v_max_f32_e32 v3, v3, v12
	ds_bpermute_b32 v12, v16, v3
	s_waitcnt lgkmcnt(3)
	v_max_f32_e32 v13, v13, v13
	s_waitcnt lgkmcnt(2)
	v_max_f32_e32 v14, v14, v14
	v_max_f32_e32 v2, v2, v13
	;; [unrolled: 1-line block ×3, first 2 shown]
	ds_bpermute_b32 v13, v16, v2
	ds_bpermute_b32 v14, v16, v1
	v_cmp_lt_i32_e64 s[10:11], v116, v117
	s_waitcnt lgkmcnt(3)
	v_max_f32_e32 v15, v15, v15
	v_max_f32_e32 v0, v0, v15
	v_cndmask_b32_e64 v19, v91, v116, s[10:11]
	s_waitcnt lgkmcnt(2)
	v_max_f32_e32 v12, v12, v12
	ds_bpermute_b32 v15, v16, v0
	v_lshlrev_b32_e32 v16, 2, v19
	v_max_f32_e32 v3, v3, v12
	ds_bpermute_b32 v12, v16, v3
	s_waitcnt lgkmcnt(3)
	v_max_f32_e32 v13, v13, v13
	s_waitcnt lgkmcnt(2)
	v_max_f32_e32 v14, v14, v14
	v_max_f32_e32 v2, v2, v13
	;; [unrolled: 1-line block ×3, first 2 shown]
	ds_bpermute_b32 v13, v16, v2
	ds_bpermute_b32 v14, v16, v1
	s_waitcnt lgkmcnt(2)
	v_max_f32_e32 v12, v12, v12
	v_max_f32_e32 v3, v3, v12
	v_sub_f32_e32 v7, v7, v3
	s_waitcnt lgkmcnt(1)
	v_max_f32_e32 v13, v13, v13
	s_waitcnt lgkmcnt(0)
	v_max_f32_e32 v14, v14, v14
	v_mul_f32_e32 v12, 0x3fb8aa3b, v7
	v_max_f32_e32 v15, v15, v15
	v_max_f32_e32 v2, v2, v13
	;; [unrolled: 1-line block ×3, first 2 shown]
	v_fma_f32 v13, v7, s53, -v12
	v_rndne_f32_e32 v14, v12
	v_max_f32_e32 v0, v0, v15
	v_fmac_f32_e32 v13, 0x32a5705f, v7
	v_sub_f32_e32 v12, v12, v14
	ds_bpermute_b32 v15, v16, v0
	v_add_f32_e32 v12, v12, v13
	v_exp_f32_e32 v12, v12
	v_cvt_i32_f32_e32 v13, v14
	v_sub_f32_e32 v6, v6, v2
	s_waitcnt lgkmcnt(0)
	v_max_f32_e32 v15, v15, v15
	v_max_f32_e32 v0, v0, v15
	v_ldexp_f32 v12, v12, v13
	v_mul_f32_e32 v13, 0x3fb8aa3b, v6
	v_fma_f32 v14, v6, s53, -v13
	v_rndne_f32_e32 v15, v13
	v_fmac_f32_e32 v14, 0x32a5705f, v6
	v_sub_f32_e32 v13, v13, v15
	v_add_f32_e32 v13, v13, v14
	v_exp_f32_e32 v13, v13
	v_cvt_i32_f32_e32 v14, v15
	v_cmp_ngt_f32_e64 s[10:11], s56, v7
	v_sub_f32_e32 v5, v5, v1
	v_sub_f32_e32 v4, v4, v0
	v_cndmask_b32_e64 v12, 0, v12, s[10:11]
	v_cmp_nlt_f32_e64 s[10:11], s57, v7
	v_ldexp_f32 v7, v13, v14
	s_nop 0
	v_cndmask_b32_e64 v99, v115, v12, s[10:11]
	v_mul_f32_e32 v12, 0x3fb8aa3b, v5
	v_fma_f32 v13, v5, s53, -v12
	v_rndne_f32_e32 v14, v12
	v_fmac_f32_e32 v13, 0x32a5705f, v5
	v_sub_f32_e32 v12, v12, v14
	v_add_f32_e32 v12, v12, v13
	v_exp_f32_e32 v12, v12
	v_cvt_i32_f32_e32 v13, v14
	v_cmp_ngt_f32_e64 s[10:11], s56, v6
	s_nop 1
	v_cndmask_b32_e64 v7, 0, v7, s[10:11]
	v_cmp_nlt_f32_e64 s[10:11], s57, v6
	v_ldexp_f32 v6, v12, v13
	s_nop 0
	v_cndmask_b32_e64 v98, v115, v7, s[10:11]
	v_mul_f32_e32 v7, 0x3fb8aa3b, v4
	v_fma_f32 v12, v4, s53, -v7
	v_rndne_f32_e32 v13, v7
	v_fmac_f32_e32 v12, 0x32a5705f, v4
	v_sub_f32_e32 v7, v7, v13
	v_add_f32_e32 v7, v7, v12
	v_exp_f32_e32 v7, v7
	v_cvt_i32_f32_e32 v12, v13
	v_cmp_ngt_f32_e64 s[10:11], s56, v5
	s_nop 1
	v_cndmask_b32_e64 v6, 0, v6, s[10:11]
	v_cmp_nlt_f32_e64 s[10:11], s57, v5
	v_ldexp_f32 v5, v7, v12
	s_nop 0
	v_cndmask_b32_e64 v101, v115, v6, s[10:11]
	v_cmp_ngt_f32_e64 s[10:11], s56, v4
	v_cvt_f16_f32_e32 v6, v101
	s_nop 0
	v_cndmask_b32_e64 v5, 0, v5, s[10:11]
	v_cmp_nlt_f32_e64 s[10:11], s57, v4
	v_cvt_f16_f32_e32 v4, v99
	s_nop 0
	v_cndmask_b32_e64 v100, v115, v5, s[10:11]
	v_cvt_f16_f32_e32 v5, v98
	v_cvt_f16_f32_e32 v7, v100
	s_mul_hi_i32 s11, s35, s42
	s_mul_i32 s10, s35, s42
	s_lshl_b64 s[10:11], s[10:11], 2
	s_add_u32 s10, s40, s10
	v_pack_b32_f16 v5, v5, v4
	v_pack_b32_f16 v4, v7, v6
	v_add_u32_e32 v6, v111, v112
	s_addc_u32 s11, s41, s11
	ds_write_b64 v6, v[4:5]
	s_and_saveexec_b64 s[12:13], s[6:7]
	s_cbranch_execz .LBB21_21
; %bb.20:                               ;   in Loop: Header=BB21_11 Depth=1
	v_lshl_add_u64 v[4:5], v[92:93], 2, s[10:11]
	v_mov_b32_e32 v103, v85
	v_lshl_add_u64 v[4:5], v[4:5], 0, v[102:103]
	global_load_dwordx4 v[4:7], v[4:5], off offset:128
	s_waitcnt vmcnt(0)
	ds_write_b128 v113, v[4:7]
.LBB21_21:                              ;   in Loop: Header=BB21_11 Depth=1
	s_or_b64 exec, exec, s[12:13]
	v_lshlrev_b32_e32 v106, 2, v94
	s_and_saveexec_b64 s[12:13], s[8:9]
	s_cbranch_execz .LBB21_23
; %bb.22:                               ;   in Loop: Header=BB21_11 Depth=1
	v_lshl_add_u64 v[4:5], v[96:97], 2, s[10:11]
	v_mov_b32_e32 v107, v85
	v_lshl_add_u64 v[4:5], v[4:5], 0, v[106:107]
	global_load_dwordx4 v[4:7], v[4:5], off
	s_waitcnt vmcnt(0)
	ds_write_b128 v114, v[4:7]
.LBB21_23:                              ;   in Loop: Header=BB21_11 Depth=1
	s_or_b64 exec, exec, s[12:13]
	v_add_u32_e32 v124, 0x1000, v112
	v_add_u32_e32 v123, 0x1400, v112
	;; [unrolled: 1-line block ×3, first 2 shown]
	v_sub_f32_e32 v104, v10, v2
	v_sub_f32_e32 v105, v11, v3
	;; [unrolled: 1-line block ×4, first 2 shown]
	s_waitcnt lgkmcnt(0)
	s_barrier
	ds_read2_b64 v[60:63], v124 offset0:128 offset1:148
	ds_read_b128 v[64:67], v111
	ds_read_b128 v[52:55], v111 offset:16
	ds_read_b128 v[44:47], v111 offset:32
	;; [unrolled: 1-line block ×3, first 2 shown]
	ds_read2_b64 v[56:59], v124 offset0:168 offset1:188
	ds_read2_b64 v[48:51], v124 offset0:208 offset1:228
	;; [unrolled: 1-line block ×5, first 2 shown]
	ds_read_b128 v[36:39], v111 offset:64
	ds_read_b128 v[24:27], v111 offset:80
	ds_read2_b64 v[12:15], v122 offset0:112 offset1:132
	ds_read2_b64 v[4:7], v122 offset0:152 offset1:172
	ds_read_b128 v[16:19], v111 offset:96
	ds_read_b128 v[8:11], v111 offset:112
	s_or_b32 s36, s35, 16
	s_mul_hi_i32 s37, s36, s42
	s_mul_i32 s36, s36, s42
	s_lshl_b64 s[36:37], s[36:37], 2
	s_add_u32 s36, s40, s36
	v_cmp_ngt_f32_e64 s[22:23], s56, v125
	v_cmp_nlt_f32_e64 s[24:25], s57, v125
	v_cmp_ngt_f32_e64 s[18:19], s56, v107
	v_cmp_nlt_f32_e64 s[20:21], s57, v107
	;; [unrolled: 2-line block ×4, first 2 shown]
	s_addc_u32 s37, s41, s37
	s_waitcnt lgkmcnt(0)
	s_barrier
	s_and_saveexec_b64 s[38:39], s[6:7]
	s_cbranch_execz .LBB21_25
; %bb.24:                               ;   in Loop: Header=BB21_11 Depth=1
	v_lshl_add_u64 v[126:127], v[92:93], 2, s[36:37]
	v_mov_b32_e32 v103, v85
	v_lshl_add_u64 v[102:103], v[126:127], 0, v[102:103]
	global_load_dwordx4 v[126:129], v[102:103], off offset:128
	s_waitcnt vmcnt(0)
	ds_write_b128 v113, v[126:129]
.LBB21_25:                              ;   in Loop: Header=BB21_11 Depth=1
	s_or_b64 exec, exec, s[38:39]
	v_mul_f32_e32 v102, 0x3fb8aa3b, v125
	v_fma_f32 v103, v125, s53, -v102
	v_fmac_f32_e32 v103, 0x32a5705f, v125
	v_rndne_f32_e32 v125, v102
	v_sub_f32_e32 v102, v102, v125
	v_add_f32_e32 v102, v102, v103
	v_cvt_i32_f32_e32 v103, v125
	v_mul_f32_e32 v125, 0x3fb8aa3b, v107
	v_fma_f32 v126, v107, s53, -v125
	v_fmac_f32_e32 v126, 0x32a5705f, v107
	v_rndne_f32_e32 v107, v125
	v_exp_f32_e32 v102, v102
	v_sub_f32_e32 v125, v125, v107
	v_add_f32_e32 v125, v125, v126
	v_exp_f32_e32 v125, v125
	v_cvt_i32_f32_e32 v107, v107
	v_ldexp_f32 v102, v102, v103
	v_cndmask_b32_e64 v102, 0, v102, s[22:23]
	v_cndmask_b32_e64 v103, v115, v102, s[24:25]
	v_ldexp_f32 v102, v125, v107
	v_mul_f32_e32 v107, 0x3fb8aa3b, v105
	v_fma_f32 v125, v105, s53, -v107
	v_fmac_f32_e32 v125, 0x32a5705f, v105
	v_rndne_f32_e32 v105, v107
	v_sub_f32_e32 v107, v107, v105
	v_add_f32_e32 v107, v107, v125
	v_mul_f32_e32 v125, 0x3fb8aa3b, v104
	v_fma_f32 v126, v104, s53, -v125
	v_fmac_f32_e32 v126, 0x32a5705f, v104
	v_rndne_f32_e32 v104, v125
	v_sub_f32_e32 v125, v125, v104
	v_add_f32_e32 v125, v125, v126
	v_exp_f32_e32 v107, v107
	v_cvt_i32_f32_e32 v105, v105
	v_exp_f32_e32 v125, v125
	v_cvt_i32_f32_e32 v104, v104
	v_cndmask_b32_e64 v102, 0, v102, s[18:19]
	v_ldexp_f32 v105, v107, v105
	v_cndmask_b32_e64 v105, 0, v105, s[14:15]
	v_ldexp_f32 v104, v125, v104
	v_cndmask_b32_e64 v104, 0, v104, s[10:11]
	v_cndmask_b32_e64 v102, v115, v102, s[20:21]
	;; [unrolled: 1-line block ×4, first 2 shown]
	s_and_saveexec_b64 s[10:11], s[8:9]
	s_cbranch_execz .LBB21_27
; %bb.26:                               ;   in Loop: Header=BB21_11 Depth=1
	v_lshl_add_u64 v[126:127], v[96:97], 2, s[36:37]
	v_mov_b32_e32 v107, v85
	v_lshl_add_u64 v[106:107], v[126:127], 0, v[106:107]
	global_load_dwordx4 v[126:129], v[106:107], off
	s_waitcnt vmcnt(0)
	ds_write_b128 v114, v[126:129]
.LBB21_27:                              ;   in Loop: Header=BB21_11 Depth=1
	s_or_b64 exec, exec, s[10:11]
	v_cvt_f16_f32_e32 v126, v105
	v_cvt_f16_f32_e32 v106, v102
	v_cvt_f16_f32_e32 v107, v103
	v_cvt_f16_f32_e32 v125, v104
	v_pk_mul_f16 v71, v126, v71 op_sel_hi:[0,1]
	v_pk_mul_f16 v73, v126, v73 op_sel_hi:[0,1]
	;; [unrolled: 1-line block ×4, first 2 shown]
	v_pk_fma_f16 v89, v106, v89, v126 op_sel_hi:[0,1,1]
	v_pk_mul_f16 v106, v60, v64 op_sel:[0,1]
	v_pk_mul_f16 v74, v107, v74 op_sel_hi:[0,1]
	v_pk_mul_f16 v72, v125, v72 op_sel_hi:[0,1]
	v_pk_fma_f16 v77, v107, v77, v106 op_sel_hi:[0,1,1]
	v_pk_mul_f16 v106, v60, v65 op_sel_hi:[1,0]
	v_pk_fma_f16 v60, v60, v65, v71 op_sel:[0,1,0]
	v_pk_fma_f16 v75, v125, v75, v106 op_sel_hi:[0,1,1]
	v_pk_fma_f16 v71, v61, v64, v76 op_sel_hi:[1,0,1]
	v_pk_fma_f16 v64, v61, v64, v74 op_sel:[0,1,0]
	v_pk_fma_f16 v72, v61, v65, v72 op_sel_hi:[1,0,1]
	v_pk_fma_f16 v61, v61, v65, v73 op_sel:[0,1,0]
	;; [unrolled: 2-line block ×62, first 2 shown]
	s_waitcnt lgkmcnt(0)
	s_barrier
	ds_read2_b64 v[4:7], v124 offset0:128 offset1:148
	ds_read_b128 v[8:11], v111 offset:128
	ds_read_b128 v[12:15], v111 offset:144
	;; [unrolled: 1-line block ×4, first 2 shown]
	v_pk_fma_f32 v[78:79], v[78:79], v[104:105], v[98:99]
	v_pk_fma_f32 v[80:81], v[80:81], v[102:103], v[100:101]
	s_waitcnt lgkmcnt(3)
	v_pk_fma_f16 v24, v4, v8, v24 op_sel_hi:[1,0,1]
	v_pk_fma_f16 v25, v4, v8, v25 op_sel:[0,1,0]
	v_pk_fma_f16 v26, v4, v9, v26 op_sel_hi:[1,0,1]
	v_pk_fma_f16 v4, v4, v9, v27 op_sel:[0,1,0]
	;; [unrolled: 2-line block ×5, first 2 shown]
	v_pk_fma_f16 v31, v6, v11, v26 op_sel_hi:[1,0,1]
	ds_read2_b64 v[24:27], v124 offset0:168 offset1:188
	v_pk_fma_f16 v4, v6, v11, v4 op_sel:[0,1,0]
	v_pk_fma_f16 v6, v7, v10, v28 op_sel_hi:[1,0,1]
	v_pk_fma_f16 v8, v7, v10, v8 op_sel:[0,1,0]
	v_pk_fma_f16 v10, v7, v11, v29 op_sel_hi:[1,0,1]
	v_pk_fma_f16 v5, v7, v11, v5 op_sel:[0,1,0]
	s_waitcnt lgkmcnt(0)
	v_pk_fma_f16 v7, v24, v12, v9 op_sel_hi:[1,0,1]
	v_pk_fma_f16 v4, v24, v13, v4 op_sel:[0,1,0]
	v_pk_fma_f16 v9, v24, v12, v30 op_sel:[0,1,0]
	v_pk_fma_f16 v11, v24, v13, v31 op_sel_hi:[1,0,1]
	v_pk_fma_f16 v24, v25, v12, v6 op_sel_hi:[1,0,1]
	v_pk_fma_f16 v8, v25, v12, v8 op_sel:[0,1,0]
	v_pk_fma_f16 v10, v25, v13, v10 op_sel_hi:[1,0,1]
	v_pk_fma_f16 v12, v25, v13, v5 op_sel:[0,1,0]
	;; [unrolled: 2-line block ×3, first 2 shown]
	ds_read2_b64 v[4:7], v124 offset0:208 offset1:228
	v_pk_fma_f16 v9, v26, v14, v9 op_sel:[0,1,0]
	v_pk_fma_f16 v11, v26, v15, v11 op_sel_hi:[1,0,1]
	v_pk_fma_f16 v24, v27, v14, v24 op_sel_hi:[1,0,1]
	v_pk_fma_f16 v8, v27, v14, v8 op_sel:[0,1,0]
	v_pk_fma_f16 v10, v27, v15, v10 op_sel_hi:[1,0,1]
	v_pk_fma_f16 v12, v27, v15, v12 op_sel:[0,1,0]
	s_waitcnt lgkmcnt(0)
	v_pk_fma_f16 v13, v4, v16, v13 op_sel_hi:[1,0,1]
	v_pk_fma_f16 v9, v4, v16, v9 op_sel:[0,1,0]
	v_pk_fma_f16 v11, v4, v17, v11 op_sel_hi:[1,0,1]
	v_pk_fma_f16 v4, v4, v17, v25 op_sel:[0,1,0]
	;; [unrolled: 2-line block ×5, first 2 shown]
	v_pk_fma_f16 v17, v6, v19, v11 op_sel_hi:[1,0,1]
	ds_read2_b64 v[8:11], v123 offset0:120 offset1:140
	v_pk_fma_f16 v4, v6, v19, v4 op_sel:[0,1,0]
	v_pk_fma_f16 v6, v7, v18, v14 op_sel_hi:[1,0,1]
	v_pk_fma_f16 v14, v7, v18, v15 op_sel:[0,1,0]
	v_pk_fma_f16 v15, v7, v19, v16 op_sel_hi:[1,0,1]
	v_pk_fma_f16 v5, v7, v19, v5 op_sel:[0,1,0]
	s_waitcnt lgkmcnt(0)
	v_pk_fma_f16 v7, v8, v20, v12 op_sel_hi:[1,0,1]
	v_pk_fma_f16 v12, v8, v20, v13 op_sel:[0,1,0]
	v_pk_fma_f16 v13, v8, v21, v17 op_sel_hi:[1,0,1]
	v_pk_fma_f16 v4, v8, v21, v4 op_sel:[0,1,0]
	;; [unrolled: 2-line block ×6, first 2 shown]
	v_pk_fma_f16 v21, v11, v22, v6 op_sel_hi:[1,0,1]
	ds_read2_b64 v[4:7], v122 offset0:32 offset1:52
	ds_read_b128 v[12:15], v111 offset:192
	v_pk_fma_f16 v22, v11, v22, v8 op_sel:[0,1,0]
	v_pk_fma_f16 v16, v11, v23, v16 op_sel_hi:[1,0,1]
	v_pk_fma_f16 v23, v11, v23, v9 op_sel:[0,1,0]
	ds_read_b128 v[8:11], v111 offset:208
	s_waitcnt lgkmcnt(1)
	v_pk_fma_f16 v17, v4, v12, v17 op_sel_hi:[1,0,1]
	v_pk_fma_f16 v18, v4, v12, v18 op_sel:[0,1,0]
	v_pk_fma_f16 v19, v4, v13, v19 op_sel_hi:[1,0,1]
	v_pk_fma_f16 v4, v4, v13, v20 op_sel:[0,1,0]
	;; [unrolled: 2-line block ×5, first 2 shown]
	v_pk_fma_f16 v23, v6, v15, v19 op_sel_hi:[1,0,1]
	ds_read2_b64 v[16:19], v122 offset0:72 offset1:92
	v_pk_fma_f16 v4, v6, v15, v4 op_sel:[0,1,0]
	v_pk_fma_f16 v6, v7, v14, v20 op_sel_hi:[1,0,1]
	v_pk_fma_f16 v12, v7, v14, v12 op_sel:[0,1,0]
	v_pk_fma_f16 v14, v7, v15, v21 op_sel_hi:[1,0,1]
	v_pk_fma_f16 v5, v7, v15, v5 op_sel:[0,1,0]
	s_waitcnt lgkmcnt(0)
	v_pk_fma_f16 v7, v16, v8, v13 op_sel_hi:[1,0,1]
	v_pk_fma_f16 v13, v16, v8, v22 op_sel:[0,1,0]
	v_pk_fma_f16 v15, v16, v9, v23 op_sel_hi:[1,0,1]
	v_pk_fma_f16 v4, v16, v9, v4 op_sel:[0,1,0]
	;; [unrolled: 2-line block ×6, first 2 shown]
	v_pk_fma_f16 v22, v19, v10, v6 op_sel_hi:[1,0,1]
	ds_read2_b64 v[4:7], v122 offset0:112 offset1:132
	ds_read_b128 v[12:15], v111 offset:224
	v_pk_fma_f16 v23, v19, v10, v8 op_sel:[0,1,0]
	v_pk_fma_f16 v16, v19, v11, v16 op_sel_hi:[1,0,1]
	v_pk_fma_f16 v19, v19, v11, v9 op_sel:[0,1,0]
	ds_read_b128 v[8:11], v111 offset:240
	s_waitcnt lgkmcnt(1)
	v_pk_fma_f16 v17, v4, v12, v17 op_sel_hi:[1,0,1]
	v_pk_fma_f16 v20, v4, v12, v20 op_sel:[0,1,0]
	v_pk_fma_f16 v21, v4, v13, v21 op_sel_hi:[1,0,1]
	v_pk_fma_f16 v4, v4, v13, v18 op_sel:[0,1,0]
	;; [unrolled: 2-line block ×4, first 2 shown]
	v_pk_fma_f16 v13, v6, v14, v17 op_sel_hi:[1,0,1]
	ds_read2_b64 v[16:19], v122 offset0:152 offset1:172
	s_waitcnt lgkmcnt(0)
	s_barrier
	s_load_dword s10, s[28:29], 0x4
	v_pk_fma_f16 v20, v6, v14, v20 op_sel:[0,1,0]
	v_pk_fma_f16 v21, v6, v15, v21 op_sel_hi:[1,0,1]
	v_pk_fma_f16 v4, v6, v15, v4 op_sel:[0,1,0]
	v_pk_fma_f16 v6, v7, v14, v22 op_sel_hi:[1,0,1]
	;; [unrolled: 2-line block ×3, first 2 shown]
	v_pk_fma_f16 v5, v7, v15, v5 op_sel:[0,1,0]
	s_waitcnt lgkmcnt(0)
	s_lshl_b32 s10, s10, 5
	v_pk_fma_f16 v7, v16, v8, v13 op_sel_hi:[1,0,1]
	v_pk_fma_f16 v13, v16, v8, v20 op_sel:[0,1,0]
	v_pk_fma_f16 v15, v16, v9, v21 op_sel_hi:[1,0,1]
	v_pk_fma_f16 v4, v16, v9, v4 op_sel:[0,1,0]
	;; [unrolled: 2-line block ×4, first 2 shown]
	s_add_i32 s35, s10, s35
	v_pk_fma_f16 v89, v18, v10, v7 op_sel_hi:[1,0,1]
	v_pk_fma_f16 v77, v18, v10, v13 op_sel:[0,1,0]
	v_pk_fma_f16 v75, v18, v11, v15 op_sel_hi:[1,0,1]
	v_pk_fma_f16 v71, v18, v11, v4 op_sel:[0,1,0]
	;; [unrolled: 2-line block ×3, first 2 shown]
	v_pk_fma_f16 v72, v19, v11, v12 op_sel_hi:[1,0,1]
	s_cmp_ge_i32 s35, s52
	v_pk_fma_f16 v73, v19, v11, v5 op_sel:[0,1,0]
	s_cbranch_scc1 .LBB21_29
; %bb.28:                               ;   in Loop: Header=BB21_11 Depth=1
	v_mov_b32_e32 v8, v0
	v_mov_b32_e32 v9, v1
	;; [unrolled: 1-line block ×4, first 2 shown]
	s_branch .LBB21_11
.LBB21_29:
	v_cmp_lt_i32_e32 vcc, v119, v117
	s_cmp_lg_u64 s[44:45], 0
	s_cselect_b64 s[4:5], -1, 0
	v_cndmask_b32_e32 v4, v91, v119, vcc
	v_cmp_lt_i32_e32 vcc, v120, v117
	v_lshlrev_b32_e32 v7, 2, v4
	ds_bpermute_b32 v5, v7, v81
	v_cndmask_b32_e32 v4, v91, v120, vcc
	v_cmp_lt_i32_e32 vcc, v121, v117
	v_lshlrev_b32_e32 v11, 2, v4
	ds_bpermute_b32 v6, v7, v78
	v_cndmask_b32_e32 v4, v91, v121, vcc
	v_lshlrev_b32_e32 v12, 2, v4
	ds_bpermute_b32 v4, v7, v80
	ds_bpermute_b32 v7, v7, v79
	v_cmp_lt_i32_e32 vcc, v118, v117
	s_cmp_eq_u32 s3, 0
	s_cselect_b64 s[6:7], -1, 0
	s_waitcnt lgkmcnt(1)
	v_pk_add_f32 v[4:5], v[80:81], v[4:5]
	s_waitcnt lgkmcnt(0)
	v_pk_add_f32 v[6:7], v[78:79], v[6:7]
	ds_bpermute_b32 v8, v11, v4
	ds_bpermute_b32 v9, v11, v5
	;; [unrolled: 1-line block ×4, first 2 shown]
	v_cndmask_b32_e32 v13, v91, v118, vcc
	v_lshlrev_b32_e32 v13, 2, v13
	s_waitcnt lgkmcnt(2)
	v_pk_add_f32 v[4:5], v[4:5], v[8:9]
	ds_bpermute_b32 v8, v12, v4
	s_waitcnt lgkmcnt(1)
	v_pk_add_f32 v[6:7], v[6:7], v[10:11]
	ds_bpermute_b32 v9, v12, v5
	ds_bpermute_b32 v10, v12, v6
	;; [unrolled: 1-line block ×3, first 2 shown]
	v_cmp_lt_i32_e32 vcc, v116, v117
	s_and_b64 s[4:5], s[6:7], s[4:5]
	s_waitcnt lgkmcnt(2)
	v_pk_add_f32 v[4:5], v[4:5], v[8:9]
	ds_bpermute_b32 v8, v13, v4
	s_waitcnt lgkmcnt(1)
	v_pk_add_f32 v[6:7], v[6:7], v[10:11]
	ds_bpermute_b32 v9, v13, v5
	ds_bpermute_b32 v10, v13, v6
	;; [unrolled: 1-line block ×3, first 2 shown]
	v_cndmask_b32_e32 v12, v91, v116, vcc
	v_lshlrev_b32_e32 v13, 2, v12
	s_waitcnt lgkmcnt(2)
	v_pk_add_f32 v[4:5], v[4:5], v[8:9]
	ds_bpermute_b32 v8, v13, v4
	s_waitcnt lgkmcnt(1)
	v_pk_add_f32 v[10:11], v[6:7], v[10:11]
	ds_bpermute_b32 v9, v13, v5
	ds_bpermute_b32 v12, v13, v10
	;; [unrolled: 1-line block ×3, first 2 shown]
	s_and_b64 vcc, exec, s[4:5]
	s_waitcnt lgkmcnt(2)
	v_pk_add_f32 v[6:7], v[4:5], v[8:9]
	s_waitcnt lgkmcnt(0)
	v_pk_add_f32 v[4:5], v[10:11], v[12:13]
	s_cbranch_vccz .LBB21_31
; %bb.30:
	s_ashr_i32 s35, s34, 31
	s_lshl_b64 s[4:5], s[34:35], 2
	s_add_u32 s4, s44, s4
	s_addc_u32 s5, s45, s5
	v_mov_b32_e32 v8, 0
	global_load_dwordx4 v[8:11], v8, s[4:5]
	v_max_f32_e32 v12, v1, v1
	v_max_f32_e32 v14, v0, v0
	v_max_f32_e32 v15, v3, v3
	v_max_f32_e32 v17, v2, v2
	s_mov_b32 s5, 0x3fb8aa3b
	s_mov_b32 s2, 0xc2ce8ed0
	s_mov_b32 s4, 0x42b17218
	v_mov_b32_e32 v16, 0x7f800000
	s_waitcnt vmcnt(0)
	v_max_f32_e32 v13, v9, v9
	v_max_f32_e32 v18, v8, v8
	;; [unrolled: 1-line block ×6, first 2 shown]
	v_pk_add_f32 v[0:1], v[0:1], v[12:13] neg_lo:[0,1] neg_hi:[0,1]
	v_max_f32_e32 v15, v15, v19
	v_max_f32_e32 v14, v17, v20
	v_mul_f32_e32 v17, 0x3fb8aa3b, v1
	v_pk_add_f32 v[2:3], v[2:3], v[14:15] neg_lo:[0,1] neg_hi:[0,1]
	v_mul_f32_e32 v18, 0x3fb8aa3b, v0
	v_fma_f32 v23, v1, s5, -v17
	v_rndne_f32_e32 v24, v17
	v_mul_f32_e32 v19, 0x3fb8aa3b, v3
	v_fma_f32 v25, v0, s5, -v18
	v_rndne_f32_e32 v26, v18
	v_fmac_f32_e32 v23, 0x32a5705f, v1
	v_sub_f32_e32 v17, v17, v24
	v_mul_f32_e32 v20, 0x3fb8aa3b, v2
	v_fma_f32 v27, v3, s5, -v19
	v_rndne_f32_e32 v28, v19
	v_fmac_f32_e32 v25, 0x32a5705f, v0
	v_sub_f32_e32 v18, v18, v26
	v_add_f32_e32 v17, v17, v23
	v_fma_f32 v29, v2, s5, -v20
	v_rndne_f32_e32 v30, v20
	v_cvt_i32_f32_e32 v24, v24
	v_fmac_f32_e32 v27, 0x32a5705f, v3
	v_sub_f32_e32 v19, v19, v28
	v_add_f32_e32 v18, v18, v25
	v_exp_f32_e32 v17, v17
	v_cvt_i32_f32_e32 v26, v26
	v_fmac_f32_e32 v29, 0x32a5705f, v2
	v_sub_f32_e32 v20, v20, v30
	v_add_f32_e32 v19, v19, v27
	v_exp_f32_e32 v18, v18
	v_cvt_i32_f32_e32 v28, v28
	v_add_f32_e32 v20, v20, v29
	v_exp_f32_e32 v19, v19
	v_cvt_i32_f32_e32 v30, v30
	v_exp_f32_e32 v20, v20
	v_ldexp_f32 v17, v17, v24
	v_cmp_ngt_f32_e32 vcc, s2, v1
	v_ldexp_f32 v18, v18, v26
	v_ldexp_f32 v19, v19, v28
	v_cndmask_b32_e32 v17, 0, v17, vcc
	v_cmp_ngt_f32_e32 vcc, s2, v0
	v_ldexp_f32 v20, v20, v30
	v_pk_add_f32 v[10:11], v[10:11], v[14:15] neg_lo:[0,1] neg_hi:[0,1]
	v_cndmask_b32_e32 v18, 0, v18, vcc
	v_cmp_ngt_f32_e32 vcc, s2, v3
	v_mul_f32_e32 v21, 0x3fb8aa3b, v11
	v_mul_f32_e32 v22, 0x3fb8aa3b, v10
	v_cndmask_b32_e32 v19, 0, v19, vcc
	v_cmp_ngt_f32_e32 vcc, s2, v2
	v_fma_f32 v31, v11, s5, -v21
	v_rndne_f32_e32 v32, v21
	v_cndmask_b32_e32 v20, 0, v20, vcc
	v_cmp_nlt_f32_e32 vcc, s4, v1
	v_fma_f32 v33, v10, s5, -v22
	v_rndne_f32_e32 v34, v22
	v_cndmask_b32_e32 v1, v16, v17, vcc
	v_cmp_nlt_f32_e32 vcc, s4, v0
	v_fmac_f32_e32 v31, 0x32a5705f, v11
	v_sub_f32_e32 v21, v21, v32
	v_cndmask_b32_e32 v0, v16, v18, vcc
	v_cvt_f16_f32_e32 v17, v0
	v_cvt_f16_f32_e32 v18, v1
	v_cmp_nlt_f32_e32 vcc, s4, v3
	v_fmac_f32_e32 v33, 0x32a5705f, v10
	v_add_f32_e32 v21, v21, v31
	v_cndmask_b32_e32 v3, v16, v19, vcc
	v_cmp_nlt_f32_e32 vcc, s4, v2
	v_pk_mul_f16 v89, v17, v89 op_sel_hi:[0,1]
	v_pk_mul_f16 v76, v17, v76 op_sel_hi:[0,1]
	v_sub_f32_e32 v17, v22, v34
	v_cvt_i32_f32_e32 v32, v32
	v_exp_f32_e32 v21, v21
	v_cndmask_b32_e32 v2, v16, v20, vcc
	v_add_f32_e32 v17, v17, v33
	v_cvt_f16_f32_e32 v19, v2
	v_pk_mul_f16 v77, v18, v77 op_sel_hi:[0,1]
	v_pk_mul_f16 v74, v18, v74 op_sel_hi:[0,1]
	v_exp_f32_e32 v17, v17
	v_cvt_i32_f32_e32 v18, v34
	v_cvt_f16_f32_e32 v20, v3
	v_pk_add_f32 v[8:9], v[8:9], v[12:13] neg_lo:[0,1] neg_hi:[0,1]
	v_ldexp_f32 v21, v21, v32
	v_cmp_ngt_f32_e32 vcc, s2, v11
	v_pk_mul_f16 v75, v19, v75 op_sel_hi:[0,1]
	v_pk_mul_f16 v72, v19, v72 op_sel_hi:[0,1]
	v_cndmask_b32_e32 v19, 0, v21, vcc
	v_cmp_nlt_f32_e32 vcc, s4, v11
	v_ldexp_f32 v17, v17, v18
	v_mul_f32_e32 v18, 0x3fb8aa3b, v9
	v_pk_mul_f16 v71, v20, v71 op_sel_hi:[0,1]
	v_pk_mul_f16 v73, v20, v73 op_sel_hi:[0,1]
	v_cndmask_b32_e32 v11, v16, v19, vcc
	v_fma_f32 v19, v9, s5, -v18
	v_rndne_f32_e32 v20, v18
	v_fmac_f32_e32 v19, 0x32a5705f, v9
	v_sub_f32_e32 v18, v18, v20
	v_add_f32_e32 v18, v18, v19
	v_exp_f32_e32 v18, v18
	v_cvt_i32_f32_e32 v19, v20
	v_cmp_ngt_f32_e32 vcc, s2, v10
	s_nop 1
	v_cndmask_b32_e32 v17, 0, v17, vcc
	v_cmp_nlt_f32_e32 vcc, s4, v10
	s_nop 1
	v_cndmask_b32_e32 v10, v16, v17, vcc
	v_ldexp_f32 v17, v18, v19
	v_mul_f32_e32 v18, 0x3fb8aa3b, v8
	v_fma_f32 v19, v8, s5, -v18
	v_rndne_f32_e32 v20, v18
	v_fmac_f32_e32 v19, 0x32a5705f, v8
	v_sub_f32_e32 v18, v18, v20
	v_add_f32_e32 v18, v18, v19
	v_exp_f32_e32 v18, v18
	v_cvt_i32_f32_e32 v19, v20
	v_cmp_ngt_f32_e32 vcc, s2, v9
	v_pk_fma_f32 v[4:5], v[4:5], v[2:3], v[10:11]
	s_nop 0
	v_cndmask_b32_e32 v17, 0, v17, vcc
	v_cmp_nlt_f32_e32 vcc, s4, v9
	s_nop 1
	v_cndmask_b32_e32 v9, v16, v17, vcc
	v_ldexp_f32 v17, v18, v19
	v_cmp_ngt_f32_e32 vcc, s2, v8
	s_nop 1
	v_cndmask_b32_e32 v17, 0, v17, vcc
	v_cmp_nlt_f32_e32 vcc, s4, v8
	s_nop 1
	v_cndmask_b32_e32 v8, v16, v17, vcc
	v_pk_fma_f32 v[6:7], v[6:7], v[0:1], v[8:9]
	v_mov_b64_e32 v[0:1], v[12:13]
	v_mov_b64_e32 v[2:3], v[14:15]
.LBB21_31:
	v_cmp_gt_i32_e32 vcc, s30, v69
	s_and_saveexec_b64 s[4:5], vcc
	s_cbranch_execz .LBB21_48
; %bb.32:
	s_load_dword s2, s[0:1], 0xd4
	v_mov_b32_e32 v10, 1.0
	s_waitcnt lgkmcnt(0)
	s_cmp_lg_u32 s2, 1
	s_cselect_b64 s[0:1], -1, 0
	s_cmp_eq_u32 s2, 1
	s_cselect_b64 s[6:7], -1, 0
	s_and_b64 vcc, exec, s[0:1]
	s_cbranch_vccnz .LBB21_34
; %bb.33:
	v_div_scale_f32 v8, s[4:5], v6, v6, 1.0
	v_rcp_f32_e32 v9, v8
	v_div_scale_f32 v10, vcc, 1.0, v6, 1.0
	v_fma_f32 v11, -v8, v9, 1.0
	v_fmac_f32_e32 v9, v11, v9
	v_mul_f32_e32 v11, v10, v9
	v_fma_f32 v12, -v8, v11, v10
	v_fmac_f32_e32 v11, v12, v9
	v_fma_f32 v8, -v8, v11, v10
	v_div_fmas_f32 v8, v8, v9, v11
	v_div_fixup_f32 v10, v8, v6, 1.0
.LBB21_34:
	s_mul_i32 s33, s33, s30
	v_add_u32_e32 v8, s33, v69
	v_mul_lo_u32 v8, v8, s31
	v_add_u32_e32 v8, s34, v8
	v_mul_lo_u32 v11, s2, v8
	v_add_u32_e32 v8, s3, v11
	s_and_saveexec_b64 s[4:5], s[26:27]
	s_cbranch_execz .LBB21_36
; %bb.35:
	v_cvt_f32_f16_sdwa v15, v89 dst_sel:DWORD dst_unused:UNUSED_PAD src0_sel:WORD_1
	v_cvt_f32_f16_e32 v14, v89
	v_cvt_f32_f16_sdwa v17, v76 dst_sel:DWORD dst_unused:UNUSED_PAD src0_sel:WORD_1
	v_cvt_f32_f16_e32 v16, v76
	s_movk_i32 s8, 0x50
	v_mad_u64_u32 v[12:13], s[8:9], v8, s8, v[68:69]
	v_mov_b32_e32 v13, 0
	v_lshl_add_u64 v[18:19], v[12:13], 2, s[48:49]
	v_pk_mul_f32 v[12:13], v[10:11], v[14:15] op_sel_hi:[0,1]
	v_pk_mul_f32 v[14:15], v[10:11], v[16:17] op_sel_hi:[0,1]
	global_store_dwordx4 v[18:19], v[12:15], off
.LBB21_36:
	s_or_b64 exec, exec, s[4:5]
	v_cmp_eq_u32_e32 vcc, 0, v70
	s_and_b64 s[4:5], vcc, s[0:1]
	s_and_saveexec_b64 s[0:1], s[4:5]
	s_cbranch_execz .LBB21_38
; %bb.37:
	v_ashrrev_i32_e32 v9, 31, v8
	v_lshl_add_u64 v[8:9], v[8:9], 3, s[50:51]
	v_mov_b32_e32 v12, v0
	v_mov_b32_e32 v13, v6
	global_store_dwordx2 v[8:9], v[12:13], off
.LBB21_38:
	s_or_b64 exec, exec, s[0:1]
	v_cndmask_b32_e64 v0, 0, 1, s[6:7]
	v_cmp_ne_u32_e64 s[0:1], 1, v0
	s_andn2_b64 vcc, exec, s[6:7]
	v_mov_b32_e32 v0, 1.0
	s_cbranch_vccz .LBB21_49
; %bb.39:
	v_add_u32_e32 v10, s2, v11
	v_add_u32_e32 v8, s3, v10
	s_and_saveexec_b64 s[6:7], s[26:27]
	s_cbranch_execnz .LBB21_50
.LBB21_40:
	s_or_b64 exec, exec, s[6:7]
	s_and_saveexec_b64 s[6:7], s[4:5]
	s_cbranch_execnz .LBB21_51
.LBB21_41:
	s_or_b64 exec, exec, s[6:7]
	s_and_b64 vcc, exec, s[0:1]
	v_mov_b32_e32 v6, 1.0
	s_cbranch_vccz .LBB21_52
.LBB21_42:
	v_add_u32_e32 v7, s2, v10
	v_add_u32_e32 v0, s3, v7
	s_and_saveexec_b64 s[6:7], s[26:27]
	s_cbranch_execnz .LBB21_53
.LBB21_43:
	s_or_b64 exec, exec, s[6:7]
	s_and_saveexec_b64 s[6:7], s[4:5]
	s_cbranch_execnz .LBB21_54
.LBB21_44:
	s_or_b64 exec, exec, s[6:7]
	s_and_b64 vcc, exec, s[0:1]
	v_mov_b32_e32 v2, 1.0
	s_cbranch_vccz .LBB21_55
.LBB21_45:
	s_add_i32 s3, s3, s2
	v_add_u32_e32 v0, s3, v7
	s_and_saveexec_b64 s[0:1], s[26:27]
	s_cbranch_execnz .LBB21_56
.LBB21_46:
	s_or_b64 exec, exec, s[0:1]
	s_and_b64 exec, exec, s[4:5]
	s_cbranch_execz .LBB21_48
.LBB21_47:
	v_ashrrev_i32_e32 v1, 31, v0
	v_lshl_add_u64 v[0:1], v[0:1], 3, s[50:51]
	v_mov_b32_e32 v4, v3
	global_store_dwordx2 v[0:1], v[4:5], off
.LBB21_48:
	s_endpgm
.LBB21_49:
	v_div_scale_f32 v0, s[6:7], v7, v7, 1.0
	v_rcp_f32_e32 v6, v0
	v_div_scale_f32 v8, vcc, 1.0, v7, 1.0
	v_fma_f32 v9, -v0, v6, 1.0
	v_fmac_f32_e32 v6, v9, v6
	v_mul_f32_e32 v9, v8, v6
	v_fma_f32 v10, -v0, v9, v8
	v_fmac_f32_e32 v9, v10, v6
	v_fma_f32 v0, -v0, v9, v8
	v_div_fmas_f32 v0, v0, v6, v9
	v_div_fixup_f32 v0, v0, v7, 1.0
	v_add_u32_e32 v10, s2, v11
	v_add_u32_e32 v8, s3, v10
	s_and_saveexec_b64 s[6:7], s[26:27]
	s_cbranch_execz .LBB21_40
.LBB21_50:
	v_cvt_f32_f16_sdwa v15, v77 dst_sel:DWORD dst_unused:UNUSED_PAD src0_sel:WORD_1
	v_cvt_f32_f16_e32 v14, v77
	v_cvt_f32_f16_sdwa v17, v74 dst_sel:DWORD dst_unused:UNUSED_PAD src0_sel:WORD_1
	v_cvt_f32_f16_e32 v16, v74
	s_movk_i32 s8, 0x50
	v_mad_u64_u32 v[12:13], s[8:9], v8, s8, v[68:69]
	v_mov_b32_e32 v13, 0
	v_lshl_add_u64 v[18:19], v[12:13], 2, s[48:49]
	v_pk_mul_f32 v[12:13], v[0:1], v[14:15] op_sel_hi:[0,1]
	v_pk_mul_f32 v[14:15], v[0:1], v[16:17] op_sel_hi:[0,1]
	global_store_dwordx4 v[18:19], v[12:15], off
	s_or_b64 exec, exec, s[6:7]
	s_and_saveexec_b64 s[6:7], s[4:5]
	s_cbranch_execz .LBB21_41
.LBB21_51:
	v_ashrrev_i32_e32 v9, 31, v8
	v_lshl_add_u64 v[8:9], v[8:9], 3, s[50:51]
	v_mov_b32_e32 v6, v1
	global_store_dwordx2 v[8:9], v[6:7], off
	s_or_b64 exec, exec, s[6:7]
	s_and_b64 vcc, exec, s[0:1]
	v_mov_b32_e32 v6, 1.0
	s_cbranch_vccnz .LBB21_42
.LBB21_52:
	v_div_scale_f32 v0, s[6:7], v4, v4, 1.0
	v_rcp_f32_e32 v1, v0
	v_div_scale_f32 v6, vcc, 1.0, v4, 1.0
	v_fma_f32 v7, -v0, v1, 1.0
	v_fmac_f32_e32 v1, v7, v1
	v_mul_f32_e32 v7, v6, v1
	v_fma_f32 v8, -v0, v7, v6
	v_fmac_f32_e32 v7, v8, v1
	v_fma_f32 v0, -v0, v7, v6
	v_div_fmas_f32 v0, v0, v1, v7
	v_div_fixup_f32 v6, v0, v4, 1.0
	v_add_u32_e32 v7, s2, v10
	v_add_u32_e32 v0, s3, v7
	s_and_saveexec_b64 s[6:7], s[26:27]
	s_cbranch_execz .LBB21_43
.LBB21_53:
	v_cvt_f32_f16_sdwa v11, v75 dst_sel:DWORD dst_unused:UNUSED_PAD src0_sel:WORD_1
	v_cvt_f32_f16_e32 v10, v75
	v_cvt_f32_f16_sdwa v13, v72 dst_sel:DWORD dst_unused:UNUSED_PAD src0_sel:WORD_1
	v_cvt_f32_f16_e32 v12, v72
	s_movk_i32 s8, 0x50
	v_mad_u64_u32 v[8:9], s[8:9], v0, s8, v[68:69]
	v_mov_b32_e32 v9, 0
	v_lshl_add_u64 v[14:15], v[8:9], 2, s[48:49]
	v_pk_mul_f32 v[8:9], v[6:7], v[10:11] op_sel_hi:[0,1]
	v_pk_mul_f32 v[10:11], v[6:7], v[12:13] op_sel_hi:[0,1]
	global_store_dwordx4 v[14:15], v[8:11], off
	s_or_b64 exec, exec, s[6:7]
	s_and_saveexec_b64 s[6:7], s[4:5]
	s_cbranch_execz .LBB21_44
.LBB21_54:
	v_ashrrev_i32_e32 v1, 31, v0
	v_lshl_add_u64 v[0:1], v[0:1], 3, s[50:51]
	v_mov_b32_e32 v8, v2
	v_mov_b32_e32 v9, v4
	global_store_dwordx2 v[0:1], v[8:9], off
	s_or_b64 exec, exec, s[6:7]
	s_and_b64 vcc, exec, s[0:1]
	v_mov_b32_e32 v2, 1.0
	s_cbranch_vccnz .LBB21_45
.LBB21_55:
	v_div_scale_f32 v0, s[0:1], v5, v5, 1.0
	v_rcp_f32_e32 v1, v0
	v_div_scale_f32 v2, vcc, 1.0, v5, 1.0
	v_fma_f32 v4, -v0, v1, 1.0
	v_fmac_f32_e32 v1, v4, v1
	v_mul_f32_e32 v4, v2, v1
	v_fma_f32 v6, -v0, v4, v2
	v_fmac_f32_e32 v4, v6, v1
	v_fma_f32 v0, -v0, v4, v2
	v_div_fmas_f32 v0, v0, v1, v4
	v_div_fixup_f32 v2, v0, v5, 1.0
	s_add_i32 s3, s3, s2
	v_add_u32_e32 v0, s3, v7
	s_and_saveexec_b64 s[0:1], s[26:27]
	s_cbranch_execz .LBB21_46
.LBB21_56:
	v_cvt_f32_f16_sdwa v9, v71 dst_sel:DWORD dst_unused:UNUSED_PAD src0_sel:WORD_1
	v_cvt_f32_f16_e32 v8, v71
	v_cvt_f32_f16_sdwa v11, v73 dst_sel:DWORD dst_unused:UNUSED_PAD src0_sel:WORD_1
	v_cvt_f32_f16_e32 v10, v73
	s_movk_i32 s2, 0x50
	v_mad_u64_u32 v[6:7], s[2:3], v0, s2, v[68:69]
	v_mov_b32_e32 v7, 0
	v_lshl_add_u64 v[12:13], v[6:7], 2, s[48:49]
	v_pk_mul_f32 v[6:7], v[2:3], v[8:9] op_sel_hi:[0,1]
	v_pk_mul_f32 v[8:9], v[2:3], v[10:11] op_sel_hi:[0,1]
	global_store_dwordx4 v[12:13], v[6:9], off
	s_or_b64 exec, exec, s[0:1]
	s_and_b64 exec, exec, s[4:5]
	s_cbranch_execnz .LBB21_47
	s_branch .LBB21_48
	.section	.rodata,"a",@progbits
	.p2align	6, 0x0
	.amdhsa_kernel _ZL15flash_attn_tileILi80ELi80ELi8ELi4ELb0EEvPKcS1_S1_S1_S1_PKiPfP15HIP_vector_typeIfLj2EEffffjfiS5_IjLj3EEiiiiiiiiiiiliiliiiiil
		.amdhsa_group_segment_fixed_size 10432
		.amdhsa_private_segment_fixed_size 0
		.amdhsa_kernarg_size 464
		.amdhsa_user_sgpr_count 2
		.amdhsa_user_sgpr_dispatch_ptr 0
		.amdhsa_user_sgpr_queue_ptr 0
		.amdhsa_user_sgpr_kernarg_segment_ptr 1
		.amdhsa_user_sgpr_dispatch_id 0
		.amdhsa_user_sgpr_kernarg_preload_length 0
		.amdhsa_user_sgpr_kernarg_preload_offset 0
		.amdhsa_user_sgpr_private_segment_size 0
		.amdhsa_uses_dynamic_stack 0
		.amdhsa_enable_private_segment 0
		.amdhsa_system_sgpr_workgroup_id_x 1
		.amdhsa_system_sgpr_workgroup_id_y 1
		.amdhsa_system_sgpr_workgroup_id_z 1
		.amdhsa_system_sgpr_workgroup_info 0
		.amdhsa_system_vgpr_workitem_id 1
		.amdhsa_next_free_vgpr 130
		.amdhsa_next_free_sgpr 58
		.amdhsa_accum_offset 132
		.amdhsa_reserve_vcc 1
		.amdhsa_float_round_mode_32 0
		.amdhsa_float_round_mode_16_64 0
		.amdhsa_float_denorm_mode_32 3
		.amdhsa_float_denorm_mode_16_64 3
		.amdhsa_dx10_clamp 1
		.amdhsa_ieee_mode 1
		.amdhsa_fp16_overflow 0
		.amdhsa_tg_split 0
		.amdhsa_exception_fp_ieee_invalid_op 0
		.amdhsa_exception_fp_denorm_src 0
		.amdhsa_exception_fp_ieee_div_zero 0
		.amdhsa_exception_fp_ieee_overflow 0
		.amdhsa_exception_fp_ieee_underflow 0
		.amdhsa_exception_fp_ieee_inexact 0
		.amdhsa_exception_int_div_zero 0
	.end_amdhsa_kernel
	.section	.text._ZL15flash_attn_tileILi80ELi80ELi8ELi4ELb0EEvPKcS1_S1_S1_S1_PKiPfP15HIP_vector_typeIfLj2EEffffjfiS5_IjLj3EEiiiiiiiiiiiliiliiiiil,"axG",@progbits,_ZL15flash_attn_tileILi80ELi80ELi8ELi4ELb0EEvPKcS1_S1_S1_S1_PKiPfP15HIP_vector_typeIfLj2EEffffjfiS5_IjLj3EEiiiiiiiiiiiliiliiiiil,comdat
.Lfunc_end21:
	.size	_ZL15flash_attn_tileILi80ELi80ELi8ELi4ELb0EEvPKcS1_S1_S1_S1_PKiPfP15HIP_vector_typeIfLj2EEffffjfiS5_IjLj3EEiiiiiiiiiiiliiliiiiil, .Lfunc_end21-_ZL15flash_attn_tileILi80ELi80ELi8ELi4ELb0EEvPKcS1_S1_S1_S1_PKiPfP15HIP_vector_typeIfLj2EEffffjfiS5_IjLj3EEiiiiiiiiiiiliiliiiiil
                                        ; -- End function
	.section	.AMDGPU.csdata,"",@progbits
; Kernel info:
; codeLenInByte = 10792
; NumSgprs: 64
; NumVgprs: 130
; NumAgprs: 0
; TotalNumVgprs: 130
; ScratchSize: 0
; MemoryBound: 0
; FloatMode: 240
; IeeeMode: 1
; LDSByteSize: 10432 bytes/workgroup (compile time only)
; SGPRBlocks: 7
; VGPRBlocks: 16
; NumSGPRsForWavesPerEU: 64
; NumVGPRsForWavesPerEU: 130
; AccumOffset: 132
; Occupancy: 3
; WaveLimiterHint : 1
; COMPUTE_PGM_RSRC2:SCRATCH_EN: 0
; COMPUTE_PGM_RSRC2:USER_SGPR: 2
; COMPUTE_PGM_RSRC2:TRAP_HANDLER: 0
; COMPUTE_PGM_RSRC2:TGID_X_EN: 1
; COMPUTE_PGM_RSRC2:TGID_Y_EN: 1
; COMPUTE_PGM_RSRC2:TGID_Z_EN: 1
; COMPUTE_PGM_RSRC2:TIDIG_COMP_CNT: 1
; COMPUTE_PGM_RSRC3_GFX90A:ACCUM_OFFSET: 32
; COMPUTE_PGM_RSRC3_GFX90A:TG_SPLIT: 0
	.section	.text._ZL33flash_attn_stream_k_fixup_uniformILi80ELi8ELi4EEvPfPK15HIP_vector_typeIfLj2EEiiiiiiS1_IjLj3EES5_S5_,"axG",@progbits,_ZL33flash_attn_stream_k_fixup_uniformILi80ELi8ELi4EEvPfPK15HIP_vector_typeIfLj2EEiiiiiiS1_IjLj3EES5_S5_,comdat
	.globl	_ZL33flash_attn_stream_k_fixup_uniformILi80ELi8ELi4EEvPfPK15HIP_vector_typeIfLj2EEiiiiiiS1_IjLj3EES5_S5_ ; -- Begin function _ZL33flash_attn_stream_k_fixup_uniformILi80ELi8ELi4EEvPfPK15HIP_vector_typeIfLj2EEiiiiiiS1_IjLj3EES5_S5_
	.p2align	8
	.type	_ZL33flash_attn_stream_k_fixup_uniformILi80ELi8ELi4EEvPfPK15HIP_vector_typeIfLj2EEiiiiiiS1_IjLj3EES5_S5_,@function
_ZL33flash_attn_stream_k_fixup_uniformILi80ELi8ELi4EEvPfPK15HIP_vector_typeIfLj2EEiiiiiiS1_IjLj3EES5_S5_: ; @_ZL33flash_attn_stream_k_fixup_uniformILi80ELi8ELi4EEvPfPK15HIP_vector_typeIfLj2EEiiiiiiS1_IjLj3EES5_S5_
; %bb.0:
	s_load_dwordx8 s[8:15], s[0:1], 0x1c
	s_load_dwordx2 s[6:7], s[0:1], 0x10
	s_load_dwordx4 s[16:19], s[0:1], 0x3c
	s_waitcnt lgkmcnt(0)
	s_mul_hi_u32 s5, s11, s2
	s_add_i32 s5, s2, s5
	s_lshr_b32 s5, s5, s12
	s_mul_i32 s11, s5, s13
	s_sub_i32 s12, s2, s11
	s_mul_hi_u32 s11, s12, s14
	s_add_i32 s11, s12, s11
	s_lshr_b32 s11, s11, s15
	s_mul_i32 s13, s11, s16
	s_sub_i32 s12, s12, s13
	;; [unrolled: 5-line block ×3, first 2 shown]
	s_lshl_b32 s12, s16, 3
	s_lshl_b32 s17, s13, 2
	s_add_i32 s12, s12, s3
	s_cmp_lt_i32 s12, s6
	s_cselect_b64 s[12:13], -1, 0
	s_add_i32 s17, s17, s4
	s_cmp_lt_i32 s17, s9
	s_cselect_b64 s[14:15], -1, 0
	s_and_b64 s[12:13], s[12:13], s[14:15]
	s_andn2_b64 vcc, exec, s[12:13]
	s_cbranch_vccnz .LBB22_6
; %bb.1:
	s_load_dwordx4 s[12:15], s[0:1], 0x0
	s_mul_i32 s0, s5, s6
	s_mul_i32 s11, s11, s9
	s_add_i32 s0, s0, s3
	s_mul_i32 s0, s0, s7
	s_add_i32 s5, s17, s11
	;; [unrolled: 2-line block ×3, first 2 shown]
	s_mulk_i32 s1, 0x280
	s_mulk_i32 s0, 0x50
	s_add_i32 s0, s0, s1
	v_add_u32_e32 v4, s0, v0
	s_waitcnt lgkmcnt(0)
	v_mov_b32_e32 v2, s12
	v_mov_b32_e32 v3, s13
	v_ashrrev_i32_e32 v5, 31, v4
	v_lshl_add_u64 v[2:3], v[4:5], 2, v[2:3]
	global_load_dword v7, v[2:3], off
	s_mul_i32 s5, s2, s10
	s_lshl_b32 s11, s3, 2
	s_add_i32 s9, s5, s10
	s_add_i32 s0, s11, s4
	s_lshl_b32 s1, s9, 5
	s_add_i32 s0, s0, s1
	s_sub_i32 s0, s0, 32
	s_ashr_i32 s1, s0, 31
	s_lshl_b64 s[0:1], s[0:1], 3
	s_add_u32 s0, s14, s0
	s_addc_u32 s1, s15, s1
	s_load_dword s12, s[0:1], 0x4
	s_add_i32 s6, s9, -2
	s_cmp_lt_i32 s6, s5
	s_cbranch_scc1 .LBB22_4
; %bb.2:
	s_lshl_b32 s6, s8, 7
	s_ashr_i32 s7, s6, 31
	s_lshl_b64 s[6:7], s[6:7], 2
	s_add_u32 s6, s14, s6
	s_addc_u32 s7, s15, s7
	s_add_i32 s2, s2, 1
	s_load_dword s0, s[0:1], 0x0
	s_mul_i32 s1, s10, s2
	s_lshl_b32 s2, s1, 5
	s_add_i32 s2, s4, s2
	s_mulk_i32 s3, 0x140
	s_mulk_i32 s4, 0x50
	s_lshl_b32 s8, s8, 5
	s_mulk_i32 s1, 0xa00
	s_add_i32 s3, s4, s3
	s_add_i32 s2, s2, s8
	;; [unrolled: 1-line block ×4, first 2 shown]
	v_add_u32_e32 v0, s3, v0
	s_add_i32 s9, s9, -1
	s_sub_i32 s2, s2, 64
	v_add_u32_e32 v0, 0xffffec00, v0
	s_waitcnt lgkmcnt(0)
	v_mov_b32_e32 v6, s12
	v_mov_b32_e32 v5, s0
	s_mov_b32 s4, 0x3fb8aa3b
	s_mov_b32 s8, 0xc2ce8ed0
	;; [unrolled: 1-line block ×3, first 2 shown]
	v_mov_b32_e32 v4, 0x7f800000
	s_mov_b32 s11, 0xc1a00000
.LBB22_3:                               ; =>This Inner Loop Header: Depth=1
	v_ashrrev_i32_e32 v1, 31, v0
	v_lshl_add_u64 v[8:9], v[0:1], 2, s[6:7]
	global_load_dword v1, v[8:9], off
	s_ashr_i32 s3, s2, 31
	s_lshl_b64 s[0:1], s[2:3], 3
	s_add_u32 s0, s14, s0
	s_addc_u32 s1, s15, s1
	s_load_dwordx2 s[12:13], s[0:1], 0x0
	s_waitcnt vmcnt(1)
	v_mov_b32_e32 v8, v7
	v_max_f32_e32 v7, v5, v5
	v_mov_b32_e32 v9, v6
	s_add_i32 s9, s9, -1
	s_waitcnt lgkmcnt(0)
	v_max_f32_e64 v6, s12, s12
	v_max_f32_e32 v6, v7, v6
	v_sub_f32_e32 v10, s12, v6
	v_sub_f32_e32 v7, v5, v6
	v_mul_f32_e32 v11, 0x3fb8aa3b, v10
	v_mov_b32_e32 v5, v6
	v_mul_f32_e32 v6, 0x3fb8aa3b, v7
	v_fma_f32 v14, v10, s4, -v11
	v_rndne_f32_e32 v15, v11
	v_fma_f32 v12, v7, s4, -v6
	v_rndne_f32_e32 v13, v6
	v_fmac_f32_e32 v14, 0x32a5705f, v10
	v_sub_f32_e32 v11, v11, v15
	v_fmac_f32_e32 v12, 0x32a5705f, v7
	v_sub_f32_e32 v6, v6, v13
	v_add_f32_e32 v11, v11, v14
	v_cvt_i32_f32_e32 v15, v15
	v_add_f32_e32 v6, v6, v12
	v_exp_f32_e32 v11, v11
	v_cvt_i32_f32_e32 v13, v13
	v_exp_f32_e32 v6, v6
	v_cmp_ngt_f32_e32 vcc, s8, v10
	v_ldexp_f32 v11, v11, v15
	v_cmp_ngt_f32_e64 s[0:1], s8, v7
	v_ldexp_f32 v6, v6, v13
	v_cndmask_b32_e32 v11, 0, v11, vcc
	v_cmp_nlt_f32_e32 vcc, s10, v10
	v_cndmask_b32_e64 v6, 0, v6, s[0:1]
	v_cmp_nlt_f32_e64 s[0:1], s10, v7
	v_cndmask_b32_e32 v11, v4, v11, vcc
	v_cmp_le_f32_e32 vcc, s11, v10
	v_cndmask_b32_e64 v6, v4, v6, s[0:1]
	v_cmp_le_f32_e64 s[0:1], s11, v7
	v_cndmask_b32_e32 v7, 0, v11, vcc
	s_sub_i32 s2, s2, 32
	v_cndmask_b32_e64 v10, 0, v6, s[0:1]
	v_mul_f32_e32 v6, s13, v7
	v_add_u32_e32 v0, 0xfffff600, v0
	s_cmp_le_i32 s9, s5
	v_fmac_f32_e32 v6, v9, v10
	s_waitcnt vmcnt(0)
	v_mul_f32_e32 v7, v1, v7
	v_fmac_f32_e32 v7, v8, v10
	s_cbranch_scc0 .LBB22_3
	s_branch .LBB22_5
.LBB22_4:
	s_waitcnt lgkmcnt(0)
	v_mov_b32_e32 v6, s12
.LBB22_5:
	s_waitcnt vmcnt(0)
	v_div_scale_f32 v0, s[0:1], v6, v6, v7
	v_rcp_f32_e32 v1, v0
	v_div_scale_f32 v4, vcc, v7, v6, v7
	v_fma_f32 v5, -v0, v1, 1.0
	v_fmac_f32_e32 v1, v5, v1
	v_mul_f32_e32 v5, v4, v1
	v_fma_f32 v8, -v0, v5, v4
	v_fmac_f32_e32 v5, v8, v1
	v_fma_f32 v0, -v0, v5, v4
	v_div_fmas_f32 v0, v0, v1, v5
	v_div_fixup_f32 v0, v0, v6, v7
	global_store_dword v[2:3], v0, off
.LBB22_6:
	s_endpgm
	.section	.rodata,"a",@progbits
	.p2align	6, 0x0
	.amdhsa_kernel _ZL33flash_attn_stream_k_fixup_uniformILi80ELi8ELi4EEvPfPK15HIP_vector_typeIfLj2EEiiiiiiS1_IjLj3EES5_S5_
		.amdhsa_group_segment_fixed_size 0
		.amdhsa_private_segment_fixed_size 0
		.amdhsa_kernarg_size 76
		.amdhsa_user_sgpr_count 2
		.amdhsa_user_sgpr_dispatch_ptr 0
		.amdhsa_user_sgpr_queue_ptr 0
		.amdhsa_user_sgpr_kernarg_segment_ptr 1
		.amdhsa_user_sgpr_dispatch_id 0
		.amdhsa_user_sgpr_kernarg_preload_length 0
		.amdhsa_user_sgpr_kernarg_preload_offset 0
		.amdhsa_user_sgpr_private_segment_size 0
		.amdhsa_uses_dynamic_stack 0
		.amdhsa_enable_private_segment 0
		.amdhsa_system_sgpr_workgroup_id_x 1
		.amdhsa_system_sgpr_workgroup_id_y 1
		.amdhsa_system_sgpr_workgroup_id_z 1
		.amdhsa_system_sgpr_workgroup_info 0
		.amdhsa_system_vgpr_workitem_id 0
		.amdhsa_next_free_vgpr 16
		.amdhsa_next_free_sgpr 20
		.amdhsa_accum_offset 16
		.amdhsa_reserve_vcc 1
		.amdhsa_float_round_mode_32 0
		.amdhsa_float_round_mode_16_64 0
		.amdhsa_float_denorm_mode_32 3
		.amdhsa_float_denorm_mode_16_64 3
		.amdhsa_dx10_clamp 1
		.amdhsa_ieee_mode 1
		.amdhsa_fp16_overflow 0
		.amdhsa_tg_split 0
		.amdhsa_exception_fp_ieee_invalid_op 0
		.amdhsa_exception_fp_denorm_src 0
		.amdhsa_exception_fp_ieee_div_zero 0
		.amdhsa_exception_fp_ieee_overflow 0
		.amdhsa_exception_fp_ieee_underflow 0
		.amdhsa_exception_fp_ieee_inexact 0
		.amdhsa_exception_int_div_zero 0
	.end_amdhsa_kernel
	.section	.text._ZL33flash_attn_stream_k_fixup_uniformILi80ELi8ELi4EEvPfPK15HIP_vector_typeIfLj2EEiiiiiiS1_IjLj3EES5_S5_,"axG",@progbits,_ZL33flash_attn_stream_k_fixup_uniformILi80ELi8ELi4EEvPfPK15HIP_vector_typeIfLj2EEiiiiiiS1_IjLj3EES5_S5_,comdat
.Lfunc_end22:
	.size	_ZL33flash_attn_stream_k_fixup_uniformILi80ELi8ELi4EEvPfPK15HIP_vector_typeIfLj2EEiiiiiiS1_IjLj3EES5_S5_, .Lfunc_end22-_ZL33flash_attn_stream_k_fixup_uniformILi80ELi8ELi4EEvPfPK15HIP_vector_typeIfLj2EEiiiiiiS1_IjLj3EES5_S5_
                                        ; -- End function
	.section	.AMDGPU.csdata,"",@progbits
; Kernel info:
; codeLenInByte = 836
; NumSgprs: 26
; NumVgprs: 16
; NumAgprs: 0
; TotalNumVgprs: 16
; ScratchSize: 0
; MemoryBound: 0
; FloatMode: 240
; IeeeMode: 1
; LDSByteSize: 0 bytes/workgroup (compile time only)
; SGPRBlocks: 3
; VGPRBlocks: 1
; NumSGPRsForWavesPerEU: 26
; NumVGPRsForWavesPerEU: 16
; AccumOffset: 16
; Occupancy: 8
; WaveLimiterHint : 0
; COMPUTE_PGM_RSRC2:SCRATCH_EN: 0
; COMPUTE_PGM_RSRC2:USER_SGPR: 2
; COMPUTE_PGM_RSRC2:TRAP_HANDLER: 0
; COMPUTE_PGM_RSRC2:TGID_X_EN: 1
; COMPUTE_PGM_RSRC2:TGID_Y_EN: 1
; COMPUTE_PGM_RSRC2:TGID_Z_EN: 1
; COMPUTE_PGM_RSRC2:TIDIG_COMP_CNT: 0
; COMPUTE_PGM_RSRC3_GFX90A:ACCUM_OFFSET: 3
; COMPUTE_PGM_RSRC3_GFX90A:TG_SPLIT: 0
	.section	.text._ZL33flash_attn_stream_k_fixup_generalILi80ELi8ELi4EEvPfPK15HIP_vector_typeIfLj2EEiiiiS1_IjLj3EES5_S5_S5_,"axG",@progbits,_ZL33flash_attn_stream_k_fixup_generalILi80ELi8ELi4EEvPfPK15HIP_vector_typeIfLj2EEiiiiS1_IjLj3EES5_S5_S5_,comdat
	.globl	_ZL33flash_attn_stream_k_fixup_generalILi80ELi8ELi4EEvPfPK15HIP_vector_typeIfLj2EEiiiiS1_IjLj3EES5_S5_S5_ ; -- Begin function _ZL33flash_attn_stream_k_fixup_generalILi80ELi8ELi4EEvPfPK15HIP_vector_typeIfLj2EEiiiiS1_IjLj3EES5_S5_S5_
	.p2align	8
	.type	_ZL33flash_attn_stream_k_fixup_generalILi80ELi8ELi4EEvPfPK15HIP_vector_typeIfLj2EEiiiiS1_IjLj3EES5_S5_S5_,@function
_ZL33flash_attn_stream_k_fixup_generalILi80ELi8ELi4EEvPfPK15HIP_vector_typeIfLj2EEiiiiS1_IjLj3EES5_S5_S5_: ; @_ZL33flash_attn_stream_k_fixup_generalILi80ELi8ELi4EEvPfPK15HIP_vector_typeIfLj2EEiiiiS1_IjLj3EES5_S5_S5_
; %bb.0:
	s_load_dwordx4 s[12:15], s[0:1], 0x10
	s_load_dword s22, s[0:1], 0x50
	s_mov_b32 s8, 0
	s_waitcnt lgkmcnt(0)
	s_mul_hi_i32 s9, s15, s2
	s_cmp_lg_u64 s[8:9], 0
	s_mul_i32 s5, s15, s2
	s_cbranch_scc0 .LBB23_21
; %bb.1:
	v_cvt_f32_u32_e32 v1, s22
	v_cvt_f32_ubyte0_e32 v2, 0
	s_sub_u32 s8, 0, s22
	s_subb_u32 s10, 0, 0
	v_fmamk_f32 v1, v2, 0x4f800000, v1
	v_rcp_f32_e32 v1, v1
	s_nop 0
	v_mul_f32_e32 v1, 0x5f7ffffc, v1
	v_mul_f32_e32 v2, 0x2f800000, v1
	v_trunc_f32_e32 v2, v2
	v_fmamk_f32 v1, v2, 0xcf800000, v1
	v_cvt_u32_f32_e32 v2, v2
	v_cvt_u32_f32_e32 v1, v1
	v_readfirstlane_b32 s11, v2
	v_readfirstlane_b32 s16, v1
	s_mul_i32 s17, s8, s11
	s_mul_hi_u32 s19, s8, s16
	s_mul_i32 s18, s10, s16
	s_add_i32 s17, s19, s17
	s_add_i32 s17, s17, s18
	s_mul_i32 s20, s8, s16
	s_mul_hi_u32 s18, s16, s17
	s_mul_i32 s19, s16, s17
	s_mul_hi_u32 s16, s16, s20
	s_add_u32 s16, s16, s19
	s_addc_u32 s18, 0, s18
	s_mul_hi_u32 s21, s11, s20
	s_mul_i32 s20, s11, s20
	s_add_u32 s16, s16, s20
	s_mul_hi_u32 s19, s11, s17
	s_addc_u32 s16, s18, s21
	s_addc_u32 s18, s19, 0
	s_mul_i32 s17, s11, s17
	s_add_u32 s16, s16, s17
	s_addc_u32 s17, 0, s18
	v_add_co_u32_e32 v1, vcc, s16, v1
	s_cmp_lg_u64 vcc, 0
	s_addc_u32 s11, s11, s17
	v_readfirstlane_b32 s17, v1
	s_mul_i32 s16, s8, s11
	s_mul_hi_u32 s18, s8, s17
	s_add_i32 s16, s18, s16
	s_mul_i32 s10, s10, s17
	s_add_i32 s16, s16, s10
	s_mul_i32 s8, s8, s17
	s_mul_hi_u32 s18, s11, s8
	s_mul_i32 s19, s11, s8
	s_mul_i32 s21, s17, s16
	s_mul_hi_u32 s8, s17, s8
	s_mul_hi_u32 s20, s17, s16
	s_add_u32 s8, s8, s21
	s_addc_u32 s17, 0, s20
	s_add_u32 s8, s8, s19
	s_mul_hi_u32 s10, s11, s16
	s_addc_u32 s8, s17, s18
	s_addc_u32 s10, s10, 0
	s_mul_i32 s16, s11, s16
	s_add_u32 s8, s8, s16
	s_addc_u32 s10, 0, s10
	v_add_co_u32_e32 v1, vcc, s8, v1
	s_cmp_lg_u64 vcc, 0
	s_addc_u32 s16, s11, s10
	s_ashr_i32 s10, s9, 31
	s_add_u32 s8, s5, s10
	s_mov_b32 s11, s10
	s_addc_u32 s9, s9, s10
	s_xor_b64 s[8:9], s[8:9], s[10:11]
	v_readfirstlane_b32 s19, v1
	s_mul_i32 s18, s8, s16
	s_mul_hi_u32 s20, s8, s19
	s_mul_hi_u32 s17, s8, s16
	s_add_u32 s18, s20, s18
	s_addc_u32 s17, 0, s17
	s_mul_hi_u32 s21, s9, s19
	s_mul_i32 s19, s9, s19
	s_add_u32 s18, s18, s19
	s_mul_hi_u32 s20, s9, s16
	s_addc_u32 s17, s17, s21
	s_addc_u32 s18, s20, 0
	s_mul_i32 s16, s9, s16
	s_add_u32 s16, s17, s16
	s_addc_u32 s17, 0, s18
	s_add_u32 s18, s16, 1
	s_addc_u32 s19, s17, 0
	s_add_u32 s20, s16, 2
	s_mul_i32 s23, s22, s17
	s_mul_hi_u32 s24, s22, s16
	s_addc_u32 s21, s17, 0
	s_add_i32 s24, s24, s23
	s_mul_i32 s23, s22, s16
	v_mov_b32_e32 v1, s23
	v_sub_co_u32_e32 v1, vcc, s8, v1
	s_cmp_lg_u64 vcc, 0
	s_subb_u32 s8, s9, s24
	v_subrev_co_u32_e32 v2, vcc, s22, v1
	s_cmp_lg_u64 vcc, 0
	s_subb_u32 s9, s8, 0
	v_readfirstlane_b32 s23, v2
	s_cmp_ge_u32 s23, s22
	s_cselect_b32 s23, -1, 0
	s_cmp_eq_u32 s9, 0
	s_cselect_b32 s9, s23, -1
	s_cmp_lg_u32 s9, 0
	s_cselect_b32 s9, s21, s19
	v_readfirstlane_b32 s19, v1
	s_cselect_b32 s18, s20, s18
	s_cmp_ge_u32 s19, s22
	s_cselect_b32 s19, -1, 0
	s_cmp_eq_u32 s8, 0
	s_cselect_b32 s8, s19, -1
	s_cmp_lg_u32 s8, 0
	s_cselect_b32 s9, s9, s17
	s_cselect_b32 s8, s18, s16
	s_xor_b64 s[8:9], s[8:9], s[10:11]
	s_sub_u32 s20, s8, s10
	s_load_dwordx4 s[16:19], s[0:1], 0x44
	s_cbranch_execnz .LBB23_3
.LBB23_2:
	v_cvt_f32_u32_e32 v1, s22
	s_sub_i32 s6, 0, s22
	v_rcp_iflag_f32_e32 v1, v1
	s_nop 0
	v_mul_f32_e32 v1, 0x4f7ffffe, v1
	v_cvt_u32_f32_e32 v1, v1
	s_nop 0
	v_readfirstlane_b32 s7, v1
	s_mul_i32 s6, s6, s7
	s_mul_hi_u32 s6, s7, s6
	s_add_i32 s7, s7, s6
	s_mul_hi_u32 s6, s5, s7
	s_mul_i32 s8, s6, s22
	s_sub_i32 s5, s5, s8
	s_add_i32 s7, s6, 1
	s_sub_i32 s8, s5, s22
	s_cmp_ge_u32 s5, s22
	s_cselect_b32 s6, s7, s6
	s_cselect_b32 s5, s8, s5
	s_add_i32 s7, s6, 1
	s_cmp_ge_u32 s5, s22
	s_cselect_b32 s20, s7, s6
.LBB23_3:
	s_add_i32 s5, s2, 1
	s_mul_hi_i32 s9, s15, s5
	s_mov_b32 s8, 0
	s_cmp_lg_u64 s[8:9], 0
	s_mul_i32 s5, s15, s5
	s_cbranch_scc0 .LBB23_22
; %bb.4:
	v_cvt_f32_u32_e32 v1, s22
	v_cvt_f32_ubyte0_e32 v2, 0
	s_sub_u32 s8, 0, s22
	s_subb_u32 s10, 0, 0
	v_fmamk_f32 v1, v2, 0x4f800000, v1
	v_rcp_f32_e32 v1, v1
	s_nop 0
	v_mul_f32_e32 v1, 0x5f7ffffc, v1
	v_mul_f32_e32 v2, 0x2f800000, v1
	v_trunc_f32_e32 v2, v2
	v_fmamk_f32 v1, v2, 0xcf800000, v1
	v_cvt_u32_f32_e32 v2, v2
	v_cvt_u32_f32_e32 v1, v1
	v_readfirstlane_b32 s11, v2
	s_waitcnt lgkmcnt(0)
	v_readfirstlane_b32 s19, v1
	s_mul_i32 s21, s8, s11
	s_mul_hi_u32 s24, s8, s19
	s_mul_i32 s23, s10, s19
	s_add_i32 s21, s24, s21
	s_add_i32 s21, s21, s23
	s_mul_i32 s25, s8, s19
	s_mul_hi_u32 s23, s19, s21
	s_mul_i32 s24, s19, s21
	s_mul_hi_u32 s19, s19, s25
	s_add_u32 s19, s19, s24
	s_addc_u32 s23, 0, s23
	s_mul_hi_u32 s26, s11, s25
	s_mul_i32 s25, s11, s25
	s_add_u32 s19, s19, s25
	s_mul_hi_u32 s24, s11, s21
	s_addc_u32 s19, s23, s26
	s_addc_u32 s23, s24, 0
	s_mul_i32 s21, s11, s21
	s_add_u32 s19, s19, s21
	s_addc_u32 s21, 0, s23
	v_add_co_u32_e32 v1, vcc, s19, v1
	s_cmp_lg_u64 vcc, 0
	s_addc_u32 s11, s11, s21
	v_readfirstlane_b32 s21, v1
	s_mul_i32 s19, s8, s11
	s_mul_hi_u32 s23, s8, s21
	s_add_i32 s19, s23, s19
	s_mul_i32 s10, s10, s21
	s_add_i32 s19, s19, s10
	s_mul_i32 s8, s8, s21
	s_mul_hi_u32 s23, s11, s8
	s_mul_i32 s24, s11, s8
	s_mul_i32 s26, s21, s19
	s_mul_hi_u32 s8, s21, s8
	s_mul_hi_u32 s25, s21, s19
	s_add_u32 s8, s8, s26
	s_addc_u32 s21, 0, s25
	s_add_u32 s8, s8, s24
	s_mul_hi_u32 s10, s11, s19
	s_addc_u32 s8, s21, s23
	s_addc_u32 s10, s10, 0
	s_mul_i32 s19, s11, s19
	s_add_u32 s8, s8, s19
	s_addc_u32 s10, 0, s10
	v_add_co_u32_e32 v1, vcc, s8, v1
	s_cmp_lg_u64 vcc, 0
	s_addc_u32 s19, s11, s10
	s_ashr_i32 s10, s9, 31
	s_add_u32 s8, s5, s10
	s_mov_b32 s11, s10
	s_addc_u32 s9, s9, s10
	s_xor_b64 s[8:9], s[8:9], s[10:11]
	v_readfirstlane_b32 s23, v1
	s_mul_i32 s21, s8, s19
	s_mul_hi_u32 s24, s8, s23
	s_mul_hi_u32 s11, s8, s19
	s_add_u32 s21, s24, s21
	s_addc_u32 s11, 0, s11
	s_mul_hi_u32 s25, s9, s23
	s_mul_i32 s23, s9, s23
	s_add_u32 s21, s21, s23
	s_mul_hi_u32 s24, s9, s19
	s_addc_u32 s11, s11, s25
	s_addc_u32 s21, s24, 0
	s_mul_i32 s19, s9, s19
	s_add_u32 s11, s11, s19
	s_addc_u32 s19, 0, s21
	s_mul_i32 s19, s22, s19
	s_mul_hi_u32 s24, s22, s11
	s_add_i32 s24, s24, s19
	s_mul_i32 s19, s22, s11
	v_mov_b32_e32 v1, s19
	s_add_u32 s21, s11, 1
	s_add_u32 s23, s11, 2
	v_sub_co_u32_e32 v1, vcc, s8, v1
	s_cmp_lg_u64 vcc, 0
	s_subb_u32 s8, s9, s24
	v_subrev_co_u32_e32 v2, vcc, s22, v1
	s_cmp_lg_u64 vcc, 0
	s_subb_u32 s9, s8, 0
	v_cmp_le_u32_e32 vcc, s22, v2
	s_cmp_eq_u32 s9, 0
	v_mov_b32_e32 v3, s21
	v_cndmask_b32_e64 v2, 0, -1, vcc
	s_cselect_b64 vcc, -1, 0
	v_cndmask_b32_e32 v2, -1, v2, vcc
	v_mov_b32_e32 v4, s23
	v_cmp_ne_u32_e32 vcc, 0, v2
	s_cmp_eq_u32 s8, 0
	s_nop 0
	v_cndmask_b32_e32 v2, v3, v4, vcc
	v_cmp_le_u32_e32 vcc, s22, v1
	v_mov_b32_e32 v3, s11
	s_nop 0
	v_cndmask_b32_e64 v1, 0, -1, vcc
	s_cselect_b64 vcc, -1, 0
	v_cndmask_b32_e32 v1, -1, v1, vcc
	v_cmp_ne_u32_e32 vcc, 0, v1
	s_nop 1
	v_cndmask_b32_e32 v1, v3, v2, vcc
	v_xor_b32_e32 v1, s10, v1
	v_subrev_co_u32_e32 v2, vcc, s10, v1
	s_cbranch_execnz .LBB23_6
.LBB23_5:
	v_cvt_f32_u32_e32 v1, s22
	s_sub_i32 s6, 0, s22
	s_mov_b32 s7, 0
	v_rcp_iflag_f32_e32 v1, v1
	s_nop 0
	v_mul_f32_e32 v1, 0x4f7ffffe, v1
	v_cvt_u32_f32_e32 v1, v1
	s_nop 0
	v_readfirstlane_b32 s8, v1
	s_mul_i32 s6, s6, s8
	s_mul_hi_u32 s6, s8, s6
	s_add_i32 s8, s8, s6
	s_mul_hi_u32 s6, s5, s8
	s_mul_i32 s9, s6, s22
	s_sub_i32 s5, s5, s9
	s_add_i32 s8, s6, 1
	s_sub_i32 s9, s5, s22
	s_cmp_ge_u32 s5, s22
	s_cselect_b32 s6, s8, s6
	s_cselect_b32 s5, s9, s5
	s_add_i32 s8, s6, 1
	s_cmp_ge_u32 s5, s22
	s_cselect_b32 s6, s8, s6
	v_mov_b64_e32 v[2:3], s[6:7]
.LBB23_6:
	s_waitcnt lgkmcnt(0)
	s_mul_hi_u32 s5, s20, s16
	s_add_i32 s5, s5, s20
	v_mul_hi_u32 v1, v2, s16
	s_lshr_b32 s19, s5, s17
	v_add_u32_e32 v1, v1, v2
	s_mul_i32 s5, s19, s18
	v_lshrrev_b32_e32 v1, s17, v1
	s_cmp_eq_u32 s5, s20
	v_cmp_eq_u32_e64 s[6:7], s19, v1
	v_mul_lo_u32 v1, v1, s18
	v_cmp_eq_u32_e32 vcc, s20, v2
	s_cselect_b64 s[10:11], -1, 0
	v_cmp_ne_u32_e64 s[8:9], v1, v2
	s_and_b64 s[6:7], s[6:7], s[8:9]
	s_or_b64 s[8:9], vcc, s[10:11]
	s_or_b64 s[6:7], s[8:9], s[6:7]
	s_and_b64 vcc, exec, s[6:7]
	s_cbranch_vccnz .LBB23_24
; %bb.7:
	s_load_dwordx8 s[24:31], s[0:1], 0x20
	s_load_dword s5, s[0:1], 0x40
	s_waitcnt lgkmcnt(0)
	s_mul_hi_u32 s6, s20, s24
	s_add_i32 s6, s6, s20
	s_lshr_b32 s7, s6, s25
	s_mul_i32 s6, s7, s26
	s_sub_i32 s6, s20, s6
	s_mul_hi_u32 s8, s6, s27
	s_add_i32 s8, s6, s8
	s_lshr_b32 s23, s8, s28
	s_mul_i32 s8, s23, s29
	s_sub_i32 s6, s6, s8
	;; [unrolled: 5-line block ×3, first 2 shown]
	s_mul_hi_u32 s6, s5, s16
	s_add_i32 s5, s5, s6
	s_lshr_b32 s24, s5, s17
	s_lshl_b32 s5, s24, 3
	s_lshl_b32 s25, s8, 2
	s_add_i32 s5, s5, s3
	s_cmp_lt_i32 s5, s12
	s_cselect_b64 s[8:9], -1, 0
	s_add_i32 s25, s25, s4
	s_cmp_lt_i32 s25, s14
	s_cselect_b64 s[10:11], -1, 0
	s_and_b64 s[8:9], s[8:9], s[10:11]
	s_andn2_b64 vcc, exec, s[8:9]
	s_mov_b32 s6, 0
	s_cbranch_vccnz .LBB23_24
; %bb.8:
	s_load_dwordx4 s[8:11], s[0:1], 0x0
	s_lshl_b32 s21, s3, 2
	s_lshl_b32 s0, s22, 7
	s_mov_b32 s1, s6
	s_add_i32 s21, s21, s4
	s_lshl_b64 s[0:1], s[0:1], 2
	s_waitcnt lgkmcnt(0)
	s_add_u32 s4, s10, s0
	s_mul_i32 s0, s7, s12
	s_addc_u32 s5, s11, s1
	s_mul_i32 s23, s23, s14
	s_add_i32 s0, s0, s3
	s_mul_i32 s0, s0, s13
	s_add_i32 s3, s25, s23
	;; [unrolled: 2-line block ×3, first 2 shown]
	s_mulk_i32 s1, 0x280
	s_mulk_i32 s0, 0x50
	s_add_i32 s1, s1, s0
	v_add_u32_e32 v4, s1, v0
	v_mov_b32_e32 v2, s8
	v_mov_b32_e32 v3, s9
	v_ashrrev_i32_e32 v5, 31, v4
	v_lshl_add_u64 v[2:3], v[4:5], 2, v[2:3]
	global_load_dword v5, v[2:3], off
	s_lshl_b32 s0, s2, 5
	s_add_i32 s0, s21, s0
	s_ashr_i32 s1, s0, 31
	s_lshl_b64 s[0:1], s[0:1], 3
	s_add_u32 s0, s10, s0
	s_addc_u32 s1, s11, s1
	s_add_i32 s12, s2, -1
	s_mul_i32 s2, s21, 0x50
	v_add_u32_e32 v4, s2, v0
	v_cvt_f32_u32_e32 v0, s22
	v_cvt_f32_ubyte0_e32 v1, 0
	s_load_dwordx2 s[0:1], s[0:1], 0x0
	v_mov_b32_e32 v8, s20
	v_fmac_f32_e32 v0, 0x4f800000, v1
	v_rcp_f32_e32 v0, v0
	v_cvt_f32_u32_e32 v1, s22
	s_waitcnt lgkmcnt(0)
	v_mov_b32_e32 v6, s1
	v_mov_b32_e32 v7, s0
	v_mul_f32_e32 v0, 0x5f7ffffc, v0
	v_rcp_iflag_f32_e32 v1, v1
	v_mul_f32_e32 v9, 0x2f800000, v0
	v_trunc_f32_e32 v10, v9
	v_fmac_f32_e32 v0, 0xcf800000, v10
	v_cvt_u32_f32_e32 v9, v0
	v_mul_f32_e32 v0, 0x4f7ffffe, v1
	v_cvt_u32_f32_e32 v10, v10
	v_cvt_u32_f32_e32 v11, v0
	s_mov_b32 s8, 0x3fb8aa3b
	s_mov_b32 s9, 0xc2ce8ed0
	;; [unrolled: 1-line block ×4, first 2 shown]
	v_mov_b32_e32 v12, 0x7f800000
	s_mul_hi_i32 s7, s12, s15
	s_cmp_lg_u64 s[6:7], 0
	s_mul_i32 s2, s12, s15
	s_cbranch_scc0 .LBB23_15
.LBB23_9:
	s_sub_u32 s0, 0, s22
	v_readfirstlane_b32 s3, v9
	v_readfirstlane_b32 s24, v10
	s_subb_u32 s1, 0, 0
	s_mul_hi_u32 s23, s0, s3
	s_mul_i32 s25, s0, s24
	s_mul_i32 s20, s1, s3
	s_add_i32 s23, s23, s25
	s_add_i32 s23, s23, s20
	s_mul_i32 s26, s0, s3
	s_mul_hi_u32 s20, s3, s23
	s_mul_i32 s25, s3, s23
	s_mul_hi_u32 s3, s3, s26
	s_add_u32 s3, s3, s25
	s_addc_u32 s20, 0, s20
	s_mul_hi_u32 s27, s24, s26
	s_mul_i32 s26, s24, s26
	s_add_u32 s3, s3, s26
	s_mul_hi_u32 s25, s24, s23
	s_addc_u32 s3, s20, s27
	s_addc_u32 s20, s25, 0
	s_mul_i32 s23, s24, s23
	s_add_u32 s3, s3, s23
	s_addc_u32 s20, 0, s20
	v_add_co_u32_e32 v0, vcc, s3, v9
	s_cmp_lg_u64 vcc, 0
	s_addc_u32 s3, s24, s20
	v_readfirstlane_b32 s23, v0
	s_mul_i32 s20, s0, s3
	s_mul_hi_u32 s24, s0, s23
	s_add_i32 s20, s24, s20
	s_mul_i32 s1, s1, s23
	s_add_i32 s20, s20, s1
	s_mul_i32 s0, s0, s23
	s_mul_hi_u32 s24, s3, s0
	s_mul_i32 s25, s3, s0
	s_mul_i32 s27, s23, s20
	s_mul_hi_u32 s0, s23, s0
	s_mul_hi_u32 s26, s23, s20
	s_add_u32 s0, s0, s27
	s_addc_u32 s23, 0, s26
	s_add_u32 s0, s0, s25
	s_mul_hi_u32 s1, s3, s20
	s_addc_u32 s0, s23, s24
	s_addc_u32 s1, s1, 0
	s_mul_i32 s20, s3, s20
	s_add_u32 s0, s0, s20
	s_addc_u32 s1, 0, s1
	v_add_co_u32_e32 v0, vcc, s0, v0
	s_cmp_lg_u64 vcc, 0
	s_addc_u32 s3, s3, s1
	s_ashr_i32 s0, s7, 31
	s_add_u32 s24, s2, s0
	s_mov_b32 s1, s0
	s_addc_u32 s25, s7, s0
	s_xor_b64 s[24:25], s[24:25], s[0:1]
	v_readfirstlane_b32 s20, v0
	s_mul_i32 s7, s24, s3
	s_mul_hi_u32 s23, s24, s20
	s_mul_hi_u32 s1, s24, s3
	s_add_u32 s7, s23, s7
	s_addc_u32 s1, 0, s1
	s_mul_hi_u32 s26, s25, s20
	s_mul_i32 s20, s25, s20
	s_add_u32 s7, s7, s20
	s_mul_hi_u32 s23, s25, s3
	s_addc_u32 s1, s1, s26
	s_addc_u32 s7, s23, 0
	s_mul_i32 s3, s25, s3
	s_add_u32 s1, s1, s3
	s_addc_u32 s3, 0, s7
	s_mul_i32 s3, s22, s3
	s_mul_hi_u32 s23, s22, s1
	s_add_i32 s23, s23, s3
	s_mul_i32 s3, s22, s1
	v_mov_b32_e32 v0, s3
	s_add_u32 s7, s1, 1
	s_add_u32 s20, s1, 2
	v_sub_co_u32_e32 v0, vcc, s24, v0
	s_cmp_lg_u64 vcc, 0
	s_subb_u32 s3, s25, s23
	v_subrev_co_u32_e32 v1, vcc, s22, v0
	s_cmp_lg_u64 vcc, 0
	s_subb_u32 s23, s3, 0
	v_cmp_le_u32_e32 vcc, s22, v1
	s_cmp_eq_u32 s23, 0
	v_mov_b32_e32 v13, s7
	v_cndmask_b32_e64 v1, 0, -1, vcc
	s_cselect_b64 vcc, -1, 0
	v_cndmask_b32_e32 v1, -1, v1, vcc
	v_mov_b32_e32 v14, s20
	v_cmp_ne_u32_e32 vcc, 0, v1
	s_cmp_eq_u32 s3, 0
	s_nop 0
	v_cndmask_b32_e32 v1, v13, v14, vcc
	v_cmp_le_u32_e32 vcc, s22, v0
	v_mov_b32_e32 v13, s1
	s_nop 0
	v_cndmask_b32_e64 v0, 0, -1, vcc
	s_cselect_b64 vcc, -1, 0
	v_cndmask_b32_e32 v0, -1, v0, vcc
	v_cmp_ne_u32_e32 vcc, 0, v0
	s_nop 1
	v_cndmask_b32_e32 v0, v13, v1, vcc
	v_xor_b32_e32 v0, s0, v0
	v_subrev_co_u32_e32 v0, vcc, s0, v0
	s_cbranch_execnz .LBB23_11
.LBB23_10:
	s_sub_i32 s0, 0, s22
	v_mul_lo_u32 v0, s0, v11
	v_mul_hi_u32 v0, v11, v0
	v_add_u32_e32 v0, v11, v0
	v_mul_hi_u32 v0, s2, v0
	v_mul_lo_u32 v13, v0, s22
	v_sub_u32_e32 v13, s2, v13
	v_add_u32_e32 v1, 1, v0
	v_subrev_u32_e32 v14, s22, v13
	v_cmp_le_u32_e32 vcc, s22, v13
	s_nop 1
	v_cndmask_b32_e32 v13, v13, v14, vcc
	v_cndmask_b32_e32 v0, v0, v1, vcc
	v_add_u32_e32 v1, 1, v0
	v_cmp_le_u32_e32 vcc, s22, v13
	s_nop 1
	v_cndmask_b32_e32 v0, v0, v1, vcc
.LBB23_11:
	v_cmp_ne_u32_e32 vcc, v8, v0
	s_cbranch_vccz .LBB23_14
; %bb.12:
	s_add_i32 s0, s12, s22
	s_lshl_b32 s0, s0, 5
	v_mul_hi_u32 v1, v0, s16
	s_add_i32 s0, s0, s21
	s_mov_b32 s1, s6
	v_add_u32_e32 v1, v1, v0
	s_lshl_b64 s[0:1], s[0:1], 3
	v_lshrrev_b32_e32 v1, s17, v1
	s_add_u32 s2, s10, s0
	v_mul_lo_u32 v13, v1, s18
	s_addc_u32 s3, s11, s1
	v_cmp_eq_u32_e32 vcc, v13, v0
	v_cmp_gt_u32_e64 s[0:1], s19, v1
	s_or_b64 s[0:1], s[0:1], vcc
	s_and_b64 vcc, exec, s[0:1]
	s_cbranch_vccnz .LBB23_16
; %bb.13:
	s_add_i32 s7, s12, -1
	s_mov_b64 s[0:1], 0
	s_branch .LBB23_17
.LBB23_14:
                                        ; implicit-def: $sgpr0_sgpr1
                                        ; implicit-def: $vgpr14
                                        ; implicit-def: $vgpr1
                                        ; implicit-def: $vgpr13
                                        ; implicit-def: $sgpr7
                                        ; implicit-def: $vgpr0
	s_branch .LBB23_18
.LBB23_15:
                                        ; implicit-def: $vgpr0_vgpr1
	s_branch .LBB23_10
.LBB23_16:
	s_mov_b64 s[0:1], -1
	s_mov_b32 s7, s12
	v_mov_b32_e32 v0, v8
.LBB23_17:
	s_mul_i32 s20, s12, 0xa00
	v_add_u32_e32 v14, s20, v4
	v_ashrrev_i32_e32 v15, 31, v14
	v_lshl_add_u64 v[14:15], v[14:15], 2, s[4:5]
	global_load_dword v14, v[14:15], off
	s_load_dwordx2 s[2:3], s[2:3], 0x0
	v_max_f32_e32 v1, v7, v7
	s_waitcnt lgkmcnt(0)
	v_max_f32_e64 v13, s2, s2
	v_max_f32_e32 v1, v1, v13
	v_sub_f32_e32 v13, v7, v1
	v_sub_f32_e32 v15, s2, v1
	v_mul_f32_e32 v16, 0x3fb8aa3b, v13
	v_mul_f32_e32 v17, 0x3fb8aa3b, v15
	v_fma_f32 v18, v13, s8, -v16
	v_rndne_f32_e32 v19, v16
	v_fma_f32 v20, v15, s8, -v17
	v_rndne_f32_e32 v21, v17
	v_fmac_f32_e32 v18, 0x32a5705f, v13
	v_sub_f32_e32 v16, v16, v19
	v_fmac_f32_e32 v20, 0x32a5705f, v15
	v_sub_f32_e32 v17, v17, v21
	v_add_f32_e32 v16, v16, v18
	v_cvt_i32_f32_e32 v19, v19
	v_add_f32_e32 v17, v17, v20
	v_exp_f32_e32 v16, v16
	v_cvt_i32_f32_e32 v21, v21
	v_exp_f32_e32 v17, v17
	v_cmp_ngt_f32_e32 vcc, s9, v13
	v_ldexp_f32 v16, v16, v19
	v_ldexp_f32 v17, v17, v21
	v_cndmask_b32_e32 v16, 0, v16, vcc
	v_cmp_ngt_f32_e32 vcc, s9, v15
	s_nop 1
	v_cndmask_b32_e32 v17, 0, v17, vcc
	v_cmp_nlt_f32_e32 vcc, s13, v13
	s_nop 1
	v_cndmask_b32_e32 v16, v12, v16, vcc
	v_cmp_nlt_f32_e32 vcc, s13, v15
	s_nop 1
	v_cndmask_b32_e32 v17, v12, v17, vcc
	v_cmp_le_f32_e32 vcc, s14, v13
	s_nop 1
	v_cndmask_b32_e32 v16, 0, v16, vcc
	v_cmp_le_f32_e32 vcc, s14, v15
	s_nop 1
	v_cndmask_b32_e32 v15, 0, v17, vcc
	v_mul_f32_e32 v13, s3, v15
	v_fmac_f32_e32 v13, v6, v16
	s_waitcnt vmcnt(0)
	v_mul_f32_e32 v14, v14, v15
	v_fmac_f32_e32 v14, v5, v16
	s_cbranch_execnz .LBB23_19
.LBB23_18:
	s_add_i32 s7, s12, -1
	s_mov_b64 s[0:1], 0
	v_mov_b32_e32 v0, v8
	v_mov_b32_e32 v13, v6
	;; [unrolled: 1-line block ×3, first 2 shown]
	s_waitcnt vmcnt(0)
	v_mov_b32_e32 v14, v5
.LBB23_19:
	s_andn2_b64 vcc, exec, s[0:1]
	s_cbranch_vccz .LBB23_23
; %bb.20:
	v_mov_b32_e32 v8, v0
	s_mov_b32 s12, s7
	v_mov_b32_e32 v6, v13
	v_mov_b32_e32 v7, v1
	s_waitcnt vmcnt(0)
	v_mov_b32_e32 v5, v14
	s_mul_hi_i32 s7, s12, s15
	s_cmp_lg_u64 s[6:7], 0
	s_mul_i32 s2, s12, s15
	s_cbranch_scc1 .LBB23_9
	s_branch .LBB23_15
.LBB23_21:
                                        ; implicit-def: $sgpr20_sgpr21
	s_load_dwordx4 s[16:19], s[0:1], 0x44
	s_branch .LBB23_2
.LBB23_22:
                                        ; implicit-def: $vgpr2_vgpr3
	s_branch .LBB23_5
.LBB23_23:
	v_div_scale_f32 v0, s[0:1], v13, v13, v14
	v_rcp_f32_e32 v1, v0
	v_div_scale_f32 v4, vcc, v14, v13, v14
	s_waitcnt vmcnt(0)
	v_fma_f32 v5, -v0, v1, 1.0
	v_fmac_f32_e32 v1, v5, v1
	v_mul_f32_e32 v5, v4, v1
	v_fma_f32 v6, -v0, v5, v4
	v_fmac_f32_e32 v5, v6, v1
	v_fma_f32 v0, -v0, v5, v4
	v_div_fmas_f32 v0, v0, v1, v5
	v_div_fixup_f32 v0, v0, v13, v14
	global_store_dword v[2:3], v0, off
.LBB23_24:
	s_endpgm
	.section	.rodata,"a",@progbits
	.p2align	6, 0x0
	.amdhsa_kernel _ZL33flash_attn_stream_k_fixup_generalILi80ELi8ELi4EEvPfPK15HIP_vector_typeIfLj2EEiiiiS1_IjLj3EES5_S5_S5_
		.amdhsa_group_segment_fixed_size 0
		.amdhsa_private_segment_fixed_size 0
		.amdhsa_kernarg_size 336
		.amdhsa_user_sgpr_count 2
		.amdhsa_user_sgpr_dispatch_ptr 0
		.amdhsa_user_sgpr_queue_ptr 0
		.amdhsa_user_sgpr_kernarg_segment_ptr 1
		.amdhsa_user_sgpr_dispatch_id 0
		.amdhsa_user_sgpr_kernarg_preload_length 0
		.amdhsa_user_sgpr_kernarg_preload_offset 0
		.amdhsa_user_sgpr_private_segment_size 0
		.amdhsa_uses_dynamic_stack 0
		.amdhsa_enable_private_segment 0
		.amdhsa_system_sgpr_workgroup_id_x 1
		.amdhsa_system_sgpr_workgroup_id_y 1
		.amdhsa_system_sgpr_workgroup_id_z 1
		.amdhsa_system_sgpr_workgroup_info 0
		.amdhsa_system_vgpr_workitem_id 0
		.amdhsa_next_free_vgpr 22
		.amdhsa_next_free_sgpr 32
		.amdhsa_accum_offset 24
		.amdhsa_reserve_vcc 1
		.amdhsa_float_round_mode_32 0
		.amdhsa_float_round_mode_16_64 0
		.amdhsa_float_denorm_mode_32 3
		.amdhsa_float_denorm_mode_16_64 3
		.amdhsa_dx10_clamp 1
		.amdhsa_ieee_mode 1
		.amdhsa_fp16_overflow 0
		.amdhsa_tg_split 0
		.amdhsa_exception_fp_ieee_invalid_op 0
		.amdhsa_exception_fp_denorm_src 0
		.amdhsa_exception_fp_ieee_div_zero 0
		.amdhsa_exception_fp_ieee_overflow 0
		.amdhsa_exception_fp_ieee_underflow 0
		.amdhsa_exception_fp_ieee_inexact 0
		.amdhsa_exception_int_div_zero 0
	.end_amdhsa_kernel
	.section	.text._ZL33flash_attn_stream_k_fixup_generalILi80ELi8ELi4EEvPfPK15HIP_vector_typeIfLj2EEiiiiS1_IjLj3EES5_S5_S5_,"axG",@progbits,_ZL33flash_attn_stream_k_fixup_generalILi80ELi8ELi4EEvPfPK15HIP_vector_typeIfLj2EEiiiiS1_IjLj3EES5_S5_S5_,comdat
.Lfunc_end23:
	.size	_ZL33flash_attn_stream_k_fixup_generalILi80ELi8ELi4EEvPfPK15HIP_vector_typeIfLj2EEiiiiS1_IjLj3EES5_S5_S5_, .Lfunc_end23-_ZL33flash_attn_stream_k_fixup_generalILi80ELi8ELi4EEvPfPK15HIP_vector_typeIfLj2EEiiiiS1_IjLj3EES5_S5_S5_
                                        ; -- End function
	.section	.AMDGPU.csdata,"",@progbits
; Kernel info:
; codeLenInByte = 2868
; NumSgprs: 38
; NumVgprs: 22
; NumAgprs: 0
; TotalNumVgprs: 22
; ScratchSize: 0
; MemoryBound: 0
; FloatMode: 240
; IeeeMode: 1
; LDSByteSize: 0 bytes/workgroup (compile time only)
; SGPRBlocks: 4
; VGPRBlocks: 2
; NumSGPRsForWavesPerEU: 38
; NumVGPRsForWavesPerEU: 22
; AccumOffset: 24
; Occupancy: 8
; WaveLimiterHint : 0
; COMPUTE_PGM_RSRC2:SCRATCH_EN: 0
; COMPUTE_PGM_RSRC2:USER_SGPR: 2
; COMPUTE_PGM_RSRC2:TRAP_HANDLER: 0
; COMPUTE_PGM_RSRC2:TGID_X_EN: 1
; COMPUTE_PGM_RSRC2:TGID_Y_EN: 1
; COMPUTE_PGM_RSRC2:TGID_Z_EN: 1
; COMPUTE_PGM_RSRC2:TIDIG_COMP_CNT: 0
; COMPUTE_PGM_RSRC3_GFX90A:ACCUM_OFFSET: 5
; COMPUTE_PGM_RSRC3_GFX90A:TG_SPLIT: 0
	.section	.text._ZL15flash_attn_tileILi80ELi80ELi4ELi4ELb0EEvPKcS1_S1_S1_S1_PKiPfP15HIP_vector_typeIfLj2EEffffjfiS5_IjLj3EEiiiiiiiiiiiliiliiiiil,"axG",@progbits,_ZL15flash_attn_tileILi80ELi80ELi4ELi4ELb0EEvPKcS1_S1_S1_S1_PKiPfP15HIP_vector_typeIfLj2EEffffjfiS5_IjLj3EEiiiiiiiiiiiliiliiiiil,comdat
	.globl	_ZL15flash_attn_tileILi80ELi80ELi4ELi4ELb0EEvPKcS1_S1_S1_S1_PKiPfP15HIP_vector_typeIfLj2EEffffjfiS5_IjLj3EEiiiiiiiiiiiliiliiiiil ; -- Begin function _ZL15flash_attn_tileILi80ELi80ELi4ELi4ELb0EEvPKcS1_S1_S1_S1_PKiPfP15HIP_vector_typeIfLj2EEffffjfiS5_IjLj3EEiiiiiiiiiiiliiliiiiil
	.p2align	8
	.type	_ZL15flash_attn_tileILi80ELi80ELi4ELi4ELb0EEvPKcS1_S1_S1_S1_PKiPfP15HIP_vector_typeIfLj2EEffffjfiS5_IjLj3EEiiiiiiiiiiiliiliiiiil,@function
_ZL15flash_attn_tileILi80ELi80ELi4ELi4ELb0EEvPKcS1_S1_S1_S1_PKiPfP15HIP_vector_typeIfLj2EEffffjfiS5_IjLj3EEiiiiiiiiiiiliiliiiiil: ; @_ZL15flash_attn_tileILi80ELi80ELi4ELi4ELb0EEvPKcS1_S1_S1_S1_PKiPfP15HIP_vector_typeIfLj2EEffffjfiS5_IjLj3EEiiiiiiiiiiiliiliiiiil
; %bb.0:
	s_load_dwordx4 s[28:31], s[0:1], 0x5c
	s_load_dwordx2 s[34:35], s[0:1], 0x80
	s_load_dwordx16 s[12:27], s[0:1], 0x0
	s_mov_b64 s[36:37], 0
	s_waitcnt lgkmcnt(0)
	s_ashr_i32 s5, s31, 31
	s_lshr_b32 s5, s5, 30
	s_add_i32 s5, s31, s5
	s_ashr_i32 s5, s5, 2
	v_cvt_f32_u32_e32 v1, s5
	s_sub_i32 s6, 0, s5
	v_rcp_iflag_f32_e32 v1, v1
	s_nop 0
	v_mul_f32_e32 v1, 0x4f7ffffe, v1
	v_cvt_u32_f32_e32 v1, v1
	s_nop 0
	v_readfirstlane_b32 s7, v1
	s_mul_i32 s6, s6, s7
	s_mul_hi_u32 s6, s7, s6
	s_add_i32 s7, s7, s6
	s_mul_hi_u32 s6, s4, s7
	s_mul_i32 s7, s6, s5
	s_sub_i32 s7, s4, s7
	s_add_i32 s8, s6, 1
	s_sub_i32 s9, s7, s5
	s_cmp_ge_u32 s7, s5
	s_cselect_b32 s6, s8, s6
	s_cselect_b32 s7, s9, s7
	s_add_i32 s8, s6, 1
	s_cmp_ge_u32 s7, s5
	s_cselect_b32 s33, s8, s6
	s_abs_i32 s5, s35
	v_cvt_f32_u32_e32 v1, s5
	s_sub_i32 s8, 0, s5
	s_abs_i32 s7, s31
	s_lshl_b32 s6, s4, 2
	v_rcp_iflag_f32_e32 v1, v1
	s_xor_b32 s4, s31, s35
	s_ashr_i32 s4, s4, 31
	v_mul_f32_e32 v1, 0x4f7ffffe, v1
	v_cvt_u32_f32_e32 v1, v1
	s_nop 0
	v_readfirstlane_b32 s9, v1
	s_mul_i32 s8, s8, s9
	s_mul_hi_u32 s8, s9, s8
	s_add_i32 s9, s9, s8
	s_mul_hi_u32 s8, s7, s9
	s_mul_i32 s9, s8, s5
	s_sub_i32 s7, s7, s9
	s_add_i32 s10, s8, 1
	s_sub_i32 s9, s7, s5
	s_cmp_ge_u32 s7, s5
	s_cselect_b32 s8, s10, s8
	s_cselect_b32 s7, s9, s7
	s_add_i32 s9, s8, 1
	s_cmp_ge_u32 s7, s5
	s_cselect_b32 s5, s9, s8
	s_xor_b32 s5, s5, s4
	s_sub_i32 s11, s5, s4
	s_abs_i32 s10, s11
	v_cvt_f32_u32_e32 v1, s10
	s_load_dwordx2 s[4:5], s[0:1], 0xb8
	s_mul_i32 s7, s33, s31
	s_cmp_eq_u64 s[18:19], 0
	v_rcp_iflag_f32_e32 v1, v1
	s_nop 0
	v_mul_f32_e32 v1, 0x4f7ffffe, v1
	v_cvt_u32_f32_e32 v1, v1
	s_nop 0
	v_readfirstlane_b32 s38, v1
	s_cbranch_scc1 .LBB24_2
; %bb.1:
	s_waitcnt lgkmcnt(0)
	s_abs_i32 s4, s4
	v_cvt_f32_u32_e32 v1, s4
	s_sub_i32 s37, 0, s4
	s_abs_i32 s36, s33
	s_ashr_i32 s35, s33, 31
	v_rcp_iflag_f32_e32 v1, v1
	s_load_dwordx2 s[8:9], s[0:1], 0xc8
	v_mul_f32_e32 v1, 0x4f7ffffe, v1
	v_cvt_u32_f32_e32 v1, v1
	s_nop 0
	v_readfirstlane_b32 s39, v1
	s_mul_i32 s37, s37, s39
	s_mul_hi_u32 s37, s39, s37
	s_add_i32 s39, s39, s37
	s_mul_hi_u32 s37, s36, s39
	s_mul_i32 s37, s37, s4
	s_sub_i32 s36, s36, s37
	s_sub_i32 s37, s36, s4
	s_cmp_ge_u32 s36, s4
	s_cselect_b32 s36, s37, s36
	s_sub_i32 s37, s36, s4
	s_cmp_ge_u32 s36, s4
	s_cselect_b32 s4, s37, s36
	s_xor_b32 s4, s4, s35
	s_sub_i32 s4, s4, s35
	s_ashr_i32 s35, s4, 31
	s_waitcnt lgkmcnt(0)
	s_mul_i32 s9, s4, s9
	s_mul_hi_u32 s36, s4, s8
	s_add_i32 s9, s36, s9
	s_mul_i32 s35, s35, s8
	s_add_i32 s9, s9, s35
	s_mul_i32 s4, s4, s8
	s_add_u32 s36, s18, s4
	s_addc_u32 s37, s19, s9
.LBB24_2:
	v_bfe_u32 v1, v0, 10, 10
	v_and_b32_e32 v50, 0x3ff, v0
	v_lshrrev_b32_e32 v0, 1, v1
	v_lshl_add_u32 v49, s2, 2, v0
	v_mul_hi_u32 v0, s28, v49
	v_add_u32_e32 v0, v49, v0
	v_lshrrev_b32_e32 v0, s29, v0
	v_lshlrev_b32_e32 v3, 1, v1
	v_mul_lo_u32 v0, v0, s30
	s_sub_i32 s35, s6, s7
	v_cmp_gt_u32_e64 s[18:19], 20, v50
	v_sub_u32_e32 v2, v49, v0
	v_lshlrev_b32_e32 v48, 2, v50
	v_lshlrev_b32_e32 v0, 1, v50
	v_and_b32_e32 v51, 2, v3
	s_and_saveexec_b64 s[6:7], s[18:19]
	s_cbranch_execz .LBB24_4
; %bb.3:
	s_load_dwordx4 s[40:43], s[0:1], 0x70
	v_or_b32_e32 v3, 1, v3
	v_and_b32_e32 v12, 3, v3
	v_mul_u32_u24_e32 v3, 40, v3
	v_add_lshl_u32 v3, v3, v0, 2
	s_waitcnt lgkmcnt(0)
	s_mul_i32 s4, s33, s42
	s_ashr_i32 s9, s4, 31
	s_mul_i32 s8, s35, s41
	s_add_u32 s4, s12, s4
	s_addc_u32 s9, s13, s9
	s_ashr_i32 s12, s8, 31
	s_add_u32 s8, s4, s8
	v_mov_b32_e32 v4, s40
	s_addc_u32 s9, s9, s12
	s_ashr_i32 s4, s40, 31
	v_alignbit_b32 v4, s4, v4, 2
	v_mad_u64_u32 v[4:5], s[12:13], v4, v2, 0
	v_mov_b32_e32 v6, v5
	s_lshr_b32 s4, s4, 2
	v_mad_u64_u32 v[6:7], s[12:13], s4, v2, v[6:7]
	v_mov_b32_e32 v5, v6
	v_lshl_add_u64 v[4:5], v[4:5], 2, s[8:9]
	v_lshlrev_b32_e32 v6, 2, v48
	v_mov_b32_e32 v7, 0
	v_lshl_add_u64 v[8:9], v[4:5], 0, v[6:7]
	s_ashr_i32 s4, s41, 31
	v_mov_b32_e32 v4, s41
	s_lshr_b32 s12, s4, 2
	v_alignbit_b32 v7, s4, v4, 2
	v_mul_lo_u32 v6, s12, v51
	v_mad_u64_u32 v[4:5], s[8:9], v7, v51, 0
	v_mad_u64_u32 v[10:11], s[8:9], v7, v12, 0
	v_or_b32_e32 v5, v5, v6
	v_mov_b32_e32 v6, v11
	v_mad_u64_u32 v[6:7], s[8:9], s12, v12, v[6:7]
	v_lshl_add_u64 v[4:5], v[4:5], 2, v[8:9]
	v_mov_b32_e32 v11, v6
	global_load_dwordx4 v[4:7], v[4:5], off
	v_lshl_add_u64 v[8:9], v[10:11], 2, v[8:9]
	global_load_dwordx4 v[8:11], v[8:9], off
	s_load_dword s4, s[0:1], 0x40
	v_mul_u32_u24_e32 v12, 0x50, v1
	v_add_lshl_u32 v12, v12, v0, 2
	s_waitcnt vmcnt(1) lgkmcnt(0)
	v_pk_mul_f32 v[4:5], v[4:5], s[4:5] op_sel_hi:[1,0]
	v_pk_mul_f32 v[6:7], v[6:7], s[4:5] op_sel_hi:[1,0]
	s_waitcnt vmcnt(0)
	v_pk_mul_f32 v[8:9], v[8:9], s[4:5] op_sel_hi:[1,0]
	v_pk_mul_f32 v[10:11], v[10:11], s[4:5] op_sel_hi:[1,0]
	v_cvt_f16_f32_e32 v13, v5
	v_cvt_f16_f32_e32 v4, v4
	;; [unrolled: 1-line block ×8, first 2 shown]
	v_pack_b32_f16 v5, v6, v5
	v_pack_b32_f16 v4, v4, v13
	;; [unrolled: 1-line block ×4, first 2 shown]
	ds_write_b64 v12, v[4:5] offset:3264
	ds_write_b64 v3, v[6:7] offset:3264
.LBB24_4:
	s_or_b64 exec, exec, s[6:7]
	s_cmp_eq_u64 s[22:23], 0
	s_waitcnt lgkmcnt(0)
	s_barrier
	s_cbranch_scc1 .LBB24_6
; %bb.5:
	s_load_dword s4, s[0:1], 0xd0
	s_mov_b32 s7, 0
	s_waitcnt lgkmcnt(0)
	s_mul_i32 s4, s4, s33
	s_add_i32 s6, s4, s2
	s_lshl_b64 s[6:7], s[6:7], 2
	s_add_u32 s6, s22, s6
	s_addc_u32 s7, s23, s7
	s_load_dword s34, s[6:7], 0x0
.LBB24_6:
	s_lshl_b32 s40, s3, 5
	s_waitcnt lgkmcnt(0)
	s_cmp_lt_i32 s40, s34
	v_mbcnt_lo_u32_b32 v3, -1, 0
	s_cbranch_scc1 .LBB24_8
; %bb.7:
	v_mbcnt_hi_u32_b32 v65, -1, v3
	v_and_b32_e32 v4, 0x60, v65
	s_mov_b32 s6, 0xfeffffff
	s_mov_b32 s2, 0
	v_add_u32_e32 v95, 32, v4
	v_xor_b32_e32 v96, 16, v65
	v_xor_b32_e32 v94, 8, v65
	;; [unrolled: 1-line block ×5, first 2 shown]
	s_mov_b32 s7, s6
	s_mov_b64 s[8:9], 0
	s_branch .LBB24_9
.LBB24_8:
	s_mov_b64 s[8:9], -1
                                        ; implicit-def: $sgpr2
                                        ; implicit-def: $sgpr6_sgpr7
                                        ; implicit-def: $vgpr65
                                        ; implicit-def: $vgpr95
                                        ; implicit-def: $vgpr96
                                        ; implicit-def: $vgpr94
                                        ; implicit-def: $vgpr93
                                        ; implicit-def: $vgpr92
                                        ; implicit-def: $vgpr91
.LBB24_9:
	s_andn2_b64 vcc, exec, s[8:9]
	v_mov_b32_e32 v55, s2
	v_mov_b32_e32 v53, s2
	v_mov_b64_e32 v[74:75], s[6:7]
	v_mov_b32_e32 v67, s2
	v_mov_b32_e32 v54, s2
	;; [unrolled: 1-line block ×4, first 2 shown]
	s_cbranch_vccnz .LBB24_29
; %bb.10:
	s_load_dwordx2 s[6:7], s[0:1], 0x8c
	s_load_dwordx4 s[44:47], s[0:1], 0x98
	s_sub_i32 s2, 0, s10
	s_mul_i32 s2, s2, s38
	s_ashr_i32 s13, s5, 1
	s_waitcnt lgkmcnt(0)
	s_ashr_i32 s42, s6, 2
	s_ashr_i32 s5, s33, 31
	s_mul_i32 s6, s33, s45
	s_mul_hi_u32 s22, s33, s44
	s_mul_hi_u32 s2, s38, s2
	s_add_i32 s6, s22, s6
	s_mul_i32 s22, s5, s44
	s_abs_i32 s4, s35
	s_add_i32 s38, s38, s2
	s_ashr_i32 s12, s35, 31
	s_ashr_i32 s11, s11, 31
	;; [unrolled: 1-line block ×3, first 2 shown]
	s_add_i32 s6, s6, s22
	s_mul_i32 s22, s33, s44
	s_mul_hi_u32 s2, s4, s38
	s_add_u32 s14, s14, s22
	s_addc_u32 s6, s15, s6
	s_xor_b32 s11, s12, s11
	s_mul_i32 s12, s2, s10
	s_sub_i32 s4, s4, s12
	s_add_i32 s12, s2, 1
	s_sub_i32 s15, s4, s10
	s_cmp_ge_u32 s4, s10
	s_cselect_b32 s2, s12, s2
	s_cselect_b32 s4, s15, s4
	s_add_i32 s12, s2, 1
	s_cmp_ge_u32 s4, s10
	s_cselect_b32 s2, s12, s2
	s_load_dwordx2 s[8:9], s[0:1], 0xa8
	s_xor_b32 s2, s2, s11
	s_sub_i32 s2, s2, s11
	s_mul_i32 s4, s2, s7
	s_ashr_i32 s7, s4, 31
	s_add_u32 s43, s14, s4
	s_addc_u32 s44, s6, s7
	s_waitcnt lgkmcnt(0)
	s_mul_i32 s4, s33, s9
	s_mul_hi_u32 s6, s33, s8
	s_add_i32 s4, s6, s4
	s_mul_i32 s5, s5, s8
	s_add_i32 s4, s4, s5
	s_mul_i32 s5, s33, s8
	s_add_u32 s5, s16, s5
	s_mul_i32 s2, s2, s47
	s_addc_u32 s4, s17, s4
	s_ashr_i32 s6, s2, 31
	s_add_u32 s45, s5, s2
	s_addc_u32 s46, s4, s6
	v_mad_u64_u32 v[64:65], s[6:7], v2, s13, v[50:51]
	v_mov_b32_e32 v2, 0x16c0
	v_lshl_add_u32 v85, v1, 7, v2
	v_lshrrev_b32_e32 v2, 1, v50
	v_lshl_add_u32 v4, v1, 5, v50
	v_lshrrev_b32_e32 v5, 2, v50
	s_movk_i32 s2, 0x60
	v_and_b32_e32 v58, 12, v48
	v_lshl_add_u32 v2, v1, 4, v2
	v_cmp_gt_u32_e32 vcc, 32, v4
	v_lshl_add_u32 v5, v1, 3, v5
	v_mad_u32_u24 v83, v4, s2, 64
	v_mul_lo_u32 v56, s42, v4
	v_lshlrev_b32_e32 v4, 2, v58
	v_lshl_add_u32 v86, v0, 1, v85
	v_lshlrev_b32_e32 v87, 2, v0
	v_and_b32_e32 v66, 4, v48
	v_mul_u32_u24_e32 v0, 0xa0, v2
	v_mad_u32_u24 v84, v5, s2, v4
	v_lshrrev_b32_e32 v4, 3, v50
	v_lshl_or_b32 v0, v66, 2, v0
	v_and_b32_e32 v70, 28, v48
	v_mul_u32_u24_e32 v82, 0x140, v1
	v_lshl_add_u32 v1, v1, 2, v4
	s_movk_i32 s2, 0xa0
	v_add_u32_e32 v88, 0x80, v0
	v_lshlrev_b32_e32 v0, 2, v70
	v_mov_b32_e32 v61, 0
	v_mul_lo_u32 v62, s42, v5
	v_mul_lo_u32 v68, s41, v2
	v_mad_u32_u24 v89, v1, s2, v0
	v_mul_lo_u32 v72, s41, v1
	s_add_u32 s22, s0, 0xd0
	v_mov_b32_e32 v0, 0xfeffffff
	v_cmp_gt_u32_e64 s[4:5], 32, v5
	v_mul_u32_u24_e32 v71, 0x60, v50
	v_ashrrev_i32_e32 v57, 31, v56
	v_ashrrev_i32_e32 v63, 31, v62
	v_cmp_gt_u32_e64 s[6:7], 16, v2
	v_cmp_gt_u32_e64 s[8:9], 16, v1
	v_ashrrev_i32_e32 v69, 31, v68
	v_ashrrev_i32_e32 v73, 31, v72
	s_addc_u32 s23, s1, 0
	v_mbcnt_hi_u32_b32 v65, -1, v3
	s_mov_b32 s2, 0x40051340
	s_mov_b32 s47, 0x3fb8aa3b
	;; [unrolled: 1-line block ×4, first 2 shown]
	v_mov_b32_e32 v90, 0x7f800000
	v_mov_b32_e32 v59, 0
	;; [unrolled: 1-line block ×8, first 2 shown]
.LBB24_11:                              ; =>This Inner Loop Header: Depth=1
	s_mul_hi_i32 s11, s40, s42
	s_mul_i32 s10, s40, s42
	s_lshl_b64 s[10:11], s[10:11], 2
	s_add_u32 s10, s43, s10
	s_addc_u32 s11, s44, s11
	v_lshl_add_u64 v[6:7], v[56:57], 2, s[10:11]
	s_and_saveexec_b64 s[12:13], vcc
	s_cbranch_execz .LBB24_13
; %bb.12:                               ;   in Loop: Header=BB24_11 Depth=1
	global_load_dwordx4 v[2:5], v[6:7], off offset:64
	s_waitcnt vmcnt(0)
	ds_write_b128 v83, v[2:5]
.LBB24_13:                              ;   in Loop: Header=BB24_11 Depth=1
	s_or_b64 exec, exec, s[12:13]
	v_lshl_add_u64 v[4:5], v[62:63], 2, s[10:11]
	v_lshlrev_b32_e32 v60, 2, v58
	s_and_saveexec_b64 s[10:11], s[4:5]
	s_cbranch_execz .LBB24_15
; %bb.14:                               ;   in Loop: Header=BB24_11 Depth=1
	v_lshl_add_u64 v[2:3], v[4:5], 0, v[60:61]
	global_load_dwordx4 v[8:11], v[2:3], off
	s_waitcnt vmcnt(0)
	ds_write_b128 v84, v[8:11]
.LBB24_15:                              ;   in Loop: Header=BB24_11 Depth=1
	s_or_b64 exec, exec, s[10:11]
	s_waitcnt lgkmcnt(0)
	s_barrier
	ds_read_b128 v[8:11], v71
	ds_read_b128 v[12:15], v82 offset:3264
	ds_read_b128 v[16:19], v82 offset:3424
	v_mov_b32_e32 v2, 0
	s_waitcnt lgkmcnt(1)
	;;#ASMSTART
	v_dot2_f32_f16 v2, v8, v12, v2
	;;#ASMEND
	s_nop 0
	;;#ASMSTART
	v_dot2_f32_f16 v2, v9, v13, v2
	;;#ASMEND
	v_mov_b32_e32 v3, 0
	;;#ASMSTART
	v_dot2_f32_f16 v2, v10, v14, v2
	;;#ASMEND
	s_nop 0
	;;#ASMSTART
	v_dot2_f32_f16 v2, v11, v15, v2
	;;#ASMEND
	s_waitcnt lgkmcnt(0)
	;;#ASMSTART
	v_dot2_f32_f16 v3, v8, v16, v3
	;;#ASMEND
	s_nop 0
	;;#ASMSTART
	v_dot2_f32_f16 v3, v9, v17, v3
	;;#ASMEND
	s_nop 0
	;;#ASMSTART
	v_dot2_f32_f16 v3, v10, v18, v3
	;;#ASMEND
	s_nop 0
	;;#ASMSTART
	v_dot2_f32_f16 v3, v11, v19, v3
	;;#ASMEND
	ds_read_b128 v[8:11], v71 offset:16
	ds_read_b128 v[12:15], v82 offset:3280
	ds_read_b128 v[16:19], v82 offset:3440
	s_waitcnt lgkmcnt(1)
	;;#ASMSTART
	v_dot2_f32_f16 v2, v8, v12, v2
	;;#ASMEND
	s_nop 0
	;;#ASMSTART
	v_dot2_f32_f16 v2, v9, v13, v2
	;;#ASMEND
	s_nop 0
	;;#ASMSTART
	v_dot2_f32_f16 v2, v10, v14, v2
	;;#ASMEND
	s_nop 0
	;;#ASMSTART
	v_dot2_f32_f16 v2, v11, v15, v2
	;;#ASMEND
	s_waitcnt lgkmcnt(0)
	;;#ASMSTART
	v_dot2_f32_f16 v3, v8, v16, v3
	;;#ASMEND
	s_nop 0
	;;#ASMSTART
	v_dot2_f32_f16 v3, v9, v17, v3
	;;#ASMEND
	s_nop 0
	;;#ASMSTART
	v_dot2_f32_f16 v3, v10, v18, v3
	;;#ASMEND
	s_nop 0
	;;#ASMSTART
	v_dot2_f32_f16 v3, v11, v19, v3
	;;#ASMEND
	ds_read_b128 v[8:11], v71 offset:32
	ds_read_b128 v[12:15], v82 offset:3296
	ds_read_b128 v[16:19], v82 offset:3456
	s_waitcnt lgkmcnt(1)
	;;#ASMSTART
	v_dot2_f32_f16 v2, v8, v12, v2
	;;#ASMEND
	s_nop 0
	;;#ASMSTART
	v_dot2_f32_f16 v2, v9, v13, v2
	;;#ASMEND
	s_nop 0
	;; [unrolled: 35-line block ×4, first 2 shown]
	;;#ASMSTART
	v_dot2_f32_f16 v2, v10, v14, v2
	;;#ASMEND
	s_nop 0
	;;#ASMSTART
	v_dot2_f32_f16 v2, v11, v15, v2
	;;#ASMEND
	s_waitcnt lgkmcnt(0)
	;;#ASMSTART
	v_dot2_f32_f16 v3, v8, v16, v3
	;;#ASMEND
	s_nop 0
	;;#ASMSTART
	v_dot2_f32_f16 v3, v9, v17, v3
	;;#ASMEND
	s_nop 0
	;; [unrolled: 4-line block ×3, first 2 shown]
	;;#ASMSTART
	v_dot2_f32_f16 v3, v11, v19, v3
	;;#ASMEND
	s_barrier
	s_and_saveexec_b64 s[10:11], vcc
	s_cbranch_execz .LBB24_17
; %bb.16:                               ;   in Loop: Header=BB24_11 Depth=1
	global_load_dwordx4 v[6:9], v[6:7], off offset:144
	s_waitcnt vmcnt(0)
	ds_write_b128 v83, v[6:9]
.LBB24_17:                              ;   in Loop: Header=BB24_11 Depth=1
	s_or_b64 exec, exec, s[10:11]
	s_and_saveexec_b64 s[10:11], s[4:5]
	s_cbranch_execz .LBB24_19
; %bb.18:                               ;   in Loop: Header=BB24_11 Depth=1
	v_lshl_add_u64 v[4:5], v[4:5], 0, v[60:61]
	global_load_dwordx4 v[4:7], v[4:5], off offset:80
	s_waitcnt vmcnt(0)
	ds_write_b128 v84, v[4:7]
.LBB24_19:                              ;   in Loop: Header=BB24_11 Depth=1
	s_or_b64 exec, exec, s[10:11]
	s_waitcnt lgkmcnt(0)
	s_barrier
	ds_read_b128 v[4:7], v71
	ds_read_b128 v[8:11], v82 offset:3344
	ds_read_b128 v[12:15], v82 offset:3504
	s_waitcnt lgkmcnt(1)
	;;#ASMSTART
	v_dot2_f32_f16 v2, v4, v8, v2
	;;#ASMEND
	s_nop 0
	;;#ASMSTART
	v_dot2_f32_f16 v2, v5, v9, v2
	;;#ASMEND
	v_xor_b32_e32 v96, 16, v65
	;;#ASMSTART
	v_dot2_f32_f16 v2, v6, v10, v2
	;;#ASMEND
	v_xor_b32_e32 v94, 8, v65
	;;#ASMSTART
	v_dot2_f32_f16 v2, v7, v11, v2
	;;#ASMEND
	s_waitcnt lgkmcnt(0)
	;;#ASMSTART
	v_dot2_f32_f16 v3, v4, v12, v3
	;;#ASMEND
	v_xor_b32_e32 v93, 4, v65
	;;#ASMSTART
	v_dot2_f32_f16 v3, v5, v13, v3
	;;#ASMEND
	v_xor_b32_e32 v92, 2, v65
	;; [unrolled: 4-line block ×3, first 2 shown]
	;;#ASMSTART
	v_dot2_f32_f16 v3, v7, v15, v3
	;;#ASMEND
	ds_read_b128 v[4:7], v71 offset:16
	ds_read_b128 v[8:11], v82 offset:3360
	;; [unrolled: 1-line block ×3, first 2 shown]
	s_waitcnt lgkmcnt(1)
	;;#ASMSTART
	v_dot2_f32_f16 v2, v4, v8, v2
	;;#ASMEND
	s_nop 0
	;;#ASMSTART
	v_dot2_f32_f16 v2, v5, v9, v2
	;;#ASMEND
	v_lshlrev_b32_e32 v60, 2, v66
	;;#ASMSTART
	v_dot2_f32_f16 v2, v6, v10, v2
	;;#ASMEND
	s_nop 0
	;;#ASMSTART
	v_dot2_f32_f16 v2, v7, v11, v2
	;;#ASMEND
	s_waitcnt lgkmcnt(0)
	;;#ASMSTART
	v_dot2_f32_f16 v3, v4, v12, v3
	;;#ASMEND
	s_nop 0
	;;#ASMSTART
	v_dot2_f32_f16 v3, v5, v13, v3
	;;#ASMEND
	s_nop 0
	;;#ASMSTART
	v_dot2_f32_f16 v3, v6, v14, v3
	;;#ASMEND
	s_nop 0
	;;#ASMSTART
	v_dot2_f32_f16 v3, v7, v15, v3
	;;#ASMEND
	ds_read_b128 v[4:7], v71 offset:32
	ds_read_b128 v[8:11], v82 offset:3376
	ds_read_b128 v[12:15], v82 offset:3536
	s_waitcnt lgkmcnt(1)
	;;#ASMSTART
	v_dot2_f32_f16 v2, v4, v8, v2
	;;#ASMEND
	s_nop 0
	;;#ASMSTART
	v_dot2_f32_f16 v2, v5, v9, v2
	;;#ASMEND
	s_nop 0
	;;#ASMSTART
	v_dot2_f32_f16 v2, v6, v10, v2
	;;#ASMEND
	s_nop 0
	;;#ASMSTART
	v_dot2_f32_f16 v2, v7, v11, v2
	;;#ASMEND
	s_waitcnt lgkmcnt(0)
	;;#ASMSTART
	v_dot2_f32_f16 v3, v4, v12, v3
	;;#ASMEND
	s_nop 0
	;;#ASMSTART
	v_dot2_f32_f16 v3, v5, v13, v3
	;;#ASMEND
	s_nop 0
	;;#ASMSTART
	v_dot2_f32_f16 v3, v6, v14, v3
	;;#ASMEND
	s_nop 0
	;;#ASMSTART
	v_dot2_f32_f16 v3, v7, v15, v3
	;;#ASMEND
	ds_read_b128 v[4:7], v71 offset:48
	ds_read_b128 v[8:11], v82 offset:3392
	ds_read_b128 v[12:15], v82 offset:3552
	s_waitcnt lgkmcnt(1)
	;;#ASMSTART
	v_dot2_f32_f16 v2, v4, v8, v2
	;;#ASMEND
	s_nop 0
	;;#ASMSTART
	v_dot2_f32_f16 v2, v5, v9, v2
	;;#ASMEND
	s_nop 0
	;; [unrolled: 35-line block ×3, first 2 shown]
	;;#ASMSTART
	v_dot2_f32_f16 v2, v6, v10, v2
	;;#ASMEND
	s_nop 0
	;;#ASMSTART
	v_dot2_f32_f16 v2, v7, v11, v2
	;;#ASMEND
	s_waitcnt lgkmcnt(0)
	;;#ASMSTART
	v_dot2_f32_f16 v3, v4, v12, v3
	;;#ASMEND
	v_add_u32_e32 v4, s40, v64
	;;#ASMSTART
	v_dot2_f32_f16 v3, v5, v13, v3
	;;#ASMEND
	v_ashrrev_i32_e32 v5, 31, v4
	;;#ASMSTART
	v_dot2_f32_f16 v3, v6, v14, v3
	;;#ASMEND
	v_lshl_add_u64 v[4:5], v[4:5], 1, s[36:37]
	;;#ASMSTART
	v_dot2_f32_f16 v3, v7, v15, v3
	;;#ASMEND
	flat_load_ushort v4, v[4:5]
	v_and_b32_e32 v5, 0x60, v65
	v_add_u32_e32 v95, 32, v5
	v_cmp_lt_i32_e64 s[10:11], v96, v95
	v_max_f32_e32 v6, v1, v1
	v_max_f32_e32 v7, v0, v0
	v_cndmask_b32_e64 v5, v65, v96, s[10:11]
	v_lshlrev_b32_e32 v8, 2, v5
	v_cmp_lt_i32_e64 s[10:11], v94, v95
	s_waitcnt lgkmcnt(0)
	s_barrier
	s_waitcnt vmcnt(0)
	v_cvt_f32_f16_e32 v4, v4
	v_pk_add_f32 v[2:3], v[2:3], v[4:5] op_sel_hi:[1,0]
	s_nop 0
	v_pk_add_f32 v[4:5], v[2:3], s[2:3] op_sel_hi:[1,0]
	s_nop 0
	v_max_f32_e32 v5, v6, v5
	v_max_f32_e32 v4, v7, v4
	ds_bpermute_b32 v6, v8, v5
	ds_bpermute_b32 v7, v8, v4
	v_cndmask_b32_e64 v8, v65, v94, s[10:11]
	v_lshlrev_b32_e32 v8, 2, v8
	v_cmp_lt_i32_e64 s[10:11], v93, v95
	s_waitcnt lgkmcnt(1)
	v_max_f32_e32 v6, v6, v6
	s_waitcnt lgkmcnt(0)
	v_max_f32_e32 v7, v7, v7
	v_max_f32_e32 v5, v5, v6
	v_max_f32_e32 v4, v4, v7
	ds_bpermute_b32 v6, v8, v5
	ds_bpermute_b32 v7, v8, v4
	v_cndmask_b32_e64 v8, v65, v93, s[10:11]
	v_lshlrev_b32_e32 v8, 2, v8
	v_cmp_lt_i32_e64 s[10:11], v92, v95
	s_waitcnt lgkmcnt(1)
	v_max_f32_e32 v6, v6, v6
	s_waitcnt lgkmcnt(0)
	v_max_f32_e32 v7, v7, v7
	;; [unrolled: 11-line block ×3, first 2 shown]
	v_max_f32_e32 v5, v5, v6
	v_max_f32_e32 v4, v4, v7
	ds_bpermute_b32 v6, v8, v5
	ds_bpermute_b32 v7, v8, v4
	v_cndmask_b32_e64 v8, v65, v91, s[10:11]
	v_lshlrev_b32_e32 v8, 2, v8
	s_mul_hi_i32 s11, s40, s41
	s_waitcnt lgkmcnt(1)
	v_max_f32_e32 v6, v6, v6
	s_waitcnt lgkmcnt(0)
	v_max_f32_e32 v7, v7, v7
	v_max_f32_e32 v5, v5, v6
	;; [unrolled: 1-line block ×3, first 2 shown]
	ds_bpermute_b32 v6, v8, v5
	ds_bpermute_b32 v7, v8, v4
	s_mul_i32 s10, s40, s41
	s_lshl_b64 s[10:11], s[10:11], 2
	s_add_u32 s12, s45, s10
	s_waitcnt lgkmcnt(1)
	v_max_f32_e32 v6, v6, v6
	s_waitcnt lgkmcnt(0)
	v_max_f32_e32 v7, v7, v7
	v_max_f32_e32 v75, v5, v6
	;; [unrolled: 1-line block ×3, first 2 shown]
	v_pk_add_f32 v[2:3], v[2:3], v[74:75] neg_lo:[0,1] neg_hi:[0,1]
	s_addc_u32 s13, s46, s11
	v_mul_f32_e32 v4, 0x3fb8aa3b, v3
	v_mul_f32_e32 v5, 0x3fb8aa3b, v2
	v_fma_f32 v6, v3, s47, -v4
	v_rndne_f32_e32 v7, v4
	v_fma_f32 v8, v2, s47, -v5
	v_rndne_f32_e32 v9, v5
	v_fmac_f32_e32 v6, 0x32a5705f, v3
	v_sub_f32_e32 v4, v4, v7
	v_fmac_f32_e32 v8, 0x32a5705f, v2
	v_sub_f32_e32 v5, v5, v9
	v_add_f32_e32 v4, v4, v6
	v_cvt_i32_f32_e32 v7, v7
	v_add_f32_e32 v5, v5, v8
	v_exp_f32_e32 v4, v4
	v_cvt_i32_f32_e32 v9, v9
	v_exp_f32_e32 v5, v5
	v_cmp_ngt_f32_e64 s[10:11], s48, v3
	v_ldexp_f32 v4, v4, v7
	v_ldexp_f32 v5, v5, v9
	v_cndmask_b32_e64 v4, 0, v4, s[10:11]
	v_cmp_ngt_f32_e64 s[10:11], s48, v2
	s_nop 1
	v_cndmask_b32_e64 v5, 0, v5, s[10:11]
	v_cmp_nlt_f32_e64 s[10:11], s49, v3
	s_nop 1
	v_cndmask_b32_e64 v77, v90, v4, s[10:11]
	v_cmp_nlt_f32_e64 s[10:11], s49, v2
	v_cvt_f16_f32_e32 v2, v77
	s_nop 0
	v_cndmask_b32_e64 v76, v90, v5, s[10:11]
	v_cvt_f16_f32_e32 v3, v76
	v_pack_b32_f16 v2, v3, v2
	ds_write_b32 v86, v2
	s_and_saveexec_b64 s[10:11], s[6:7]
	s_cbranch_execz .LBB24_21
; %bb.20:                               ;   in Loop: Header=BB24_11 Depth=1
	v_lshl_add_u64 v[2:3], v[68:69], 2, s[12:13]
	v_lshl_add_u64 v[2:3], v[2:3], 0, v[60:61]
	global_load_dwordx4 v[2:5], v[2:3], off offset:128
	s_waitcnt vmcnt(0)
	ds_write_b128 v88, v[2:5]
.LBB24_21:                              ;   in Loop: Header=BB24_11 Depth=1
	s_or_b64 exec, exec, s[10:11]
	v_lshlrev_b32_e32 v78, 2, v70
	s_and_saveexec_b64 s[10:11], s[8:9]
	s_cbranch_execz .LBB24_23
; %bb.22:                               ;   in Loop: Header=BB24_11 Depth=1
	v_lshl_add_u64 v[2:3], v[72:73], 2, s[12:13]
	v_mov_b32_e32 v79, v61
	v_lshl_add_u64 v[2:3], v[2:3], 0, v[78:79]
	global_load_dwordx4 v[2:5], v[2:3], off
	s_waitcnt vmcnt(0)
	ds_write_b128 v89, v[2:5]
.LBB24_23:                              ;   in Loop: Header=BB24_11 Depth=1
	s_or_b64 exec, exec, s[10:11]
	v_pk_add_f32 v[80:81], v[0:1], v[74:75] neg_lo:[0,1] neg_hi:[0,1]
	s_waitcnt lgkmcnt(0)
	s_barrier
	ds_read2_b64 v[44:47], v87 offset1:20
	ds_read_b128 v[36:39], v85
	ds_read_b128 v[20:23], v85 offset:16
	ds_read_b128 v[4:7], v85 offset:32
	;; [unrolled: 1-line block ×3, first 2 shown]
	ds_read2_b64 v[40:43], v87 offset0:40 offset1:60
	ds_read2_b64 v[32:35], v87 offset0:80 offset1:100
	;; [unrolled: 1-line block ×5, first 2 shown]
	v_add_u32_e32 v98, 0x400, v87
	v_add_u32_e32 v97, 0x800, v87
	ds_read2_b64 v[12:15], v98 offset0:112 offset1:132
	ds_read2_b64 v[8:11], v97 offset0:24 offset1:44
	s_or_b32 s28, s40, 16
	s_mul_hi_i32 s29, s28, s41
	s_mul_i32 s28, s28, s41
	s_lshl_b64 s[28:29], s[28:29], 2
	s_add_u32 s28, s45, s28
	v_cmp_ngt_f32_e64 s[14:15], s48, v81
	v_cmp_nlt_f32_e64 s[16:17], s49, v81
	v_cmp_ngt_f32_e64 s[10:11], s48, v80
	v_cmp_nlt_f32_e64 s[12:13], s49, v80
	s_addc_u32 s29, s46, s29
	s_waitcnt lgkmcnt(0)
	s_barrier
	s_and_saveexec_b64 s[38:39], s[6:7]
	s_cbranch_execz .LBB24_25
; %bb.24:                               ;   in Loop: Header=BB24_11 Depth=1
	v_lshl_add_u64 v[100:101], v[68:69], 2, s[28:29]
	v_lshl_add_u64 v[100:101], v[100:101], 0, v[60:61]
	global_load_dwordx4 v[100:103], v[100:101], off offset:128
	s_waitcnt vmcnt(0)
	ds_write_b128 v88, v[100:103]
.LBB24_25:                              ;   in Loop: Header=BB24_11 Depth=1
	s_or_b64 exec, exec, s[38:39]
	v_mul_f32_e32 v60, 0x3fb8aa3b, v81
	v_fma_f32 v79, v81, s47, -v60
	v_fmac_f32_e32 v79, 0x32a5705f, v81
	v_rndne_f32_e32 v81, v60
	v_sub_f32_e32 v60, v60, v81
	v_add_f32_e32 v60, v60, v79
	v_cvt_i32_f32_e32 v79, v81
	v_mul_f32_e32 v81, 0x3fb8aa3b, v80
	v_fma_f32 v99, v80, s47, -v81
	v_fmac_f32_e32 v99, 0x32a5705f, v80
	v_rndne_f32_e32 v80, v81
	v_exp_f32_e32 v60, v60
	v_sub_f32_e32 v81, v81, v80
	v_add_f32_e32 v81, v81, v99
	v_exp_f32_e32 v99, v81
	v_cvt_i32_f32_e32 v80, v80
	v_ldexp_f32 v60, v60, v79
	v_cndmask_b32_e64 v60, 0, v60, s[14:15]
	v_cndmask_b32_e64 v81, v90, v60, s[16:17]
	v_ldexp_f32 v60, v99, v80
	v_cndmask_b32_e64 v60, 0, v60, s[10:11]
	v_cndmask_b32_e64 v80, v90, v60, s[12:13]
	s_and_saveexec_b64 s[10:11], s[8:9]
	s_cbranch_execz .LBB24_27
; %bb.26:                               ;   in Loop: Header=BB24_11 Depth=1
	v_lshl_add_u64 v[100:101], v[72:73], 2, s[28:29]
	v_mov_b32_e32 v79, v61
	v_lshl_add_u64 v[78:79], v[100:101], 0, v[78:79]
	global_load_dwordx4 v[100:103], v[78:79], off
	s_waitcnt vmcnt(0)
	ds_write_b128 v89, v[100:103]
.LBB24_27:                              ;   in Loop: Header=BB24_11 Depth=1
	s_or_b64 exec, exec, s[10:11]
	v_cvt_f16_f32_e32 v60, v81
	v_cvt_f16_f32_e32 v78, v80
	v_pk_mul_f16 v79, v44, v36 op_sel_hi:[1,0]
	v_pk_mul_f16 v44, v44, v36 op_sel:[0,1]
	v_pk_mul_f16 v59, v60, v59 op_sel_hi:[0,1]
	v_pk_fma_f16 v44, v60, v53, v44 op_sel_hi:[0,1,1]
	v_pk_mul_f16 v53, v45, v36 op_sel_hi:[1,0]
	v_pk_fma_f16 v67, v78, v67, v79 op_sel_hi:[0,1,1]
	v_pk_fma_f16 v52, v78, v52, v53 op_sel_hi:[0,1,1]
	v_pk_fma_f16 v36, v45, v36, v59 op_sel:[0,1,0]
	v_pk_fma_f16 v45, v46, v37, v67 op_sel_hi:[1,0,1]
	v_pk_fma_f16 v44, v46, v37, v44 op_sel:[0,1,0]
	;; [unrolled: 2-line block ×31, first 2 shown]
	s_waitcnt lgkmcnt(0)
	s_barrier
	ds_read2_b64 v[0:3], v87 offset1:20
	ds_read_b128 v[4:7], v85 offset:64
	ds_read_b128 v[8:11], v85 offset:80
	;; [unrolled: 1-line block ×4, first 2 shown]
	v_pk_fma_f32 v[54:55], v[54:55], v[80:81], v[76:77]
	s_waitcnt lgkmcnt(3)
	v_pk_fma_f16 v24, v0, v4, v20 op_sel_hi:[1,0,1]
	v_pk_fma_f16 v0, v0, v4, v21 op_sel:[0,1,0]
	v_pk_fma_f16 v25, v1, v4, v22 op_sel_hi:[1,0,1]
	v_pk_fma_f16 v1, v1, v4, v23 op_sel:[0,1,0]
	ds_read2_b64 v[20:23], v87 offset0:40 offset1:60
	v_pk_fma_f16 v4, v2, v5, v24 op_sel_hi:[1,0,1]
	v_pk_fma_f16 v0, v2, v5, v0 op_sel:[0,1,0]
	v_pk_fma_f16 v2, v3, v5, v25 op_sel_hi:[1,0,1]
	v_pk_fma_f16 v1, v3, v5, v1 op_sel:[0,1,0]
	s_waitcnt lgkmcnt(0)
	v_pk_fma_f16 v4, v20, v6, v4 op_sel_hi:[1,0,1]
	v_pk_fma_f16 v5, v20, v6, v0 op_sel:[0,1,0]
	v_pk_fma_f16 v20, v21, v6, v2 op_sel_hi:[1,0,1]
	v_pk_fma_f16 v6, v21, v6, v1 op_sel:[0,1,0]
	ds_read2_b64 v[0:3], v87 offset0:80 offset1:100
	v_pk_fma_f16 v4, v22, v7, v4 op_sel_hi:[1,0,1]
	v_pk_fma_f16 v5, v22, v7, v5 op_sel:[0,1,0]
	v_pk_fma_f16 v20, v23, v7, v20 op_sel_hi:[1,0,1]
	v_pk_fma_f16 v6, v23, v7, v6 op_sel:[0,1,0]
	;; [unrolled: 10-line block ×6, first 2 shown]
	s_waitcnt lgkmcnt(0)
	v_pk_fma_f16 v8, v0, v16, v8 op_sel_hi:[1,0,1]
	v_pk_fma_f16 v0, v0, v16, v4 op_sel:[0,1,0]
	v_pk_fma_f16 v9, v1, v16, v6 op_sel_hi:[1,0,1]
	v_pk_fma_f16 v1, v1, v16, v5 op_sel:[0,1,0]
	ds_read2_b64 v[4:7], v97 offset0:24 offset1:44
	s_waitcnt lgkmcnt(0)
	s_barrier
	s_load_dword s10, s[22:23], 0x4
	v_pk_fma_f16 v8, v2, v17, v8 op_sel_hi:[1,0,1]
	v_pk_fma_f16 v0, v2, v17, v0 op_sel:[0,1,0]
	v_pk_fma_f16 v2, v3, v17, v9 op_sel_hi:[1,0,1]
	v_pk_fma_f16 v1, v3, v17, v1 op_sel:[0,1,0]
	s_waitcnt lgkmcnt(0)
	s_lshl_b32 s10, s10, 5
	v_pk_fma_f16 v3, v4, v18, v8 op_sel_hi:[1,0,1]
	v_pk_fma_f16 v0, v4, v18, v0 op_sel:[0,1,0]
	v_pk_fma_f16 v2, v5, v18, v2 op_sel_hi:[1,0,1]
	v_pk_fma_f16 v1, v5, v18, v1 op_sel:[0,1,0]
	s_add_i32 s40, s10, s40
	v_pk_fma_f16 v67, v6, v19, v3 op_sel_hi:[1,0,1]
	v_pk_fma_f16 v53, v6, v19, v0 op_sel:[0,1,0]
	v_pk_fma_f16 v52, v7, v19, v2 op_sel_hi:[1,0,1]
	s_cmp_ge_i32 s40, s34
	v_pk_fma_f16 v59, v7, v19, v1 op_sel:[0,1,0]
	s_cbranch_scc1 .LBB24_29
; %bb.28:                               ;   in Loop: Header=BB24_11 Depth=1
	v_mov_b32_e32 v0, v74
	v_mov_b32_e32 v1, v75
	s_branch .LBB24_11
.LBB24_29:
	v_cmp_lt_i32_e32 vcc, v96, v95
	s_cmp_lg_u64 s[20:21], 0
	s_cselect_b64 s[4:5], -1, 0
	v_cndmask_b32_e32 v0, v65, v96, vcc
	v_lshlrev_b32_e32 v1, 2, v0
	ds_bpermute_b32 v0, v1, v54
	ds_bpermute_b32 v1, v1, v55
	v_cmp_lt_i32_e32 vcc, v94, v95
	s_cmp_eq_u32 s3, 0
	s_cselect_b64 s[6:7], -1, 0
	v_cndmask_b32_e32 v2, v65, v94, vcc
	v_lshlrev_b32_e32 v3, 2, v2
	s_waitcnt lgkmcnt(0)
	v_pk_add_f32 v[0:1], v[54:55], v[0:1]
	ds_bpermute_b32 v2, v3, v0
	ds_bpermute_b32 v3, v3, v1
	v_cmp_lt_i32_e32 vcc, v93, v95
	s_and_b64 s[4:5], s[6:7], s[4:5]
	s_waitcnt lgkmcnt(0)
	v_pk_add_f32 v[0:1], v[0:1], v[2:3]
	v_cndmask_b32_e32 v4, v65, v93, vcc
	v_lshlrev_b32_e32 v4, 2, v4
	ds_bpermute_b32 v2, v4, v0
	ds_bpermute_b32 v3, v4, v1
	v_cmp_lt_i32_e32 vcc, v92, v95
	s_waitcnt lgkmcnt(0)
	v_pk_add_f32 v[0:1], v[0:1], v[2:3]
	v_cndmask_b32_e32 v4, v65, v92, vcc
	v_lshlrev_b32_e32 v4, 2, v4
	ds_bpermute_b32 v2, v4, v0
	ds_bpermute_b32 v3, v4, v1
	v_cmp_lt_i32_e32 vcc, v91, v95
	s_waitcnt lgkmcnt(0)
	v_pk_add_f32 v[0:1], v[0:1], v[2:3]
	v_cndmask_b32_e32 v4, v65, v91, vcc
	v_lshlrev_b32_e32 v4, 2, v4
	ds_bpermute_b32 v2, v4, v0
	ds_bpermute_b32 v3, v4, v1
	s_and_b64 vcc, exec, s[4:5]
	s_waitcnt lgkmcnt(0)
	v_pk_add_f32 v[0:1], v[0:1], v[2:3]
	s_cbranch_vccz .LBB24_31
; %bb.30:
	v_add_u32_e32 v2, s35, v51
	v_ashrrev_i32_e32 v3, 31, v2
	v_lshl_add_u64 v[2:3], v[2:3], 2, s[20:21]
	global_load_dwordx2 v[2:3], v[2:3], off
	v_max_f32_e32 v4, v75, v75
	v_max_f32_e32 v6, v74, v74
	s_mov_b32 s2, 0x3fb8aa3b
	s_mov_b32 s4, 0xc2ce8ed0
	;; [unrolled: 1-line block ×3, first 2 shown]
	v_mov_b32_e32 v8, 0x7f800000
	s_waitcnt vmcnt(0)
	v_max_f32_e32 v5, v3, v3
	v_max_f32_e32 v7, v2, v2
	;; [unrolled: 1-line block ×4, first 2 shown]
	v_pk_add_f32 v[6:7], v[74:75], v[4:5] neg_lo:[0,1] neg_hi:[0,1]
	v_pk_add_f32 v[2:3], v[2:3], v[4:5] neg_lo:[0,1] neg_hi:[0,1]
	v_mul_f32_e32 v9, 0x3fb8aa3b, v7
	v_mul_f32_e32 v10, 0x3fb8aa3b, v6
	v_fma_f32 v13, v7, s2, -v9
	v_rndne_f32_e32 v14, v9
	v_mul_f32_e32 v11, 0x3fb8aa3b, v3
	v_fma_f32 v15, v6, s2, -v10
	v_rndne_f32_e32 v16, v10
	v_fmac_f32_e32 v13, 0x32a5705f, v7
	v_sub_f32_e32 v9, v9, v14
	v_mul_f32_e32 v12, 0x3fb8aa3b, v2
	v_fma_f32 v17, v3, s2, -v11
	v_rndne_f32_e32 v18, v11
	v_fmac_f32_e32 v15, 0x32a5705f, v6
	v_sub_f32_e32 v10, v10, v16
	v_add_f32_e32 v9, v9, v13
	v_fma_f32 v19, v2, s2, -v12
	v_rndne_f32_e32 v20, v12
	v_cvt_i32_f32_e32 v14, v14
	v_fmac_f32_e32 v17, 0x32a5705f, v3
	v_sub_f32_e32 v11, v11, v18
	v_add_f32_e32 v10, v10, v15
	v_exp_f32_e32 v9, v9
	v_cvt_i32_f32_e32 v16, v16
	v_fmac_f32_e32 v19, 0x32a5705f, v2
	v_sub_f32_e32 v12, v12, v20
	v_add_f32_e32 v11, v11, v17
	v_exp_f32_e32 v10, v10
	v_cvt_i32_f32_e32 v18, v18
	v_add_f32_e32 v12, v12, v19
	v_exp_f32_e32 v11, v11
	v_cvt_i32_f32_e32 v20, v20
	v_exp_f32_e32 v12, v12
	v_ldexp_f32 v9, v9, v14
	v_cmp_ngt_f32_e32 vcc, s4, v7
	v_ldexp_f32 v10, v10, v16
	v_ldexp_f32 v11, v11, v18
	v_cndmask_b32_e32 v9, 0, v9, vcc
	v_cmp_ngt_f32_e32 vcc, s4, v6
	v_ldexp_f32 v12, v12, v20
	v_mov_b64_e32 v[74:75], v[4:5]
	v_cndmask_b32_e32 v10, 0, v10, vcc
	v_cmp_ngt_f32_e32 vcc, s4, v3
	s_nop 1
	v_cndmask_b32_e32 v11, 0, v11, vcc
	v_cmp_ngt_f32_e32 vcc, s4, v2
	s_nop 1
	v_cndmask_b32_e32 v12, 0, v12, vcc
	v_cmp_nlt_f32_e32 vcc, s5, v7
	s_nop 1
	v_cndmask_b32_e32 v7, v8, v9, vcc
	v_cmp_nlt_f32_e32 vcc, s5, v6
	;; [unrolled: 3-line block ×3, first 2 shown]
	v_cvt_f16_f32_e32 v9, v6
	v_pk_mul_f16 v67, v9, v67 op_sel_hi:[0,1]
	v_cndmask_b32_e32 v3, v8, v11, vcc
	v_cmp_nlt_f32_e32 vcc, s5, v2
	v_pk_mul_f16 v52, v9, v52 op_sel_hi:[0,1]
	s_nop 0
	v_cndmask_b32_e32 v2, v8, v12, vcc
	v_cvt_f16_f32_e32 v8, v7
	v_pk_fma_f32 v[0:1], v[0:1], v[6:7], v[2:3]
	v_pk_mul_f16 v53, v8, v53 op_sel_hi:[0,1]
	v_pk_mul_f16 v59, v8, v59 op_sel_hi:[0,1]
.LBB24_31:
	v_cmp_gt_i32_e32 vcc, s30, v49
	s_and_saveexec_b64 s[4:5], vcc
	s_cbranch_execz .LBB24_41
; %bb.32:
	s_load_dword s2, s[0:1], 0xd4
	v_mov_b32_e32 v4, 1.0
	s_waitcnt lgkmcnt(0)
	s_cmp_lg_u32 s2, 1
	s_cselect_b64 s[4:5], -1, 0
	s_cmp_eq_u32 s2, 1
	s_cselect_b64 s[0:1], -1, 0
	s_and_b64 vcc, exec, s[4:5]
	s_cbranch_vccnz .LBB24_34
; %bb.33:
	v_div_scale_f32 v2, s[6:7], v0, v0, 1.0
	v_rcp_f32_e32 v3, v2
	v_div_scale_f32 v4, vcc, 1.0, v0, 1.0
	v_fma_f32 v5, -v2, v3, 1.0
	v_fmac_f32_e32 v3, v5, v3
	v_mul_f32_e32 v5, v4, v3
	v_fma_f32 v6, -v2, v5, v4
	v_fmac_f32_e32 v5, v6, v3
	v_fma_f32 v2, -v2, v5, v4
	v_div_fmas_f32 v2, v2, v3, v5
	v_div_fixup_f32 v4, v2, v0, 1.0
.LBB24_34:
	s_mul_i32 s33, s33, s30
	v_add_u32_e32 v2, s33, v49
	v_mul_lo_u32 v2, v2, s31
	v_add3_u32 v2, s35, v51, v2
	v_mul_lo_u32 v5, s2, v2
	v_add_u32_e32 v2, s3, v5
	s_and_saveexec_b64 s[6:7], s[18:19]
	s_cbranch_execz .LBB24_36
; %bb.35:
	v_cvt_f32_f16_sdwa v9, v67 dst_sel:DWORD dst_unused:UNUSED_PAD src0_sel:WORD_1
	v_cvt_f32_f16_e32 v8, v67
	v_cvt_f32_f16_sdwa v11, v52 dst_sel:DWORD dst_unused:UNUSED_PAD src0_sel:WORD_1
	v_cvt_f32_f16_e32 v10, v52
	s_movk_i32 s8, 0x50
	v_mad_u64_u32 v[6:7], s[8:9], v2, s8, v[48:49]
	v_mov_b32_e32 v7, 0
	v_lshl_add_u64 v[12:13], v[6:7], 2, s[24:25]
	v_pk_mul_f32 v[6:7], v[4:5], v[8:9] op_sel_hi:[0,1]
	v_pk_mul_f32 v[8:9], v[4:5], v[10:11] op_sel_hi:[0,1]
	global_store_dwordx4 v[12:13], v[6:9], off
.LBB24_36:
	s_or_b64 exec, exec, s[6:7]
	v_cmp_eq_u32_e32 vcc, 0, v50
	s_and_b64 s[4:5], vcc, s[4:5]
	s_and_saveexec_b64 s[6:7], s[4:5]
	s_cbranch_execnz .LBB24_42
; %bb.37:
	s_or_b64 exec, exec, s[6:7]
	s_andn2_b64 vcc, exec, s[0:1]
	v_mov_b32_e32 v0, 1.0
	s_cbranch_vccz .LBB24_43
.LBB24_38:
	s_add_i32 s3, s3, s2
	v_add_u32_e32 v2, s3, v5
	s_and_saveexec_b64 s[0:1], s[18:19]
	s_cbranch_execnz .LBB24_44
.LBB24_39:
	s_or_b64 exec, exec, s[0:1]
	s_and_b64 exec, exec, s[4:5]
	s_cbranch_execz .LBB24_41
.LBB24_40:
	v_ashrrev_i32_e32 v3, 31, v2
	v_lshl_add_u64 v[2:3], v[2:3], 3, s[26:27]
	v_mov_b32_e32 v0, v75
	global_store_dwordx2 v[2:3], v[0:1], off
.LBB24_41:
	s_endpgm
.LBB24_42:
	v_ashrrev_i32_e32 v3, 31, v2
	v_lshl_add_u64 v[2:3], v[2:3], 3, s[26:27]
	v_mov_b32_e32 v6, v74
	v_mov_b32_e32 v7, v0
	global_store_dwordx2 v[2:3], v[6:7], off
	s_or_b64 exec, exec, s[6:7]
	s_andn2_b64 vcc, exec, s[0:1]
	v_mov_b32_e32 v0, 1.0
	s_cbranch_vccnz .LBB24_38
.LBB24_43:
	v_div_scale_f32 v0, s[0:1], v1, v1, 1.0
	v_rcp_f32_e32 v2, v0
	v_div_scale_f32 v3, vcc, 1.0, v1, 1.0
	v_fma_f32 v4, -v0, v2, 1.0
	v_fmac_f32_e32 v2, v4, v2
	v_mul_f32_e32 v4, v3, v2
	v_fma_f32 v6, -v0, v4, v3
	v_fmac_f32_e32 v4, v6, v2
	v_fma_f32 v0, -v0, v4, v3
	v_div_fmas_f32 v0, v0, v2, v4
	v_div_fixup_f32 v0, v0, v1, 1.0
	s_add_i32 s3, s3, s2
	v_add_u32_e32 v2, s3, v5
	s_and_saveexec_b64 s[0:1], s[18:19]
	s_cbranch_execz .LBB24_39
.LBB24_44:
	v_cvt_f32_f16_sdwa v7, v53 dst_sel:DWORD dst_unused:UNUSED_PAD src0_sel:WORD_1
	v_cvt_f32_f16_e32 v6, v53
	v_cvt_f32_f16_sdwa v9, v59 dst_sel:DWORD dst_unused:UNUSED_PAD src0_sel:WORD_1
	v_cvt_f32_f16_e32 v8, v59
	s_movk_i32 s2, 0x50
	v_mad_u64_u32 v[4:5], s[2:3], v2, s2, v[48:49]
	v_mov_b32_e32 v5, 0
	v_lshl_add_u64 v[10:11], v[4:5], 2, s[24:25]
	v_pk_mul_f32 v[4:5], v[0:1], v[6:7] op_sel_hi:[0,1]
	v_pk_mul_f32 v[6:7], v[0:1], v[8:9] op_sel_hi:[0,1]
	global_store_dwordx4 v[10:11], v[4:7], off
	s_or_b64 exec, exec, s[0:1]
	s_and_b64 exec, exec, s[4:5]
	s_cbranch_execnz .LBB24_40
	s_branch .LBB24_41
	.section	.rodata,"a",@progbits
	.p2align	6, 0x0
	.amdhsa_kernel _ZL15flash_attn_tileILi80ELi80ELi4ELi4ELb0EEvPKcS1_S1_S1_S1_PKiPfP15HIP_vector_typeIfLj2EEffffjfiS5_IjLj3EEiiiiiiiiiiiliiliiiiil
		.amdhsa_group_segment_fixed_size 6848
		.amdhsa_private_segment_fixed_size 0
		.amdhsa_kernarg_size 464
		.amdhsa_user_sgpr_count 2
		.amdhsa_user_sgpr_dispatch_ptr 0
		.amdhsa_user_sgpr_queue_ptr 0
		.amdhsa_user_sgpr_kernarg_segment_ptr 1
		.amdhsa_user_sgpr_dispatch_id 0
		.amdhsa_user_sgpr_kernarg_preload_length 0
		.amdhsa_user_sgpr_kernarg_preload_offset 0
		.amdhsa_user_sgpr_private_segment_size 0
		.amdhsa_uses_dynamic_stack 0
		.amdhsa_enable_private_segment 0
		.amdhsa_system_sgpr_workgroup_id_x 1
		.amdhsa_system_sgpr_workgroup_id_y 1
		.amdhsa_system_sgpr_workgroup_id_z 1
		.amdhsa_system_sgpr_workgroup_info 0
		.amdhsa_system_vgpr_workitem_id 1
		.amdhsa_next_free_vgpr 104
		.amdhsa_next_free_sgpr 50
		.amdhsa_accum_offset 104
		.amdhsa_reserve_vcc 1
		.amdhsa_float_round_mode_32 0
		.amdhsa_float_round_mode_16_64 0
		.amdhsa_float_denorm_mode_32 3
		.amdhsa_float_denorm_mode_16_64 3
		.amdhsa_dx10_clamp 1
		.amdhsa_ieee_mode 1
		.amdhsa_fp16_overflow 0
		.amdhsa_tg_split 0
		.amdhsa_exception_fp_ieee_invalid_op 0
		.amdhsa_exception_fp_denorm_src 0
		.amdhsa_exception_fp_ieee_div_zero 0
		.amdhsa_exception_fp_ieee_overflow 0
		.amdhsa_exception_fp_ieee_underflow 0
		.amdhsa_exception_fp_ieee_inexact 0
		.amdhsa_exception_int_div_zero 0
	.end_amdhsa_kernel
	.section	.text._ZL15flash_attn_tileILi80ELi80ELi4ELi4ELb0EEvPKcS1_S1_S1_S1_PKiPfP15HIP_vector_typeIfLj2EEffffjfiS5_IjLj3EEiiiiiiiiiiiliiliiiiil,"axG",@progbits,_ZL15flash_attn_tileILi80ELi80ELi4ELi4ELb0EEvPKcS1_S1_S1_S1_PKiPfP15HIP_vector_typeIfLj2EEffffjfiS5_IjLj3EEiiiiiiiiiiiliiliiiiil,comdat
.Lfunc_end24:
	.size	_ZL15flash_attn_tileILi80ELi80ELi4ELi4ELb0EEvPKcS1_S1_S1_S1_PKiPfP15HIP_vector_typeIfLj2EEffffjfiS5_IjLj3EEiiiiiiiiiiiliiliiiiil, .Lfunc_end24-_ZL15flash_attn_tileILi80ELi80ELi4ELi4ELb0EEvPKcS1_S1_S1_S1_PKiPfP15HIP_vector_typeIfLj2EEffffjfiS5_IjLj3EEiiiiiiiiiiiliiliiiiil
                                        ; -- End function
	.section	.AMDGPU.csdata,"",@progbits
; Kernel info:
; codeLenInByte = 6724
; NumSgprs: 56
; NumVgprs: 104
; NumAgprs: 0
; TotalNumVgprs: 104
; ScratchSize: 0
; MemoryBound: 0
; FloatMode: 240
; IeeeMode: 1
; LDSByteSize: 6848 bytes/workgroup (compile time only)
; SGPRBlocks: 6
; VGPRBlocks: 12
; NumSGPRsForWavesPerEU: 56
; NumVGPRsForWavesPerEU: 104
; AccumOffset: 104
; Occupancy: 4
; WaveLimiterHint : 1
; COMPUTE_PGM_RSRC2:SCRATCH_EN: 0
; COMPUTE_PGM_RSRC2:USER_SGPR: 2
; COMPUTE_PGM_RSRC2:TRAP_HANDLER: 0
; COMPUTE_PGM_RSRC2:TGID_X_EN: 1
; COMPUTE_PGM_RSRC2:TGID_Y_EN: 1
; COMPUTE_PGM_RSRC2:TGID_Z_EN: 1
; COMPUTE_PGM_RSRC2:TIDIG_COMP_CNT: 1
; COMPUTE_PGM_RSRC3_GFX90A:ACCUM_OFFSET: 25
; COMPUTE_PGM_RSRC3_GFX90A:TG_SPLIT: 0
	.section	.text._ZL33flash_attn_stream_k_fixup_uniformILi80ELi4ELi4EEvPfPK15HIP_vector_typeIfLj2EEiiiiiiS1_IjLj3EES5_S5_,"axG",@progbits,_ZL33flash_attn_stream_k_fixup_uniformILi80ELi4ELi4EEvPfPK15HIP_vector_typeIfLj2EEiiiiiiS1_IjLj3EES5_S5_,comdat
	.globl	_ZL33flash_attn_stream_k_fixup_uniformILi80ELi4ELi4EEvPfPK15HIP_vector_typeIfLj2EEiiiiiiS1_IjLj3EES5_S5_ ; -- Begin function _ZL33flash_attn_stream_k_fixup_uniformILi80ELi4ELi4EEvPfPK15HIP_vector_typeIfLj2EEiiiiiiS1_IjLj3EES5_S5_
	.p2align	8
	.type	_ZL33flash_attn_stream_k_fixup_uniformILi80ELi4ELi4EEvPfPK15HIP_vector_typeIfLj2EEiiiiiiS1_IjLj3EES5_S5_,@function
_ZL33flash_attn_stream_k_fixup_uniformILi80ELi4ELi4EEvPfPK15HIP_vector_typeIfLj2EEiiiiiiS1_IjLj3EES5_S5_: ; @_ZL33flash_attn_stream_k_fixup_uniformILi80ELi4ELi4EEvPfPK15HIP_vector_typeIfLj2EEiiiiiiS1_IjLj3EES5_S5_
; %bb.0:
	s_load_dwordx8 s[8:15], s[0:1], 0x1c
	s_load_dwordx2 s[6:7], s[0:1], 0x10
	s_load_dwordx4 s[16:19], s[0:1], 0x3c
	s_waitcnt lgkmcnt(0)
	s_mul_hi_u32 s5, s11, s2
	s_add_i32 s5, s2, s5
	s_lshr_b32 s5, s5, s12
	s_mul_i32 s11, s5, s13
	s_sub_i32 s12, s2, s11
	s_mul_hi_u32 s11, s12, s14
	s_add_i32 s11, s12, s11
	s_lshr_b32 s11, s11, s15
	s_mul_i32 s13, s11, s16
	s_sub_i32 s12, s12, s13
	;; [unrolled: 5-line block ×3, first 2 shown]
	s_lshl_b32 s12, s16, 2
	s_lshl_b32 s17, s13, 2
	s_add_i32 s12, s12, s3
	s_cmp_lt_i32 s12, s6
	s_cselect_b64 s[12:13], -1, 0
	s_add_i32 s17, s17, s4
	s_cmp_lt_i32 s17, s9
	s_cselect_b64 s[14:15], -1, 0
	s_and_b64 s[12:13], s[12:13], s[14:15]
	s_andn2_b64 vcc, exec, s[12:13]
	s_cbranch_vccnz .LBB25_6
; %bb.1:
	s_load_dwordx4 s[12:15], s[0:1], 0x0
	s_mul_i32 s0, s5, s6
	s_mul_i32 s11, s11, s9
	s_add_i32 s0, s0, s3
	s_mul_i32 s0, s0, s7
	s_add_i32 s5, s17, s11
	;; [unrolled: 2-line block ×3, first 2 shown]
	s_mulk_i32 s1, 0x140
	s_mulk_i32 s0, 0x50
	s_add_i32 s0, s0, s1
	v_add_u32_e32 v4, s0, v0
	s_waitcnt lgkmcnt(0)
	v_mov_b32_e32 v2, s12
	v_mov_b32_e32 v3, s13
	v_ashrrev_i32_e32 v5, 31, v4
	v_lshl_add_u64 v[2:3], v[4:5], 2, v[2:3]
	global_load_dword v7, v[2:3], off
	s_mul_i32 s5, s2, s10
	s_lshl_b32 s11, s3, 2
	s_add_i32 s9, s5, s10
	s_add_i32 s0, s11, s4
	s_lshl_b32 s1, s9, 4
	s_add_i32 s0, s0, s1
	s_add_i32 s0, s0, -16
	s_ashr_i32 s1, s0, 31
	s_lshl_b64 s[0:1], s[0:1], 3
	s_add_u32 s0, s14, s0
	s_addc_u32 s1, s15, s1
	s_load_dword s12, s[0:1], 0x4
	s_add_i32 s6, s9, -2
	s_cmp_lt_i32 s6, s5
	s_cbranch_scc1 .LBB25_4
; %bb.2:
	s_lshl_b32 s6, s8, 6
	s_ashr_i32 s7, s6, 31
	s_lshl_b64 s[6:7], s[6:7], 2
	s_add_u32 s6, s14, s6
	s_addc_u32 s7, s15, s7
	s_add_i32 s2, s2, 1
	s_load_dword s0, s[0:1], 0x0
	s_mul_i32 s1, s10, s2
	s_lshl_b32 s2, s1, 4
	s_add_i32 s2, s4, s2
	s_mulk_i32 s3, 0x140
	s_mulk_i32 s4, 0x50
	s_lshl_b32 s8, s8, 4
	s_mulk_i32 s1, 0x500
	s_add_i32 s3, s4, s3
	s_add_i32 s2, s2, s8
	;; [unrolled: 1-line block ×4, first 2 shown]
	v_add_u32_e32 v0, s3, v0
	s_add_i32 s9, s9, -1
	s_sub_i32 s2, s2, 32
	v_add_u32_e32 v0, 0xfffff600, v0
	s_waitcnt lgkmcnt(0)
	v_mov_b32_e32 v6, s12
	v_mov_b32_e32 v5, s0
	s_mov_b32 s4, 0x3fb8aa3b
	s_mov_b32 s8, 0xc2ce8ed0
	;; [unrolled: 1-line block ×3, first 2 shown]
	v_mov_b32_e32 v4, 0x7f800000
	s_mov_b32 s11, 0xc1a00000
.LBB25_3:                               ; =>This Inner Loop Header: Depth=1
	v_ashrrev_i32_e32 v1, 31, v0
	v_lshl_add_u64 v[8:9], v[0:1], 2, s[6:7]
	global_load_dword v1, v[8:9], off
	s_ashr_i32 s3, s2, 31
	s_lshl_b64 s[0:1], s[2:3], 3
	s_add_u32 s0, s14, s0
	s_addc_u32 s1, s15, s1
	s_load_dwordx2 s[12:13], s[0:1], 0x0
	s_waitcnt vmcnt(1)
	v_mov_b32_e32 v8, v7
	v_max_f32_e32 v7, v5, v5
	v_mov_b32_e32 v9, v6
	s_add_i32 s9, s9, -1
	s_waitcnt lgkmcnt(0)
	v_max_f32_e64 v6, s12, s12
	v_max_f32_e32 v6, v7, v6
	v_sub_f32_e32 v10, s12, v6
	v_sub_f32_e32 v7, v5, v6
	v_mul_f32_e32 v11, 0x3fb8aa3b, v10
	v_mov_b32_e32 v5, v6
	v_mul_f32_e32 v6, 0x3fb8aa3b, v7
	v_fma_f32 v14, v10, s4, -v11
	v_rndne_f32_e32 v15, v11
	v_fma_f32 v12, v7, s4, -v6
	v_rndne_f32_e32 v13, v6
	v_fmac_f32_e32 v14, 0x32a5705f, v10
	v_sub_f32_e32 v11, v11, v15
	v_fmac_f32_e32 v12, 0x32a5705f, v7
	v_sub_f32_e32 v6, v6, v13
	v_add_f32_e32 v11, v11, v14
	v_cvt_i32_f32_e32 v15, v15
	v_add_f32_e32 v6, v6, v12
	v_exp_f32_e32 v11, v11
	v_cvt_i32_f32_e32 v13, v13
	v_exp_f32_e32 v6, v6
	v_cmp_ngt_f32_e32 vcc, s8, v10
	v_ldexp_f32 v11, v11, v15
	v_cmp_ngt_f32_e64 s[0:1], s8, v7
	v_ldexp_f32 v6, v6, v13
	v_cndmask_b32_e32 v11, 0, v11, vcc
	v_cmp_nlt_f32_e32 vcc, s10, v10
	v_cndmask_b32_e64 v6, 0, v6, s[0:1]
	v_cmp_nlt_f32_e64 s[0:1], s10, v7
	v_cndmask_b32_e32 v11, v4, v11, vcc
	v_cmp_le_f32_e32 vcc, s11, v10
	v_cndmask_b32_e64 v6, v4, v6, s[0:1]
	v_cmp_le_f32_e64 s[0:1], s11, v7
	v_cndmask_b32_e32 v7, 0, v11, vcc
	s_add_i32 s2, s2, -16
	v_cndmask_b32_e64 v10, 0, v6, s[0:1]
	v_mul_f32_e32 v6, s13, v7
	v_add_u32_e32 v0, 0xfffffb00, v0
	s_cmp_le_i32 s9, s5
	v_fmac_f32_e32 v6, v9, v10
	s_waitcnt vmcnt(0)
	v_mul_f32_e32 v7, v1, v7
	v_fmac_f32_e32 v7, v8, v10
	s_cbranch_scc0 .LBB25_3
	s_branch .LBB25_5
.LBB25_4:
	s_waitcnt lgkmcnt(0)
	v_mov_b32_e32 v6, s12
.LBB25_5:
	s_waitcnt vmcnt(0)
	v_div_scale_f32 v0, s[0:1], v6, v6, v7
	v_rcp_f32_e32 v1, v0
	v_div_scale_f32 v4, vcc, v7, v6, v7
	v_fma_f32 v5, -v0, v1, 1.0
	v_fmac_f32_e32 v1, v5, v1
	v_mul_f32_e32 v5, v4, v1
	v_fma_f32 v8, -v0, v5, v4
	v_fmac_f32_e32 v5, v8, v1
	v_fma_f32 v0, -v0, v5, v4
	v_div_fmas_f32 v0, v0, v1, v5
	v_div_fixup_f32 v0, v0, v6, v7
	global_store_dword v[2:3], v0, off
.LBB25_6:
	s_endpgm
	.section	.rodata,"a",@progbits
	.p2align	6, 0x0
	.amdhsa_kernel _ZL33flash_attn_stream_k_fixup_uniformILi80ELi4ELi4EEvPfPK15HIP_vector_typeIfLj2EEiiiiiiS1_IjLj3EES5_S5_
		.amdhsa_group_segment_fixed_size 0
		.amdhsa_private_segment_fixed_size 0
		.amdhsa_kernarg_size 76
		.amdhsa_user_sgpr_count 2
		.amdhsa_user_sgpr_dispatch_ptr 0
		.amdhsa_user_sgpr_queue_ptr 0
		.amdhsa_user_sgpr_kernarg_segment_ptr 1
		.amdhsa_user_sgpr_dispatch_id 0
		.amdhsa_user_sgpr_kernarg_preload_length 0
		.amdhsa_user_sgpr_kernarg_preload_offset 0
		.amdhsa_user_sgpr_private_segment_size 0
		.amdhsa_uses_dynamic_stack 0
		.amdhsa_enable_private_segment 0
		.amdhsa_system_sgpr_workgroup_id_x 1
		.amdhsa_system_sgpr_workgroup_id_y 1
		.amdhsa_system_sgpr_workgroup_id_z 1
		.amdhsa_system_sgpr_workgroup_info 0
		.amdhsa_system_vgpr_workitem_id 0
		.amdhsa_next_free_vgpr 16
		.amdhsa_next_free_sgpr 20
		.amdhsa_accum_offset 16
		.amdhsa_reserve_vcc 1
		.amdhsa_float_round_mode_32 0
		.amdhsa_float_round_mode_16_64 0
		.amdhsa_float_denorm_mode_32 3
		.amdhsa_float_denorm_mode_16_64 3
		.amdhsa_dx10_clamp 1
		.amdhsa_ieee_mode 1
		.amdhsa_fp16_overflow 0
		.amdhsa_tg_split 0
		.amdhsa_exception_fp_ieee_invalid_op 0
		.amdhsa_exception_fp_denorm_src 0
		.amdhsa_exception_fp_ieee_div_zero 0
		.amdhsa_exception_fp_ieee_overflow 0
		.amdhsa_exception_fp_ieee_underflow 0
		.amdhsa_exception_fp_ieee_inexact 0
		.amdhsa_exception_int_div_zero 0
	.end_amdhsa_kernel
	.section	.text._ZL33flash_attn_stream_k_fixup_uniformILi80ELi4ELi4EEvPfPK15HIP_vector_typeIfLj2EEiiiiiiS1_IjLj3EES5_S5_,"axG",@progbits,_ZL33flash_attn_stream_k_fixup_uniformILi80ELi4ELi4EEvPfPK15HIP_vector_typeIfLj2EEiiiiiiS1_IjLj3EES5_S5_,comdat
.Lfunc_end25:
	.size	_ZL33flash_attn_stream_k_fixup_uniformILi80ELi4ELi4EEvPfPK15HIP_vector_typeIfLj2EEiiiiiiS1_IjLj3EES5_S5_, .Lfunc_end25-_ZL33flash_attn_stream_k_fixup_uniformILi80ELi4ELi4EEvPfPK15HIP_vector_typeIfLj2EEiiiiiiS1_IjLj3EES5_S5_
                                        ; -- End function
	.section	.AMDGPU.csdata,"",@progbits
; Kernel info:
; codeLenInByte = 836
; NumSgprs: 26
; NumVgprs: 16
; NumAgprs: 0
; TotalNumVgprs: 16
; ScratchSize: 0
; MemoryBound: 0
; FloatMode: 240
; IeeeMode: 1
; LDSByteSize: 0 bytes/workgroup (compile time only)
; SGPRBlocks: 3
; VGPRBlocks: 1
; NumSGPRsForWavesPerEU: 26
; NumVGPRsForWavesPerEU: 16
; AccumOffset: 16
; Occupancy: 8
; WaveLimiterHint : 0
; COMPUTE_PGM_RSRC2:SCRATCH_EN: 0
; COMPUTE_PGM_RSRC2:USER_SGPR: 2
; COMPUTE_PGM_RSRC2:TRAP_HANDLER: 0
; COMPUTE_PGM_RSRC2:TGID_X_EN: 1
; COMPUTE_PGM_RSRC2:TGID_Y_EN: 1
; COMPUTE_PGM_RSRC2:TGID_Z_EN: 1
; COMPUTE_PGM_RSRC2:TIDIG_COMP_CNT: 0
; COMPUTE_PGM_RSRC3_GFX90A:ACCUM_OFFSET: 3
; COMPUTE_PGM_RSRC3_GFX90A:TG_SPLIT: 0
	.section	.text._ZL33flash_attn_stream_k_fixup_generalILi80ELi4ELi4EEvPfPK15HIP_vector_typeIfLj2EEiiiiS1_IjLj3EES5_S5_S5_,"axG",@progbits,_ZL33flash_attn_stream_k_fixup_generalILi80ELi4ELi4EEvPfPK15HIP_vector_typeIfLj2EEiiiiS1_IjLj3EES5_S5_S5_,comdat
	.globl	_ZL33flash_attn_stream_k_fixup_generalILi80ELi4ELi4EEvPfPK15HIP_vector_typeIfLj2EEiiiiS1_IjLj3EES5_S5_S5_ ; -- Begin function _ZL33flash_attn_stream_k_fixup_generalILi80ELi4ELi4EEvPfPK15HIP_vector_typeIfLj2EEiiiiS1_IjLj3EES5_S5_S5_
	.p2align	8
	.type	_ZL33flash_attn_stream_k_fixup_generalILi80ELi4ELi4EEvPfPK15HIP_vector_typeIfLj2EEiiiiS1_IjLj3EES5_S5_S5_,@function
_ZL33flash_attn_stream_k_fixup_generalILi80ELi4ELi4EEvPfPK15HIP_vector_typeIfLj2EEiiiiS1_IjLj3EES5_S5_S5_: ; @_ZL33flash_attn_stream_k_fixup_generalILi80ELi4ELi4EEvPfPK15HIP_vector_typeIfLj2EEiiiiS1_IjLj3EES5_S5_S5_
; %bb.0:
	s_load_dwordx4 s[12:15], s[0:1], 0x10
	s_load_dword s22, s[0:1], 0x50
	s_mov_b32 s8, 0
	s_waitcnt lgkmcnt(0)
	s_mul_hi_i32 s9, s15, s2
	s_cmp_lg_u64 s[8:9], 0
	s_mul_i32 s5, s15, s2
	s_cbranch_scc0 .LBB26_21
; %bb.1:
	v_cvt_f32_u32_e32 v1, s22
	v_cvt_f32_ubyte0_e32 v2, 0
	s_sub_u32 s8, 0, s22
	s_subb_u32 s10, 0, 0
	v_fmamk_f32 v1, v2, 0x4f800000, v1
	v_rcp_f32_e32 v1, v1
	s_nop 0
	v_mul_f32_e32 v1, 0x5f7ffffc, v1
	v_mul_f32_e32 v2, 0x2f800000, v1
	v_trunc_f32_e32 v2, v2
	v_fmamk_f32 v1, v2, 0xcf800000, v1
	v_cvt_u32_f32_e32 v2, v2
	v_cvt_u32_f32_e32 v1, v1
	v_readfirstlane_b32 s11, v2
	v_readfirstlane_b32 s16, v1
	s_mul_i32 s17, s8, s11
	s_mul_hi_u32 s19, s8, s16
	s_mul_i32 s18, s10, s16
	s_add_i32 s17, s19, s17
	s_add_i32 s17, s17, s18
	s_mul_i32 s20, s8, s16
	s_mul_hi_u32 s18, s16, s17
	s_mul_i32 s19, s16, s17
	s_mul_hi_u32 s16, s16, s20
	s_add_u32 s16, s16, s19
	s_addc_u32 s18, 0, s18
	s_mul_hi_u32 s21, s11, s20
	s_mul_i32 s20, s11, s20
	s_add_u32 s16, s16, s20
	s_mul_hi_u32 s19, s11, s17
	s_addc_u32 s16, s18, s21
	s_addc_u32 s18, s19, 0
	s_mul_i32 s17, s11, s17
	s_add_u32 s16, s16, s17
	s_addc_u32 s17, 0, s18
	v_add_co_u32_e32 v1, vcc, s16, v1
	s_cmp_lg_u64 vcc, 0
	s_addc_u32 s11, s11, s17
	v_readfirstlane_b32 s17, v1
	s_mul_i32 s16, s8, s11
	s_mul_hi_u32 s18, s8, s17
	s_add_i32 s16, s18, s16
	s_mul_i32 s10, s10, s17
	s_add_i32 s16, s16, s10
	s_mul_i32 s8, s8, s17
	s_mul_hi_u32 s18, s11, s8
	s_mul_i32 s19, s11, s8
	s_mul_i32 s21, s17, s16
	s_mul_hi_u32 s8, s17, s8
	s_mul_hi_u32 s20, s17, s16
	s_add_u32 s8, s8, s21
	s_addc_u32 s17, 0, s20
	s_add_u32 s8, s8, s19
	s_mul_hi_u32 s10, s11, s16
	s_addc_u32 s8, s17, s18
	s_addc_u32 s10, s10, 0
	s_mul_i32 s16, s11, s16
	s_add_u32 s8, s8, s16
	s_addc_u32 s10, 0, s10
	v_add_co_u32_e32 v1, vcc, s8, v1
	s_cmp_lg_u64 vcc, 0
	s_addc_u32 s16, s11, s10
	s_ashr_i32 s10, s9, 31
	s_add_u32 s8, s5, s10
	s_mov_b32 s11, s10
	s_addc_u32 s9, s9, s10
	s_xor_b64 s[8:9], s[8:9], s[10:11]
	v_readfirstlane_b32 s19, v1
	s_mul_i32 s18, s8, s16
	s_mul_hi_u32 s20, s8, s19
	s_mul_hi_u32 s17, s8, s16
	s_add_u32 s18, s20, s18
	s_addc_u32 s17, 0, s17
	s_mul_hi_u32 s21, s9, s19
	s_mul_i32 s19, s9, s19
	s_add_u32 s18, s18, s19
	s_mul_hi_u32 s20, s9, s16
	s_addc_u32 s17, s17, s21
	s_addc_u32 s18, s20, 0
	s_mul_i32 s16, s9, s16
	s_add_u32 s16, s17, s16
	s_addc_u32 s17, 0, s18
	s_add_u32 s18, s16, 1
	s_addc_u32 s19, s17, 0
	s_add_u32 s20, s16, 2
	s_mul_i32 s23, s22, s17
	s_mul_hi_u32 s24, s22, s16
	s_addc_u32 s21, s17, 0
	s_add_i32 s24, s24, s23
	s_mul_i32 s23, s22, s16
	v_mov_b32_e32 v1, s23
	v_sub_co_u32_e32 v1, vcc, s8, v1
	s_cmp_lg_u64 vcc, 0
	s_subb_u32 s8, s9, s24
	v_subrev_co_u32_e32 v2, vcc, s22, v1
	s_cmp_lg_u64 vcc, 0
	s_subb_u32 s9, s8, 0
	v_readfirstlane_b32 s23, v2
	s_cmp_ge_u32 s23, s22
	s_cselect_b32 s23, -1, 0
	s_cmp_eq_u32 s9, 0
	s_cselect_b32 s9, s23, -1
	s_cmp_lg_u32 s9, 0
	s_cselect_b32 s9, s21, s19
	v_readfirstlane_b32 s19, v1
	s_cselect_b32 s18, s20, s18
	s_cmp_ge_u32 s19, s22
	s_cselect_b32 s19, -1, 0
	s_cmp_eq_u32 s8, 0
	s_cselect_b32 s8, s19, -1
	s_cmp_lg_u32 s8, 0
	s_cselect_b32 s9, s9, s17
	s_cselect_b32 s8, s18, s16
	s_xor_b64 s[8:9], s[8:9], s[10:11]
	s_sub_u32 s20, s8, s10
	s_load_dwordx4 s[16:19], s[0:1], 0x44
	s_cbranch_execnz .LBB26_3
.LBB26_2:
	v_cvt_f32_u32_e32 v1, s22
	s_sub_i32 s6, 0, s22
	v_rcp_iflag_f32_e32 v1, v1
	s_nop 0
	v_mul_f32_e32 v1, 0x4f7ffffe, v1
	v_cvt_u32_f32_e32 v1, v1
	s_nop 0
	v_readfirstlane_b32 s7, v1
	s_mul_i32 s6, s6, s7
	s_mul_hi_u32 s6, s7, s6
	s_add_i32 s7, s7, s6
	s_mul_hi_u32 s6, s5, s7
	s_mul_i32 s8, s6, s22
	s_sub_i32 s5, s5, s8
	s_add_i32 s7, s6, 1
	s_sub_i32 s8, s5, s22
	s_cmp_ge_u32 s5, s22
	s_cselect_b32 s6, s7, s6
	s_cselect_b32 s5, s8, s5
	s_add_i32 s7, s6, 1
	s_cmp_ge_u32 s5, s22
	s_cselect_b32 s20, s7, s6
.LBB26_3:
	s_add_i32 s5, s2, 1
	s_mul_hi_i32 s9, s15, s5
	s_mov_b32 s8, 0
	s_cmp_lg_u64 s[8:9], 0
	s_mul_i32 s5, s15, s5
	s_cbranch_scc0 .LBB26_22
; %bb.4:
	v_cvt_f32_u32_e32 v1, s22
	v_cvt_f32_ubyte0_e32 v2, 0
	s_sub_u32 s8, 0, s22
	s_subb_u32 s10, 0, 0
	v_fmamk_f32 v1, v2, 0x4f800000, v1
	v_rcp_f32_e32 v1, v1
	s_nop 0
	v_mul_f32_e32 v1, 0x5f7ffffc, v1
	v_mul_f32_e32 v2, 0x2f800000, v1
	v_trunc_f32_e32 v2, v2
	v_fmamk_f32 v1, v2, 0xcf800000, v1
	v_cvt_u32_f32_e32 v2, v2
	v_cvt_u32_f32_e32 v1, v1
	v_readfirstlane_b32 s11, v2
	s_waitcnt lgkmcnt(0)
	v_readfirstlane_b32 s19, v1
	s_mul_i32 s21, s8, s11
	s_mul_hi_u32 s24, s8, s19
	s_mul_i32 s23, s10, s19
	s_add_i32 s21, s24, s21
	s_add_i32 s21, s21, s23
	s_mul_i32 s25, s8, s19
	s_mul_hi_u32 s23, s19, s21
	s_mul_i32 s24, s19, s21
	s_mul_hi_u32 s19, s19, s25
	s_add_u32 s19, s19, s24
	s_addc_u32 s23, 0, s23
	s_mul_hi_u32 s26, s11, s25
	s_mul_i32 s25, s11, s25
	s_add_u32 s19, s19, s25
	s_mul_hi_u32 s24, s11, s21
	s_addc_u32 s19, s23, s26
	s_addc_u32 s23, s24, 0
	s_mul_i32 s21, s11, s21
	s_add_u32 s19, s19, s21
	s_addc_u32 s21, 0, s23
	v_add_co_u32_e32 v1, vcc, s19, v1
	s_cmp_lg_u64 vcc, 0
	s_addc_u32 s11, s11, s21
	v_readfirstlane_b32 s21, v1
	s_mul_i32 s19, s8, s11
	s_mul_hi_u32 s23, s8, s21
	s_add_i32 s19, s23, s19
	s_mul_i32 s10, s10, s21
	s_add_i32 s19, s19, s10
	s_mul_i32 s8, s8, s21
	s_mul_hi_u32 s23, s11, s8
	s_mul_i32 s24, s11, s8
	s_mul_i32 s26, s21, s19
	s_mul_hi_u32 s8, s21, s8
	s_mul_hi_u32 s25, s21, s19
	s_add_u32 s8, s8, s26
	s_addc_u32 s21, 0, s25
	s_add_u32 s8, s8, s24
	s_mul_hi_u32 s10, s11, s19
	s_addc_u32 s8, s21, s23
	s_addc_u32 s10, s10, 0
	s_mul_i32 s19, s11, s19
	s_add_u32 s8, s8, s19
	s_addc_u32 s10, 0, s10
	v_add_co_u32_e32 v1, vcc, s8, v1
	s_cmp_lg_u64 vcc, 0
	s_addc_u32 s19, s11, s10
	s_ashr_i32 s10, s9, 31
	s_add_u32 s8, s5, s10
	s_mov_b32 s11, s10
	s_addc_u32 s9, s9, s10
	s_xor_b64 s[8:9], s[8:9], s[10:11]
	v_readfirstlane_b32 s23, v1
	s_mul_i32 s21, s8, s19
	s_mul_hi_u32 s24, s8, s23
	s_mul_hi_u32 s11, s8, s19
	s_add_u32 s21, s24, s21
	s_addc_u32 s11, 0, s11
	s_mul_hi_u32 s25, s9, s23
	s_mul_i32 s23, s9, s23
	s_add_u32 s21, s21, s23
	s_mul_hi_u32 s24, s9, s19
	s_addc_u32 s11, s11, s25
	s_addc_u32 s21, s24, 0
	s_mul_i32 s19, s9, s19
	s_add_u32 s11, s11, s19
	s_addc_u32 s19, 0, s21
	s_mul_i32 s19, s22, s19
	s_mul_hi_u32 s24, s22, s11
	s_add_i32 s24, s24, s19
	s_mul_i32 s19, s22, s11
	v_mov_b32_e32 v1, s19
	s_add_u32 s21, s11, 1
	s_add_u32 s23, s11, 2
	v_sub_co_u32_e32 v1, vcc, s8, v1
	s_cmp_lg_u64 vcc, 0
	s_subb_u32 s8, s9, s24
	v_subrev_co_u32_e32 v2, vcc, s22, v1
	s_cmp_lg_u64 vcc, 0
	s_subb_u32 s9, s8, 0
	v_cmp_le_u32_e32 vcc, s22, v2
	s_cmp_eq_u32 s9, 0
	v_mov_b32_e32 v3, s21
	v_cndmask_b32_e64 v2, 0, -1, vcc
	s_cselect_b64 vcc, -1, 0
	v_cndmask_b32_e32 v2, -1, v2, vcc
	v_mov_b32_e32 v4, s23
	v_cmp_ne_u32_e32 vcc, 0, v2
	s_cmp_eq_u32 s8, 0
	s_nop 0
	v_cndmask_b32_e32 v2, v3, v4, vcc
	v_cmp_le_u32_e32 vcc, s22, v1
	v_mov_b32_e32 v3, s11
	s_nop 0
	v_cndmask_b32_e64 v1, 0, -1, vcc
	s_cselect_b64 vcc, -1, 0
	v_cndmask_b32_e32 v1, -1, v1, vcc
	v_cmp_ne_u32_e32 vcc, 0, v1
	s_nop 1
	v_cndmask_b32_e32 v1, v3, v2, vcc
	v_xor_b32_e32 v1, s10, v1
	v_subrev_co_u32_e32 v2, vcc, s10, v1
	s_cbranch_execnz .LBB26_6
.LBB26_5:
	v_cvt_f32_u32_e32 v1, s22
	s_sub_i32 s6, 0, s22
	s_mov_b32 s7, 0
	v_rcp_iflag_f32_e32 v1, v1
	s_nop 0
	v_mul_f32_e32 v1, 0x4f7ffffe, v1
	v_cvt_u32_f32_e32 v1, v1
	s_nop 0
	v_readfirstlane_b32 s8, v1
	s_mul_i32 s6, s6, s8
	s_mul_hi_u32 s6, s8, s6
	s_add_i32 s8, s8, s6
	s_mul_hi_u32 s6, s5, s8
	s_mul_i32 s9, s6, s22
	s_sub_i32 s5, s5, s9
	s_add_i32 s8, s6, 1
	s_sub_i32 s9, s5, s22
	s_cmp_ge_u32 s5, s22
	s_cselect_b32 s6, s8, s6
	s_cselect_b32 s5, s9, s5
	s_add_i32 s8, s6, 1
	s_cmp_ge_u32 s5, s22
	s_cselect_b32 s6, s8, s6
	v_mov_b64_e32 v[2:3], s[6:7]
.LBB26_6:
	s_waitcnt lgkmcnt(0)
	s_mul_hi_u32 s5, s20, s16
	s_add_i32 s5, s5, s20
	v_mul_hi_u32 v1, v2, s16
	s_lshr_b32 s19, s5, s17
	v_add_u32_e32 v1, v1, v2
	s_mul_i32 s5, s19, s18
	v_lshrrev_b32_e32 v1, s17, v1
	s_cmp_eq_u32 s5, s20
	v_cmp_eq_u32_e64 s[6:7], s19, v1
	v_mul_lo_u32 v1, v1, s18
	v_cmp_eq_u32_e32 vcc, s20, v2
	s_cselect_b64 s[10:11], -1, 0
	v_cmp_ne_u32_e64 s[8:9], v1, v2
	s_and_b64 s[6:7], s[6:7], s[8:9]
	s_or_b64 s[8:9], vcc, s[10:11]
	s_or_b64 s[6:7], s[8:9], s[6:7]
	s_and_b64 vcc, exec, s[6:7]
	s_cbranch_vccnz .LBB26_24
; %bb.7:
	s_load_dwordx8 s[24:31], s[0:1], 0x20
	s_load_dword s5, s[0:1], 0x40
	s_waitcnt lgkmcnt(0)
	s_mul_hi_u32 s6, s20, s24
	s_add_i32 s6, s6, s20
	s_lshr_b32 s7, s6, s25
	s_mul_i32 s6, s7, s26
	s_sub_i32 s6, s20, s6
	s_mul_hi_u32 s8, s6, s27
	s_add_i32 s8, s6, s8
	s_lshr_b32 s23, s8, s28
	s_mul_i32 s8, s23, s29
	s_sub_i32 s6, s6, s8
	;; [unrolled: 5-line block ×3, first 2 shown]
	s_mul_hi_u32 s6, s5, s16
	s_add_i32 s5, s5, s6
	s_lshr_b32 s24, s5, s17
	s_lshl_b32 s5, s24, 2
	s_lshl_b32 s25, s8, 2
	s_add_i32 s5, s5, s3
	s_cmp_lt_i32 s5, s12
	s_cselect_b64 s[8:9], -1, 0
	s_add_i32 s25, s25, s4
	s_cmp_lt_i32 s25, s14
	s_cselect_b64 s[10:11], -1, 0
	s_and_b64 s[8:9], s[8:9], s[10:11]
	s_andn2_b64 vcc, exec, s[8:9]
	s_mov_b32 s6, 0
	s_cbranch_vccnz .LBB26_24
; %bb.8:
	s_load_dwordx4 s[8:11], s[0:1], 0x0
	s_lshl_b32 s21, s3, 2
	s_lshl_b32 s0, s22, 6
	s_mov_b32 s1, s6
	s_add_i32 s21, s21, s4
	s_lshl_b64 s[0:1], s[0:1], 2
	s_waitcnt lgkmcnt(0)
	s_add_u32 s4, s10, s0
	s_mul_i32 s0, s7, s12
	s_addc_u32 s5, s11, s1
	s_mul_i32 s23, s23, s14
	s_add_i32 s0, s0, s3
	s_mul_i32 s0, s0, s13
	s_add_i32 s3, s25, s23
	;; [unrolled: 2-line block ×3, first 2 shown]
	s_mulk_i32 s1, 0x140
	s_mulk_i32 s0, 0x50
	s_add_i32 s1, s1, s0
	v_add_u32_e32 v4, s1, v0
	v_mov_b32_e32 v2, s8
	v_mov_b32_e32 v3, s9
	v_ashrrev_i32_e32 v5, 31, v4
	v_lshl_add_u64 v[2:3], v[4:5], 2, v[2:3]
	global_load_dword v5, v[2:3], off
	s_lshl_b32 s0, s2, 4
	s_add_i32 s0, s21, s0
	s_ashr_i32 s1, s0, 31
	s_lshl_b64 s[0:1], s[0:1], 3
	s_add_u32 s0, s10, s0
	s_addc_u32 s1, s11, s1
	s_add_i32 s12, s2, -1
	s_mul_i32 s2, s21, 0x50
	v_add_u32_e32 v4, s2, v0
	v_cvt_f32_u32_e32 v0, s22
	v_cvt_f32_ubyte0_e32 v1, 0
	s_load_dwordx2 s[0:1], s[0:1], 0x0
	v_mov_b32_e32 v8, s20
	v_fmac_f32_e32 v0, 0x4f800000, v1
	v_rcp_f32_e32 v0, v0
	v_cvt_f32_u32_e32 v1, s22
	s_waitcnt lgkmcnt(0)
	v_mov_b32_e32 v6, s1
	v_mov_b32_e32 v7, s0
	v_mul_f32_e32 v0, 0x5f7ffffc, v0
	v_rcp_iflag_f32_e32 v1, v1
	v_mul_f32_e32 v9, 0x2f800000, v0
	v_trunc_f32_e32 v10, v9
	v_fmac_f32_e32 v0, 0xcf800000, v10
	v_cvt_u32_f32_e32 v9, v0
	v_mul_f32_e32 v0, 0x4f7ffffe, v1
	v_cvt_u32_f32_e32 v10, v10
	v_cvt_u32_f32_e32 v11, v0
	s_mov_b32 s8, 0x3fb8aa3b
	s_mov_b32 s9, 0xc2ce8ed0
	s_mov_b32 s13, 0x42b17218
	s_mov_b32 s14, 0xc1a00000
	v_mov_b32_e32 v12, 0x7f800000
	s_mul_hi_i32 s7, s12, s15
	s_cmp_lg_u64 s[6:7], 0
	s_mul_i32 s2, s12, s15
	s_cbranch_scc0 .LBB26_15
.LBB26_9:
	s_sub_u32 s0, 0, s22
	v_readfirstlane_b32 s3, v9
	v_readfirstlane_b32 s24, v10
	s_subb_u32 s1, 0, 0
	s_mul_hi_u32 s23, s0, s3
	s_mul_i32 s25, s0, s24
	s_mul_i32 s20, s1, s3
	s_add_i32 s23, s23, s25
	s_add_i32 s23, s23, s20
	s_mul_i32 s26, s0, s3
	s_mul_hi_u32 s20, s3, s23
	s_mul_i32 s25, s3, s23
	s_mul_hi_u32 s3, s3, s26
	s_add_u32 s3, s3, s25
	s_addc_u32 s20, 0, s20
	s_mul_hi_u32 s27, s24, s26
	s_mul_i32 s26, s24, s26
	s_add_u32 s3, s3, s26
	s_mul_hi_u32 s25, s24, s23
	s_addc_u32 s3, s20, s27
	s_addc_u32 s20, s25, 0
	s_mul_i32 s23, s24, s23
	s_add_u32 s3, s3, s23
	s_addc_u32 s20, 0, s20
	v_add_co_u32_e32 v0, vcc, s3, v9
	s_cmp_lg_u64 vcc, 0
	s_addc_u32 s3, s24, s20
	v_readfirstlane_b32 s23, v0
	s_mul_i32 s20, s0, s3
	s_mul_hi_u32 s24, s0, s23
	s_add_i32 s20, s24, s20
	s_mul_i32 s1, s1, s23
	s_add_i32 s20, s20, s1
	s_mul_i32 s0, s0, s23
	s_mul_hi_u32 s24, s3, s0
	s_mul_i32 s25, s3, s0
	s_mul_i32 s27, s23, s20
	s_mul_hi_u32 s0, s23, s0
	s_mul_hi_u32 s26, s23, s20
	s_add_u32 s0, s0, s27
	s_addc_u32 s23, 0, s26
	s_add_u32 s0, s0, s25
	s_mul_hi_u32 s1, s3, s20
	s_addc_u32 s0, s23, s24
	s_addc_u32 s1, s1, 0
	s_mul_i32 s20, s3, s20
	s_add_u32 s0, s0, s20
	s_addc_u32 s1, 0, s1
	v_add_co_u32_e32 v0, vcc, s0, v0
	s_cmp_lg_u64 vcc, 0
	s_addc_u32 s3, s3, s1
	s_ashr_i32 s0, s7, 31
	s_add_u32 s24, s2, s0
	s_mov_b32 s1, s0
	s_addc_u32 s25, s7, s0
	s_xor_b64 s[24:25], s[24:25], s[0:1]
	v_readfirstlane_b32 s20, v0
	s_mul_i32 s7, s24, s3
	s_mul_hi_u32 s23, s24, s20
	s_mul_hi_u32 s1, s24, s3
	s_add_u32 s7, s23, s7
	s_addc_u32 s1, 0, s1
	s_mul_hi_u32 s26, s25, s20
	s_mul_i32 s20, s25, s20
	s_add_u32 s7, s7, s20
	s_mul_hi_u32 s23, s25, s3
	s_addc_u32 s1, s1, s26
	s_addc_u32 s7, s23, 0
	s_mul_i32 s3, s25, s3
	s_add_u32 s1, s1, s3
	s_addc_u32 s3, 0, s7
	s_mul_i32 s3, s22, s3
	s_mul_hi_u32 s23, s22, s1
	s_add_i32 s23, s23, s3
	s_mul_i32 s3, s22, s1
	v_mov_b32_e32 v0, s3
	s_add_u32 s7, s1, 1
	s_add_u32 s20, s1, 2
	v_sub_co_u32_e32 v0, vcc, s24, v0
	s_cmp_lg_u64 vcc, 0
	s_subb_u32 s3, s25, s23
	v_subrev_co_u32_e32 v1, vcc, s22, v0
	s_cmp_lg_u64 vcc, 0
	s_subb_u32 s23, s3, 0
	v_cmp_le_u32_e32 vcc, s22, v1
	s_cmp_eq_u32 s23, 0
	v_mov_b32_e32 v13, s7
	v_cndmask_b32_e64 v1, 0, -1, vcc
	s_cselect_b64 vcc, -1, 0
	v_cndmask_b32_e32 v1, -1, v1, vcc
	v_mov_b32_e32 v14, s20
	v_cmp_ne_u32_e32 vcc, 0, v1
	s_cmp_eq_u32 s3, 0
	s_nop 0
	v_cndmask_b32_e32 v1, v13, v14, vcc
	v_cmp_le_u32_e32 vcc, s22, v0
	v_mov_b32_e32 v13, s1
	s_nop 0
	v_cndmask_b32_e64 v0, 0, -1, vcc
	s_cselect_b64 vcc, -1, 0
	v_cndmask_b32_e32 v0, -1, v0, vcc
	v_cmp_ne_u32_e32 vcc, 0, v0
	s_nop 1
	v_cndmask_b32_e32 v0, v13, v1, vcc
	v_xor_b32_e32 v0, s0, v0
	v_subrev_co_u32_e32 v0, vcc, s0, v0
	s_cbranch_execnz .LBB26_11
.LBB26_10:
	s_sub_i32 s0, 0, s22
	v_mul_lo_u32 v0, s0, v11
	v_mul_hi_u32 v0, v11, v0
	v_add_u32_e32 v0, v11, v0
	v_mul_hi_u32 v0, s2, v0
	v_mul_lo_u32 v13, v0, s22
	v_sub_u32_e32 v13, s2, v13
	v_add_u32_e32 v1, 1, v0
	v_subrev_u32_e32 v14, s22, v13
	v_cmp_le_u32_e32 vcc, s22, v13
	s_nop 1
	v_cndmask_b32_e32 v13, v13, v14, vcc
	v_cndmask_b32_e32 v0, v0, v1, vcc
	v_add_u32_e32 v1, 1, v0
	v_cmp_le_u32_e32 vcc, s22, v13
	s_nop 1
	v_cndmask_b32_e32 v0, v0, v1, vcc
.LBB26_11:
	v_cmp_ne_u32_e32 vcc, v8, v0
	s_cbranch_vccz .LBB26_14
; %bb.12:
	s_add_i32 s0, s12, s22
	s_lshl_b32 s0, s0, 4
	v_mul_hi_u32 v1, v0, s16
	s_add_i32 s0, s0, s21
	s_mov_b32 s1, s6
	v_add_u32_e32 v1, v1, v0
	s_lshl_b64 s[0:1], s[0:1], 3
	v_lshrrev_b32_e32 v1, s17, v1
	s_add_u32 s2, s10, s0
	v_mul_lo_u32 v13, v1, s18
	s_addc_u32 s3, s11, s1
	v_cmp_eq_u32_e32 vcc, v13, v0
	v_cmp_gt_u32_e64 s[0:1], s19, v1
	s_or_b64 s[0:1], s[0:1], vcc
	s_and_b64 vcc, exec, s[0:1]
	s_cbranch_vccnz .LBB26_16
; %bb.13:
	s_add_i32 s7, s12, -1
	s_mov_b64 s[0:1], 0
	s_branch .LBB26_17
.LBB26_14:
                                        ; implicit-def: $sgpr0_sgpr1
                                        ; implicit-def: $vgpr14
                                        ; implicit-def: $vgpr1
                                        ; implicit-def: $vgpr13
                                        ; implicit-def: $sgpr7
                                        ; implicit-def: $vgpr0
	s_branch .LBB26_18
.LBB26_15:
                                        ; implicit-def: $vgpr0_vgpr1
	s_branch .LBB26_10
.LBB26_16:
	s_mov_b64 s[0:1], -1
	s_mov_b32 s7, s12
	v_mov_b32_e32 v0, v8
.LBB26_17:
	s_mul_i32 s20, s12, 0x500
	v_add_u32_e32 v14, s20, v4
	v_ashrrev_i32_e32 v15, 31, v14
	v_lshl_add_u64 v[14:15], v[14:15], 2, s[4:5]
	global_load_dword v14, v[14:15], off
	s_load_dwordx2 s[2:3], s[2:3], 0x0
	v_max_f32_e32 v1, v7, v7
	s_waitcnt lgkmcnt(0)
	v_max_f32_e64 v13, s2, s2
	v_max_f32_e32 v1, v1, v13
	v_sub_f32_e32 v13, v7, v1
	v_sub_f32_e32 v15, s2, v1
	v_mul_f32_e32 v16, 0x3fb8aa3b, v13
	v_mul_f32_e32 v17, 0x3fb8aa3b, v15
	v_fma_f32 v18, v13, s8, -v16
	v_rndne_f32_e32 v19, v16
	v_fma_f32 v20, v15, s8, -v17
	v_rndne_f32_e32 v21, v17
	v_fmac_f32_e32 v18, 0x32a5705f, v13
	v_sub_f32_e32 v16, v16, v19
	v_fmac_f32_e32 v20, 0x32a5705f, v15
	v_sub_f32_e32 v17, v17, v21
	v_add_f32_e32 v16, v16, v18
	v_cvt_i32_f32_e32 v19, v19
	v_add_f32_e32 v17, v17, v20
	v_exp_f32_e32 v16, v16
	v_cvt_i32_f32_e32 v21, v21
	v_exp_f32_e32 v17, v17
	v_cmp_ngt_f32_e32 vcc, s9, v13
	v_ldexp_f32 v16, v16, v19
	v_ldexp_f32 v17, v17, v21
	v_cndmask_b32_e32 v16, 0, v16, vcc
	v_cmp_ngt_f32_e32 vcc, s9, v15
	s_nop 1
	v_cndmask_b32_e32 v17, 0, v17, vcc
	v_cmp_nlt_f32_e32 vcc, s13, v13
	s_nop 1
	v_cndmask_b32_e32 v16, v12, v16, vcc
	v_cmp_nlt_f32_e32 vcc, s13, v15
	s_nop 1
	v_cndmask_b32_e32 v17, v12, v17, vcc
	v_cmp_le_f32_e32 vcc, s14, v13
	s_nop 1
	v_cndmask_b32_e32 v16, 0, v16, vcc
	v_cmp_le_f32_e32 vcc, s14, v15
	s_nop 1
	v_cndmask_b32_e32 v15, 0, v17, vcc
	v_mul_f32_e32 v13, s3, v15
	v_fmac_f32_e32 v13, v6, v16
	s_waitcnt vmcnt(0)
	v_mul_f32_e32 v14, v14, v15
	v_fmac_f32_e32 v14, v5, v16
	s_cbranch_execnz .LBB26_19
.LBB26_18:
	s_add_i32 s7, s12, -1
	s_mov_b64 s[0:1], 0
	v_mov_b32_e32 v0, v8
	v_mov_b32_e32 v13, v6
	;; [unrolled: 1-line block ×3, first 2 shown]
	s_waitcnt vmcnt(0)
	v_mov_b32_e32 v14, v5
.LBB26_19:
	s_andn2_b64 vcc, exec, s[0:1]
	s_cbranch_vccz .LBB26_23
; %bb.20:
	v_mov_b32_e32 v8, v0
	s_mov_b32 s12, s7
	v_mov_b32_e32 v6, v13
	v_mov_b32_e32 v7, v1
	s_waitcnt vmcnt(0)
	v_mov_b32_e32 v5, v14
	s_mul_hi_i32 s7, s12, s15
	s_cmp_lg_u64 s[6:7], 0
	s_mul_i32 s2, s12, s15
	s_cbranch_scc1 .LBB26_9
	s_branch .LBB26_15
.LBB26_21:
                                        ; implicit-def: $sgpr20_sgpr21
	s_load_dwordx4 s[16:19], s[0:1], 0x44
	s_branch .LBB26_2
.LBB26_22:
                                        ; implicit-def: $vgpr2_vgpr3
	s_branch .LBB26_5
.LBB26_23:
	v_div_scale_f32 v0, s[0:1], v13, v13, v14
	v_rcp_f32_e32 v1, v0
	v_div_scale_f32 v4, vcc, v14, v13, v14
	s_waitcnt vmcnt(0)
	v_fma_f32 v5, -v0, v1, 1.0
	v_fmac_f32_e32 v1, v5, v1
	v_mul_f32_e32 v5, v4, v1
	v_fma_f32 v6, -v0, v5, v4
	v_fmac_f32_e32 v5, v6, v1
	v_fma_f32 v0, -v0, v5, v4
	v_div_fmas_f32 v0, v0, v1, v5
	v_div_fixup_f32 v0, v0, v13, v14
	global_store_dword v[2:3], v0, off
.LBB26_24:
	s_endpgm
	.section	.rodata,"a",@progbits
	.p2align	6, 0x0
	.amdhsa_kernel _ZL33flash_attn_stream_k_fixup_generalILi80ELi4ELi4EEvPfPK15HIP_vector_typeIfLj2EEiiiiS1_IjLj3EES5_S5_S5_
		.amdhsa_group_segment_fixed_size 0
		.amdhsa_private_segment_fixed_size 0
		.amdhsa_kernarg_size 336
		.amdhsa_user_sgpr_count 2
		.amdhsa_user_sgpr_dispatch_ptr 0
		.amdhsa_user_sgpr_queue_ptr 0
		.amdhsa_user_sgpr_kernarg_segment_ptr 1
		.amdhsa_user_sgpr_dispatch_id 0
		.amdhsa_user_sgpr_kernarg_preload_length 0
		.amdhsa_user_sgpr_kernarg_preload_offset 0
		.amdhsa_user_sgpr_private_segment_size 0
		.amdhsa_uses_dynamic_stack 0
		.amdhsa_enable_private_segment 0
		.amdhsa_system_sgpr_workgroup_id_x 1
		.amdhsa_system_sgpr_workgroup_id_y 1
		.amdhsa_system_sgpr_workgroup_id_z 1
		.amdhsa_system_sgpr_workgroup_info 0
		.amdhsa_system_vgpr_workitem_id 0
		.amdhsa_next_free_vgpr 22
		.amdhsa_next_free_sgpr 32
		.amdhsa_accum_offset 24
		.amdhsa_reserve_vcc 1
		.amdhsa_float_round_mode_32 0
		.amdhsa_float_round_mode_16_64 0
		.amdhsa_float_denorm_mode_32 3
		.amdhsa_float_denorm_mode_16_64 3
		.amdhsa_dx10_clamp 1
		.amdhsa_ieee_mode 1
		.amdhsa_fp16_overflow 0
		.amdhsa_tg_split 0
		.amdhsa_exception_fp_ieee_invalid_op 0
		.amdhsa_exception_fp_denorm_src 0
		.amdhsa_exception_fp_ieee_div_zero 0
		.amdhsa_exception_fp_ieee_overflow 0
		.amdhsa_exception_fp_ieee_underflow 0
		.amdhsa_exception_fp_ieee_inexact 0
		.amdhsa_exception_int_div_zero 0
	.end_amdhsa_kernel
	.section	.text._ZL33flash_attn_stream_k_fixup_generalILi80ELi4ELi4EEvPfPK15HIP_vector_typeIfLj2EEiiiiS1_IjLj3EES5_S5_S5_,"axG",@progbits,_ZL33flash_attn_stream_k_fixup_generalILi80ELi4ELi4EEvPfPK15HIP_vector_typeIfLj2EEiiiiS1_IjLj3EES5_S5_S5_,comdat
.Lfunc_end26:
	.size	_ZL33flash_attn_stream_k_fixup_generalILi80ELi4ELi4EEvPfPK15HIP_vector_typeIfLj2EEiiiiS1_IjLj3EES5_S5_S5_, .Lfunc_end26-_ZL33flash_attn_stream_k_fixup_generalILi80ELi4ELi4EEvPfPK15HIP_vector_typeIfLj2EEiiiiS1_IjLj3EES5_S5_S5_
                                        ; -- End function
	.section	.AMDGPU.csdata,"",@progbits
; Kernel info:
; codeLenInByte = 2868
; NumSgprs: 38
; NumVgprs: 22
; NumAgprs: 0
; TotalNumVgprs: 22
; ScratchSize: 0
; MemoryBound: 0
; FloatMode: 240
; IeeeMode: 1
; LDSByteSize: 0 bytes/workgroup (compile time only)
; SGPRBlocks: 4
; VGPRBlocks: 2
; NumSGPRsForWavesPerEU: 38
; NumVGPRsForWavesPerEU: 22
; AccumOffset: 24
; Occupancy: 8
; WaveLimiterHint : 0
; COMPUTE_PGM_RSRC2:SCRATCH_EN: 0
; COMPUTE_PGM_RSRC2:USER_SGPR: 2
; COMPUTE_PGM_RSRC2:TRAP_HANDLER: 0
; COMPUTE_PGM_RSRC2:TGID_X_EN: 1
; COMPUTE_PGM_RSRC2:TGID_Y_EN: 1
; COMPUTE_PGM_RSRC2:TGID_Z_EN: 1
; COMPUTE_PGM_RSRC2:TIDIG_COMP_CNT: 0
; COMPUTE_PGM_RSRC3_GFX90A:ACCUM_OFFSET: 5
; COMPUTE_PGM_RSRC3_GFX90A:TG_SPLIT: 0
	.section	.text._ZL15flash_attn_tileILi80ELi80ELi2ELi4ELb0EEvPKcS1_S1_S1_S1_PKiPfP15HIP_vector_typeIfLj2EEffffjfiS5_IjLj3EEiiiiiiiiiiiliiliiiiil,"axG",@progbits,_ZL15flash_attn_tileILi80ELi80ELi2ELi4ELb0EEvPKcS1_S1_S1_S1_PKiPfP15HIP_vector_typeIfLj2EEffffjfiS5_IjLj3EEiiiiiiiiiiiliiliiiiil,comdat
	.globl	_ZL15flash_attn_tileILi80ELi80ELi2ELi4ELb0EEvPKcS1_S1_S1_S1_PKiPfP15HIP_vector_typeIfLj2EEffffjfiS5_IjLj3EEiiiiiiiiiiiliiliiiiil ; -- Begin function _ZL15flash_attn_tileILi80ELi80ELi2ELi4ELb0EEvPKcS1_S1_S1_S1_PKiPfP15HIP_vector_typeIfLj2EEffffjfiS5_IjLj3EEiiiiiiiiiiiliiliiiiil
	.p2align	8
	.type	_ZL15flash_attn_tileILi80ELi80ELi2ELi4ELb0EEvPKcS1_S1_S1_S1_PKiPfP15HIP_vector_typeIfLj2EEffffjfiS5_IjLj3EEiiiiiiiiiiiliiliiiiil,@function
_ZL15flash_attn_tileILi80ELi80ELi2ELi4ELb0EEvPKcS1_S1_S1_S1_PKiPfP15HIP_vector_typeIfLj2EEffffjfiS5_IjLj3EEiiiiiiiiiiiliiliiiiil: ; @_ZL15flash_attn_tileILi80ELi80ELi2ELi4ELb0EEvPKcS1_S1_S1_S1_PKiPfP15HIP_vector_typeIfLj2EEffffjfiS5_IjLj3EEiiiiiiiiiiiliiliiiiil
; %bb.0:
	s_load_dwordx4 s[24:27], s[0:1], 0x5c
	s_load_dwordx2 s[28:29], s[0:1], 0x80
	s_mov_b64 s[30:31], 0
	s_waitcnt lgkmcnt(0)
	s_ashr_i32 s5, s27, 31
	s_lshr_b32 s5, s5, 30
	s_add_i32 s5, s27, s5
	s_ashr_i32 s5, s5, 2
	v_cvt_f32_u32_e32 v1, s5
	s_sub_i32 s6, 0, s5
	v_rcp_iflag_f32_e32 v1, v1
	s_nop 0
	v_mul_f32_e32 v1, 0x4f7ffffe, v1
	v_cvt_u32_f32_e32 v1, v1
	s_nop 0
	v_readfirstlane_b32 s7, v1
	s_mul_i32 s6, s6, s7
	s_mul_hi_u32 s6, s7, s6
	s_add_i32 s7, s7, s6
	s_mul_hi_u32 s6, s4, s7
	s_mul_i32 s7, s6, s5
	s_sub_i32 s7, s4, s7
	s_add_i32 s8, s6, 1
	s_sub_i32 s9, s7, s5
	s_cmp_ge_u32 s7, s5
	s_cselect_b32 s6, s8, s6
	s_cselect_b32 s7, s9, s7
	s_add_i32 s8, s6, 1
	s_cmp_ge_u32 s7, s5
	s_cselect_b32 s33, s8, s6
	s_abs_i32 s5, s29
	v_cvt_f32_u32_e32 v1, s5
	s_sub_i32 s8, 0, s5
	s_abs_i32 s7, s27
	s_lshl_b32 s6, s4, 2
	v_rcp_iflag_f32_e32 v1, v1
	s_xor_b32 s4, s27, s29
	s_ashr_i32 s4, s4, 31
	v_mul_f32_e32 v1, 0x4f7ffffe, v1
	v_cvt_u32_f32_e32 v1, v1
	s_nop 0
	v_readfirstlane_b32 s9, v1
	s_mul_i32 s8, s8, s9
	s_mul_hi_u32 s8, s9, s8
	s_add_i32 s9, s9, s8
	s_mul_hi_u32 s8, s7, s9
	s_mul_i32 s9, s8, s5
	s_sub_i32 s7, s7, s9
	s_add_i32 s10, s8, 1
	s_sub_i32 s9, s7, s5
	s_cmp_ge_u32 s7, s5
	s_cselect_b32 s8, s10, s8
	s_cselect_b32 s7, s9, s7
	s_add_i32 s9, s8, 1
	s_cmp_ge_u32 s7, s5
	s_cselect_b32 s5, s9, s8
	s_xor_b32 s5, s5, s4
	s_sub_i32 s35, s5, s4
	s_abs_i32 s34, s35
	v_cvt_f32_u32_e32 v1, s34
	s_load_dwordx16 s[8:23], s[0:1], 0x0
	s_load_dwordx2 s[4:5], s[0:1], 0xb8
	s_mul_i32 s7, s33, s27
	v_rcp_iflag_f32_e32 v1, v1
	s_waitcnt lgkmcnt(0)
	s_cmp_eq_u64 s[14:15], 0
	v_mul_f32_e32 v1, 0x4f7ffffe, v1
	v_cvt_u32_f32_e32 v1, v1
	s_nop 0
	v_readfirstlane_b32 s36, v1
	s_cbranch_scc1 .LBB27_2
; %bb.1:
	s_abs_i32 s4, s4
	v_cvt_f32_u32_e32 v1, s4
	s_sub_i32 s38, 0, s4
	s_abs_i32 s37, s33
	s_ashr_i32 s29, s33, 31
	v_rcp_iflag_f32_e32 v1, v1
	s_load_dwordx2 s[30:31], s[0:1], 0xc8
	v_mul_f32_e32 v1, 0x4f7ffffe, v1
	v_cvt_u32_f32_e32 v1, v1
	s_nop 0
	v_readfirstlane_b32 s39, v1
	s_mul_i32 s38, s38, s39
	s_mul_hi_u32 s38, s39, s38
	s_add_i32 s39, s39, s38
	s_mul_hi_u32 s38, s37, s39
	s_mul_i32 s38, s38, s4
	s_sub_i32 s37, s37, s38
	s_sub_i32 s38, s37, s4
	s_cmp_ge_u32 s37, s4
	s_cselect_b32 s37, s38, s37
	s_sub_i32 s38, s37, s4
	s_cmp_ge_u32 s37, s4
	s_cselect_b32 s4, s38, s37
	s_xor_b32 s4, s4, s29
	s_sub_i32 s4, s4, s29
	s_ashr_i32 s29, s4, 31
	s_waitcnt lgkmcnt(0)
	s_mul_i32 s31, s4, s31
	s_mul_hi_u32 s37, s4, s30
	s_add_i32 s31, s37, s31
	s_mul_i32 s29, s29, s30
	s_add_i32 s31, s31, s29
	s_mul_i32 s4, s4, s30
	s_add_u32 s30, s14, s4
	s_addc_u32 s31, s15, s31
.LBB27_2:
	v_bfe_u32 v1, v0, 10, 10
	s_lshl_b32 s4, s2, 1
	v_lshrrev_b32_e32 v2, 2, v1
	v_and_b32_e32 v40, 0x3ff, v0
	v_add_u32_e32 v45, s4, v2
	s_sub_i32 s29, s6, s7
	v_and_b32_e32 v41, 3, v1
	v_cmp_gt_u32_e64 s[14:15], 20, v40
	v_mul_hi_u32 v0, s24, v45
	s_and_saveexec_b64 s[6:7], s[14:15]
	s_cbranch_execz .LBB27_4
; %bb.3:
	s_load_dwordx4 s[40:43], s[0:1], 0x70
	s_waitcnt lgkmcnt(0)
	s_mul_i32 s4, s33, s42
	s_ashr_i32 s37, s4, 31
	s_mul_i32 s24, s29, s41
	s_add_u32 s4, s8, s4
	s_addc_u32 s9, s9, s37
	s_ashr_i32 s37, s24, 31
	s_add_u32 s8, s4, s24
	v_mov_b32_e32 v2, s41
	s_addc_u32 s9, s9, s37
	s_ashr_i32 s4, s41, 31
	v_alignbit_b32 v2, s4, v2, 2
	v_mad_u64_u32 v[2:3], s[38:39], v2, v41, 0
	v_mov_b32_e32 v4, v3
	s_lshr_b32 s4, s4, 2
	v_mad_u64_u32 v[4:5], s[38:39], s4, v41, v[4:5]
	v_mov_b32_e32 v3, v4
	v_add_u32_e32 v4, v45, v0
	v_lshrrev_b32_e32 v4, s25, v4
	v_mul_lo_u32 v4, v4, s26
	v_sub_u32_e32 v7, v45, v4
	s_ashr_i32 s4, s40, 31
	v_mov_b32_e32 v4, s40
	v_alignbit_b32 v4, s4, v4, 2
	v_mad_u64_u32 v[4:5], s[38:39], v4, v7, 0
	v_mov_b32_e32 v6, v5
	s_lshr_b32 s4, s4, 2
	v_mad_u64_u32 v[6:7], s[38:39], s4, v7, v[6:7]
	v_mov_b32_e32 v5, v6
	v_lshl_add_u64 v[2:3], v[2:3], 2, s[8:9]
	v_lshl_add_u64 v[2:3], v[4:5], 2, v[2:3]
	v_lshlrev_b32_e32 v4, 4, v40
	v_mov_b32_e32 v5, 0
	v_lshl_add_u64 v[2:3], v[2:3], 0, v[4:5]
	global_load_dwordx4 v[2:5], v[2:3], off
	s_load_dword s4, s[0:1], 0x40
	v_mul_u32_u24_e32 v6, 40, v1
	s_waitcnt vmcnt(0) lgkmcnt(0)
	v_pk_mul_f32 v[2:3], v[2:3], s[4:5] op_sel_hi:[1,0]
	v_pk_mul_f32 v[4:5], v[4:5], s[4:5] op_sel_hi:[1,0]
	v_cvt_f16_f32_e32 v7, v3
	v_cvt_f16_f32_e32 v3, v5
	;; [unrolled: 1-line block ×4, first 2 shown]
	v_lshlrev_b32_e32 v5, 1, v40
	v_add_lshl_u32 v5, v6, v5, 2
	v_pack_b32_f16 v3, v4, v3
	v_pack_b32_f16 v2, v2, v7
	ds_write_b64 v5, v[2:3] offset:3264
.LBB27_4:
	s_or_b64 exec, exec, s[6:7]
	s_cmp_eq_u64 s[18:19], 0
	s_waitcnt lgkmcnt(0)
	s_barrier
	s_cbranch_scc1 .LBB27_6
; %bb.5:
	s_load_dword s4, s[0:1], 0xd0
	s_mov_b32 s7, 0
	s_waitcnt lgkmcnt(0)
	s_mul_i32 s4, s4, s33
	s_add_i32 s6, s4, s2
	s_lshl_b64 s[6:7], s[6:7], 2
	s_add_u32 s6, s18, s6
	s_addc_u32 s7, s19, s7
	s_load_dword s28, s[6:7], 0x0
.LBB27_6:
	s_lshl_b32 s2, s3, 5
	s_waitcnt lgkmcnt(0)
	s_cmp_lt_i32 s2, s28
	v_mbcnt_lo_u32_b32 v2, -1, 0
	s_cbranch_scc1 .LBB27_8
; %bb.7:
	v_mbcnt_hi_u32_b32 v51, -1, v2
	v_and_b32_e32 v3, 0x60, v51
	s_mov_b32 s4, 0
	v_add_u32_e32 v74, 32, v3
	v_xor_b32_e32 v75, 16, v51
	v_xor_b32_e32 v76, 8, v51
	;; [unrolled: 1-line block ×5, first 2 shown]
	s_mov_b64 s[6:7], 0
	s_mov_b32 s8, 0xfeffffff
	s_branch .LBB27_9
.LBB27_8:
	s_mov_b64 s[6:7], -1
                                        ; implicit-def: $sgpr8
                                        ; implicit-def: $sgpr4
                                        ; implicit-def: $vgpr51
                                        ; implicit-def: $vgpr74
                                        ; implicit-def: $vgpr75
                                        ; implicit-def: $vgpr76
                                        ; implicit-def: $vgpr77
                                        ; implicit-def: $vgpr78
                                        ; implicit-def: $vgpr79
.LBB27_9:
	s_andn2_b64 vcc, exec, s[6:7]
	v_mov_b32_e32 v60, s8
	v_mov_b32_e32 v80, s4
	;; [unrolled: 1-line block ×4, first 2 shown]
	s_cbranch_vccnz .LBB27_29
; %bb.10:
	s_load_dwordx2 s[6:7], s[0:1], 0x8c
	s_load_dwordx4 s[40:43], s[0:1], 0x98
	s_sub_i32 s4, 0, s34
	s_mul_i32 s4, s4, s36
	s_mul_hi_u32 s4, s36, s4
	s_ashr_i32 s24, s35, 31
	s_waitcnt lgkmcnt(0)
	s_ashr_i32 s37, s6, 2
	s_ashr_i32 s6, s5, 1
	;; [unrolled: 1-line block ×3, first 2 shown]
	s_mul_i32 s35, s33, s41
	s_mul_hi_u32 s38, s33, s40
	s_abs_i32 s18, s29
	s_add_i32 s36, s36, s4
	s_add_i32 s35, s38, s35
	s_mul_i32 s38, s5, s40
	s_mul_hi_u32 s4, s18, s36
	s_ashr_i32 s19, s29, 31
	s_ashr_i32 s36, s42, 2
	s_add_i32 s35, s35, s38
	s_mul_i32 s38, s33, s40
	s_add_u32 s10, s10, s38
	s_addc_u32 s11, s11, s35
	s_xor_b32 s19, s19, s24
	s_mul_i32 s24, s4, s34
	s_sub_i32 s18, s18, s24
	s_add_i32 s24, s4, 1
	s_sub_i32 s35, s18, s34
	s_cmp_ge_u32 s18, s34
	s_cselect_b32 s4, s24, s4
	s_cselect_b32 s18, s35, s18
	s_add_i32 s24, s4, 1
	s_cmp_ge_u32 s18, s34
	s_load_dwordx2 s[8:9], s[0:1], 0xa8
	s_cselect_b32 s4, s24, s4
	s_xor_b32 s4, s4, s19
	s_sub_i32 s4, s4, s19
	s_mul_i32 s7, s4, s7
	s_ashr_i32 s18, s7, 31
	s_add_u32 s38, s10, s7
	s_waitcnt lgkmcnt(0)
	s_mul_i32 s7, s33, s9
	s_mul_hi_u32 s9, s33, s8
	s_addc_u32 s39, s11, s18
	s_add_i32 s7, s9, s7
	s_mul_i32 s5, s5, s8
	s_add_i32 s7, s7, s5
	s_mul_i32 s5, s33, s8
	s_add_u32 s5, s12, s5
	s_mul_i32 s4, s4, s43
	s_addc_u32 s7, s13, s7
	s_ashr_i32 s8, s4, 31
	s_add_u32 s40, s5, s4
	s_addc_u32 s41, s7, s8
	v_lshl_add_u32 v3, v1, 5, v40
	s_movk_i32 s7, 0x60
	v_add_u32_e32 v0, v45, v0
	v_cmp_gt_u32_e32 vcc, 32, v3
	v_mad_u32_u24 v65, v3, s7, 64
	v_mul_lo_u32 v42, s37, v3
	v_lshlrev_b32_e32 v3, 2, v40
	v_lshrrev_b32_e32 v0, s25, v0
	v_lshrrev_b32_e32 v4, 2, v40
	v_and_b32_e32 v44, 12, v3
	v_mul_lo_u32 v0, v0, s26
	v_lshl_add_u32 v4, v1, 3, v4
	v_lshlrev_b32_e32 v5, 2, v44
	v_sub_u32_e32 v0, v45, v0
	v_mad_u32_u24 v66, v4, s7, v5
	v_mad_u64_u32 v[50:51], s[6:7], v0, s6, v[40:41]
	v_mov_b32_e32 v0, 0x11c0
	v_lshl_add_u32 v67, v1, 6, v0
	v_lshrrev_b32_e32 v0, 1, v40
	v_cmp_gt_u32_e64 s[4:5], 32, v4
	v_mul_lo_u32 v48, s37, v4
	v_lshl_add_u32 v0, v1, 4, v0
	v_lshrrev_b32_e32 v4, 3, v40
	v_mul_u32_u24_e32 v64, 0xa0, v1
	v_lshl_add_u32 v1, v1, 2, v4
	v_and_b32_e32 v52, 4, v3
	v_mul_u32_u24_e32 v4, 0xa0, v0
	v_and_b32_e32 v56, 28, v3
	s_movk_i32 s10, 0xa0
	v_cmp_gt_u32_e64 s[6:7], 16, v0
	v_lshl_or_b32 v4, v52, 2, v4
	v_mul_lo_u32 v54, s36, v0
	v_lshlrev_b32_e32 v0, 2, v56
	v_mul_lo_u32 v58, s36, v1
	s_add_u32 s18, s0, 0xd0
	v_mul_u32_u24_e32 v61, 0x60, v40
	v_ashrrev_i32_e32 v43, 31, v42
	v_mov_b32_e32 v47, 0
	v_ashrrev_i32_e32 v49, 31, v48
	v_lshl_add_u32 v68, v40, 1, v67
	v_cmp_gt_u32_e64 s[8:9], 16, v1
	v_lshlrev_b32_e32 v69, 3, v40
	v_add_u32_e32 v70, 0x80, v4
	v_ashrrev_i32_e32 v55, 31, v54
	v_mad_u32_u24 v71, v1, s10, v0
	v_ashrrev_i32_e32 v59, 31, v58
	s_addc_u32 s19, s1, 0
	v_mov_b32_e32 v4, 0xfeffffff
	v_mbcnt_hi_u32_b32 v51, -1, v2
	s_mov_b32 s42, 0x3fb8aa3b
	s_mov_b32 s43, 0xc2ce8ed0
	;; [unrolled: 1-line block ×3, first 2 shown]
	v_mov_b32_e32 v72, 0x7f800000
	v_mov_b32_e32 v57, 0
	;; [unrolled: 1-line block ×4, first 2 shown]
.LBB27_11:                              ; =>This Inner Loop Header: Depth=1
	s_mul_hi_i32 s11, s2, s37
	s_mul_i32 s10, s2, s37
	s_lshl_b64 s[10:11], s[10:11], 2
	s_add_u32 s10, s38, s10
	s_addc_u32 s11, s39, s11
	v_lshl_add_u64 v[2:3], v[42:43], 2, s[10:11]
	s_and_saveexec_b64 s[12:13], vcc
	s_cbranch_execz .LBB27_13
; %bb.12:                               ;   in Loop: Header=BB27_11 Depth=1
	global_load_dwordx4 v[6:9], v[2:3], off offset:64
	s_waitcnt vmcnt(0)
	ds_write_b128 v65, v[6:9]
.LBB27_13:                              ;   in Loop: Header=BB27_11 Depth=1
	s_or_b64 exec, exec, s[12:13]
	v_lshl_add_u64 v[0:1], v[48:49], 2, s[10:11]
	v_lshlrev_b32_e32 v46, 2, v44
	s_and_saveexec_b64 s[10:11], s[4:5]
	s_cbranch_execz .LBB27_15
; %bb.14:                               ;   in Loop: Header=BB27_11 Depth=1
	v_lshl_add_u64 v[6:7], v[0:1], 0, v[46:47]
	global_load_dwordx4 v[6:9], v[6:7], off
	s_waitcnt vmcnt(0)
	ds_write_b128 v66, v[6:9]
.LBB27_15:                              ;   in Loop: Header=BB27_11 Depth=1
	s_or_b64 exec, exec, s[10:11]
	s_waitcnt lgkmcnt(0)
	s_barrier
	ds_read_b128 v[6:9], v61
	ds_read_b128 v[10:13], v64 offset:3264
	v_mov_b32_e32 v5, 0
	s_waitcnt lgkmcnt(0)
	;;#ASMSTART
	v_dot2_f32_f16 v5, v6, v10, v5
	;;#ASMEND
	s_nop 0
	;;#ASMSTART
	v_dot2_f32_f16 v5, v7, v11, v5
	;;#ASMEND
	s_nop 0
	;;#ASMSTART
	v_dot2_f32_f16 v5, v8, v12, v5
	;;#ASMEND
	s_nop 0
	;;#ASMSTART
	v_dot2_f32_f16 v5, v9, v13, v5
	;;#ASMEND
	ds_read_b128 v[6:9], v61 offset:16
	ds_read_b128 v[10:13], v64 offset:3280
	s_waitcnt lgkmcnt(0)
	;;#ASMSTART
	v_dot2_f32_f16 v5, v6, v10, v5
	;;#ASMEND
	s_nop 0
	;;#ASMSTART
	v_dot2_f32_f16 v5, v7, v11, v5
	;;#ASMEND
	s_nop 0
	;;#ASMSTART
	v_dot2_f32_f16 v5, v8, v12, v5
	;;#ASMEND
	s_nop 0
	;;#ASMSTART
	v_dot2_f32_f16 v5, v9, v13, v5
	;;#ASMEND
	ds_read_b128 v[6:9], v61 offset:32
	ds_read_b128 v[10:13], v64 offset:3296
	;; [unrolled: 18-line block ×4, first 2 shown]
	s_waitcnt lgkmcnt(0)
	;;#ASMSTART
	v_dot2_f32_f16 v5, v6, v10, v5
	;;#ASMEND
	s_nop 0
	;;#ASMSTART
	v_dot2_f32_f16 v5, v7, v11, v5
	;;#ASMEND
	s_nop 0
	;; [unrolled: 4-line block ×3, first 2 shown]
	;;#ASMSTART
	v_dot2_f32_f16 v5, v9, v13, v5
	;;#ASMEND
	s_barrier
	s_and_saveexec_b64 s[10:11], vcc
	s_cbranch_execz .LBB27_17
; %bb.16:                               ;   in Loop: Header=BB27_11 Depth=1
	global_load_dwordx4 v[6:9], v[2:3], off offset:144
	s_waitcnt vmcnt(0)
	ds_write_b128 v65, v[6:9]
.LBB27_17:                              ;   in Loop: Header=BB27_11 Depth=1
	s_or_b64 exec, exec, s[10:11]
	s_and_saveexec_b64 s[10:11], s[4:5]
	s_cbranch_execz .LBB27_19
; %bb.18:                               ;   in Loop: Header=BB27_11 Depth=1
	v_lshl_add_u64 v[0:1], v[0:1], 0, v[46:47]
	global_load_dwordx4 v[0:3], v[0:1], off offset:80
	s_waitcnt vmcnt(0)
	ds_write_b128 v66, v[0:3]
.LBB27_19:                              ;   in Loop: Header=BB27_11 Depth=1
	s_or_b64 exec, exec, s[10:11]
	s_waitcnt lgkmcnt(0)
	s_barrier
	ds_read_b128 v[0:3], v61
	ds_read_b128 v[6:9], v64 offset:3344
	v_add_u32_e32 v10, s2, v50
	s_waitcnt lgkmcnt(0)
	;;#ASMSTART
	v_dot2_f32_f16 v5, v0, v6, v5
	;;#ASMEND
	s_nop 0
	;;#ASMSTART
	v_dot2_f32_f16 v5, v1, v7, v5
	;;#ASMEND
	v_ashrrev_i32_e32 v11, 31, v10
	;;#ASMSTART
	v_dot2_f32_f16 v5, v2, v8, v5
	;;#ASMEND
	v_lshl_add_u64 v[10:11], v[10:11], 1, s[30:31]
	;;#ASMSTART
	v_dot2_f32_f16 v5, v3, v9, v5
	;;#ASMEND
	ds_read_b128 v[0:3], v61 offset:16
	ds_read_b128 v[6:9], v64 offset:3360
	s_waitcnt lgkmcnt(0)
	;;#ASMSTART
	v_dot2_f32_f16 v5, v0, v6, v5
	;;#ASMEND
	s_nop 0
	;;#ASMSTART
	v_dot2_f32_f16 v5, v1, v7, v5
	;;#ASMEND
	v_xor_b32_e32 v75, 16, v51
	;;#ASMSTART
	v_dot2_f32_f16 v5, v2, v8, v5
	;;#ASMEND
	v_xor_b32_e32 v76, 8, v51
	;;#ASMSTART
	v_dot2_f32_f16 v5, v3, v9, v5
	;;#ASMEND
	ds_read_b128 v[0:3], v61 offset:32
	ds_read_b128 v[6:9], v64 offset:3376
	s_waitcnt lgkmcnt(0)
	;;#ASMSTART
	v_dot2_f32_f16 v5, v0, v6, v5
	;;#ASMEND
	s_nop 0
	;;#ASMSTART
	v_dot2_f32_f16 v5, v1, v7, v5
	;;#ASMEND
	v_xor_b32_e32 v77, 4, v51
	;;#ASMSTART
	v_dot2_f32_f16 v5, v2, v8, v5
	;;#ASMEND
	v_xor_b32_e32 v78, 2, v51
	;;#ASMSTART
	v_dot2_f32_f16 v5, v3, v9, v5
	;;#ASMEND
	ds_read_b128 v[0:3], v61 offset:48
	ds_read_b128 v[6:9], v64 offset:3392
	s_waitcnt lgkmcnt(0)
	;;#ASMSTART
	v_dot2_f32_f16 v5, v0, v6, v5
	;;#ASMEND
	s_nop 0
	;;#ASMSTART
	v_dot2_f32_f16 v5, v1, v7, v5
	;;#ASMEND
	v_xor_b32_e32 v79, 1, v51
	;;#ASMSTART
	v_dot2_f32_f16 v5, v2, v8, v5
	;;#ASMEND
	v_lshlrev_b32_e32 v46, 2, v52
	;;#ASMSTART
	v_dot2_f32_f16 v5, v3, v9, v5
	;;#ASMEND
	ds_read_b128 v[0:3], v61 offset:64
	ds_read_b128 v[6:9], v64 offset:3408
	s_waitcnt lgkmcnt(0)
	;;#ASMSTART
	v_dot2_f32_f16 v5, v0, v6, v5
	;;#ASMEND
	s_nop 0
	;;#ASMSTART
	v_dot2_f32_f16 v5, v1, v7, v5
	;;#ASMEND
	v_max_f32_e32 v1, v4, v4
	;;#ASMSTART
	v_dot2_f32_f16 v5, v2, v8, v5
	;;#ASMEND
	v_and_b32_e32 v2, 0x60, v51
	;;#ASMSTART
	v_dot2_f32_f16 v5, v3, v9, v5
	;;#ASMEND
	flat_load_ushort v0, v[10:11]
	v_add_u32_e32 v74, 32, v2
	v_cmp_lt_i32_e64 s[10:11], v75, v74
	s_waitcnt lgkmcnt(0)
	s_barrier
	v_cndmask_b32_e64 v2, v51, v75, s[10:11]
	v_lshlrev_b32_e32 v2, 2, v2
	v_cmp_lt_i32_e64 s[10:11], v76, v74
	s_waitcnt vmcnt(0)
	v_cvt_f32_f16_e32 v0, v0
	v_add_f32_e32 v0, v5, v0
	v_add_f32_e32 v3, 0x40051340, v0
	v_max_f32_e32 v1, v1, v3
	ds_bpermute_b32 v2, v2, v1
	v_cndmask_b32_e64 v3, v51, v76, s[10:11]
	v_lshlrev_b32_e32 v3, 2, v3
	v_cmp_lt_i32_e64 s[10:11], v77, v74
	s_waitcnt lgkmcnt(0)
	v_max_f32_e32 v2, v2, v2
	v_max_f32_e32 v1, v1, v2
	ds_bpermute_b32 v2, v3, v1
	v_cndmask_b32_e64 v3, v51, v77, s[10:11]
	v_lshlrev_b32_e32 v3, 2, v3
	v_cmp_lt_i32_e64 s[10:11], v78, v74
	s_waitcnt lgkmcnt(0)
	v_max_f32_e32 v2, v2, v2
	;; [unrolled: 7-line block ×3, first 2 shown]
	v_max_f32_e32 v1, v1, v2
	ds_bpermute_b32 v2, v3, v1
	v_cndmask_b32_e64 v3, v51, v79, s[10:11]
	v_lshlrev_b32_e32 v3, 2, v3
	s_mul_hi_i32 s11, s2, s36
	s_mul_i32 s10, s2, s36
	s_waitcnt lgkmcnt(0)
	v_max_f32_e32 v2, v2, v2
	v_max_f32_e32 v1, v1, v2
	ds_bpermute_b32 v2, v3, v1
	s_lshl_b64 s[10:11], s[10:11], 2
	s_add_u32 s12, s40, s10
	s_addc_u32 s13, s41, s11
	s_waitcnt lgkmcnt(0)
	v_max_f32_e32 v2, v2, v2
	v_max_f32_e32 v60, v1, v2
	v_sub_f32_e32 v0, v0, v60
	v_mul_f32_e32 v1, 0x3fb8aa3b, v0
	v_fma_f32 v2, v0, s42, -v1
	v_rndne_f32_e32 v3, v1
	v_fmac_f32_e32 v2, 0x32a5705f, v0
	v_sub_f32_e32 v1, v1, v3
	v_add_f32_e32 v1, v1, v2
	v_cvt_i32_f32_e32 v3, v3
	v_exp_f32_e32 v1, v1
	v_cmp_ngt_f32_e64 s[10:11], s43, v0
	v_ldexp_f32 v1, v1, v3
	s_nop 0
	v_cndmask_b32_e64 v1, 0, v1, s[10:11]
	v_cmp_nlt_f32_e64 s[10:11], s44, v0
	s_nop 1
	v_cndmask_b32_e64 v80, v72, v1, s[10:11]
	v_cvt_f16_f32_e32 v0, v80
	ds_write_b16 v68, v0
	s_and_saveexec_b64 s[10:11], s[6:7]
	s_cbranch_execz .LBB27_21
; %bb.20:                               ;   in Loop: Header=BB27_11 Depth=1
	v_lshl_add_u64 v[0:1], v[54:55], 2, s[12:13]
	v_lshl_add_u64 v[0:1], v[0:1], 0, v[46:47]
	global_load_dwordx4 v[0:3], v[0:1], off offset:128
	s_waitcnt vmcnt(0)
	ds_write_b128 v70, v[0:3]
.LBB27_21:                              ;   in Loop: Header=BB27_11 Depth=1
	s_or_b64 exec, exec, s[10:11]
	v_lshlrev_b32_e32 v62, 2, v56
	s_and_saveexec_b64 s[10:11], s[8:9]
	s_cbranch_execz .LBB27_23
; %bb.22:                               ;   in Loop: Header=BB27_11 Depth=1
	v_lshl_add_u64 v[0:1], v[58:59], 2, s[12:13]
	v_mov_b32_e32 v63, v47
	v_lshl_add_u64 v[0:1], v[0:1], 0, v[62:63]
	global_load_dwordx4 v[0:3], v[0:1], off
	s_waitcnt vmcnt(0)
	ds_write_b128 v71, v[0:3]
.LBB27_23:                              ;   in Loop: Header=BB27_11 Depth=1
	s_or_b64 exec, exec, s[10:11]
	s_waitcnt lgkmcnt(0)
	s_barrier
	ds_read2_b64 v[28:31], v69 offset1:20
	ds_read_b128 v[8:11], v67
	ds_read_b128 v[0:3], v67 offset:16
	ds_read2_b64 v[36:39], v69 offset0:40 offset1:60
	ds_read2_b64 v[32:35], v69 offset0:80 offset1:100
	;; [unrolled: 1-line block ×5, first 2 shown]
	v_add_u32_e32 v82, 0x400, v69
	v_add_u32_e32 v81, 0x800, v69
	v_sub_f32_e32 v83, v4, v60
	ds_read2_b64 v[16:19], v82 offset0:112 offset1:132
	ds_read2_b64 v[4:7], v81 offset0:24 offset1:44
	s_or_b32 s24, s2, 16
	s_mul_hi_i32 s25, s24, s36
	s_mul_i32 s24, s24, s36
	s_lshl_b64 s[24:25], s[24:25], 2
	s_add_u32 s24, s40, s24
	v_cmp_ngt_f32_e64 s[10:11], s43, v83
	v_cmp_nlt_f32_e64 s[12:13], s44, v83
	s_addc_u32 s25, s41, s25
	s_waitcnt lgkmcnt(0)
	s_barrier
	s_and_saveexec_b64 s[34:35], s[6:7]
	s_cbranch_execz .LBB27_25
; %bb.24:                               ;   in Loop: Header=BB27_11 Depth=1
	v_lshl_add_u64 v[84:85], v[54:55], 2, s[24:25]
	v_lshl_add_u64 v[84:85], v[84:85], 0, v[46:47]
	global_load_dwordx4 v[84:87], v[84:85], off offset:128
	s_waitcnt vmcnt(0)
	ds_write_b128 v70, v[84:87]
.LBB27_25:                              ;   in Loop: Header=BB27_11 Depth=1
	s_or_b64 exec, exec, s[34:35]
	s_and_saveexec_b64 s[34:35], s[8:9]
	s_cbranch_execz .LBB27_27
; %bb.26:                               ;   in Loop: Header=BB27_11 Depth=1
	v_lshl_add_u64 v[84:85], v[58:59], 2, s[24:25]
	v_mov_b32_e32 v63, v47
	v_lshl_add_u64 v[62:63], v[84:85], 0, v[62:63]
	global_load_dwordx4 v[84:87], v[62:63], off
	s_waitcnt vmcnt(0)
	ds_write_b128 v71, v[84:87]
.LBB27_27:                              ;   in Loop: Header=BB27_11 Depth=1
	s_or_b64 exec, exec, s[34:35]
	v_mul_f32_e32 v46, 0x3fb8aa3b, v83
	v_fma_f32 v62, v83, s42, -v46
	v_rndne_f32_e32 v63, v46
	v_fmac_f32_e32 v62, 0x32a5705f, v83
	v_sub_f32_e32 v46, v46, v63
	v_add_f32_e32 v46, v46, v62
	v_cvt_i32_f32_e32 v62, v63
	v_exp_f32_e32 v46, v46
	v_pk_mul_f16 v28, v28, v8 op_sel_hi:[1,0]
	v_pk_mul_f16 v29, v29, v8 op_sel_hi:[1,0]
	s_waitcnt lgkmcnt(0)
	v_ldexp_f32 v46, v46, v62
	v_cndmask_b32_e64 v46, 0, v46, s[10:11]
	v_cndmask_b32_e64 v46, v72, v46, s[12:13]
	v_cvt_f16_f32_e32 v62, v46
	s_barrier
	v_fmac_f32_e32 v80, v73, v46
	v_pk_fma_f16 v28, v57, v62, v28 op_sel_hi:[1,0,1]
	v_pk_fma_f16 v29, v53, v62, v29 op_sel_hi:[1,0,1]
	v_pk_fma_f16 v28, v30, v8, v28 op_sel:[0,1,0]
	v_pk_fma_f16 v8, v31, v8, v29 op_sel:[0,1,0]
	v_pk_fma_f16 v28, v36, v9, v28 op_sel_hi:[1,0,1]
	v_pk_fma_f16 v8, v37, v9, v8 op_sel_hi:[1,0,1]
	v_pk_fma_f16 v28, v38, v9, v28 op_sel:[0,1,0]
	v_pk_fma_f16 v8, v39, v9, v8 op_sel:[0,1,0]
	;; [unrolled: 4-line block ×6, first 2 shown]
	v_pk_fma_f16 v1, v16, v2, v8 op_sel_hi:[1,0,1]
	ds_read2_b64 v[8:11], v69 offset1:20
	ds_read_b128 v[12:15], v67 offset:32
	v_pk_fma_f16 v0, v17, v2, v0 op_sel_hi:[1,0,1]
	v_pk_fma_f16 v1, v18, v2, v1 op_sel:[0,1,0]
	v_pk_fma_f16 v0, v19, v2, v0 op_sel:[0,1,0]
	v_pk_fma_f16 v1, v4, v3, v1 op_sel_hi:[1,0,1]
	v_pk_fma_f16 v0, v5, v3, v0 op_sel_hi:[1,0,1]
	v_pk_fma_f16 v4, v6, v3, v1 op_sel:[0,1,0]
	v_pk_fma_f16 v16, v7, v3, v0 op_sel:[0,1,0]
	s_waitcnt lgkmcnt(0)
	v_pk_fma_f16 v8, v8, v12, v4 op_sel_hi:[1,0,1]
	ds_read2_b64 v[4:7], v69 offset0:40 offset1:60
	v_pk_fma_f16 v9, v9, v12, v16 op_sel_hi:[1,0,1]
	v_pk_fma_f16 v16, v10, v12, v8 op_sel:[0,1,0]
	v_pk_fma_f16 v12, v11, v12, v9 op_sel:[0,1,0]
	ds_read2_b64 v[8:11], v69 offset0:80 offset1:100
	s_waitcnt lgkmcnt(1)
	v_pk_fma_f16 v4, v4, v13, v16 op_sel_hi:[1,0,1]
	v_pk_fma_f16 v5, v5, v13, v12 op_sel_hi:[1,0,1]
	v_pk_fma_f16 v4, v6, v13, v4 op_sel:[0,1,0]
	v_pk_fma_f16 v12, v7, v13, v5 op_sel:[0,1,0]
	s_waitcnt lgkmcnt(0)
	v_pk_fma_f16 v8, v8, v14, v4 op_sel_hi:[1,0,1]
	ds_read2_b64 v[4:7], v69 offset0:120 offset1:140
	v_pk_fma_f16 v9, v9, v14, v12 op_sel_hi:[1,0,1]
	ds_read_b128 v[0:3], v67 offset:48
	v_pk_fma_f16 v12, v10, v14, v8 op_sel:[0,1,0]
	v_pk_fma_f16 v13, v11, v14, v9 op_sel:[0,1,0]
	ds_read2_b64 v[8:11], v69 offset0:160 offset1:180
	s_waitcnt lgkmcnt(2)
	v_pk_fma_f16 v4, v4, v15, v12 op_sel_hi:[1,0,1]
	v_pk_fma_f16 v5, v5, v15, v13 op_sel_hi:[1,0,1]
	v_pk_fma_f16 v4, v6, v15, v4 op_sel:[0,1,0]
	v_pk_fma_f16 v12, v7, v15, v5 op_sel:[0,1,0]
	s_waitcnt lgkmcnt(0)
	v_pk_fma_f16 v8, v8, v0, v4 op_sel_hi:[1,0,1]
	ds_read2_b64 v[4:7], v69 offset0:200 offset1:220
	v_pk_fma_f16 v9, v9, v0, v12 op_sel_hi:[1,0,1]
	v_pk_fma_f16 v12, v10, v0, v8 op_sel:[0,1,0]
	v_pk_fma_f16 v0, v11, v0, v9 op_sel:[0,1,0]
	ds_read2_b64 v[8:11], v82 offset0:112 offset1:132
	s_waitcnt lgkmcnt(1)
	v_pk_fma_f16 v4, v4, v1, v12 op_sel_hi:[1,0,1]
	v_pk_fma_f16 v0, v5, v1, v0 op_sel_hi:[1,0,1]
	v_pk_fma_f16 v4, v6, v1, v4 op_sel:[0,1,0]
	v_pk_fma_f16 v0, v7, v1, v0 op_sel:[0,1,0]
	s_waitcnt lgkmcnt(0)
	v_pk_fma_f16 v1, v8, v2, v4 op_sel_hi:[1,0,1]
	ds_read2_b64 v[4:7], v81 offset0:24 offset1:44
	s_waitcnt lgkmcnt(0)
	s_barrier
	s_load_dword s10, s[18:19], 0x4
	v_pk_fma_f16 v0, v9, v2, v0 op_sel_hi:[1,0,1]
	v_pk_fma_f16 v1, v10, v2, v1 op_sel:[0,1,0]
	v_pk_fma_f16 v0, v11, v2, v0 op_sel:[0,1,0]
	v_pk_fma_f16 v1, v4, v3, v1 op_sel_hi:[1,0,1]
	s_waitcnt lgkmcnt(0)
	s_lshl_b32 s10, s10, 5
	v_pk_fma_f16 v0, v5, v3, v0 op_sel_hi:[1,0,1]
	s_add_i32 s2, s10, s2
	v_pk_fma_f16 v57, v6, v3, v1 op_sel:[0,1,0]
	s_cmp_lt_i32 s2, s28
	v_pk_fma_f16 v53, v7, v3, v0 op_sel:[0,1,0]
	s_cbranch_scc0 .LBB27_29
; %bb.28:                               ;   in Loop: Header=BB27_11 Depth=1
	v_mov_b32_e32 v4, v60
	v_mov_b32_e32 v73, v80
	s_branch .LBB27_11
.LBB27_29:
	v_cmp_lt_i32_e32 vcc, v75, v74
	s_cmp_eq_u64 s[16:17], 0
	s_cselect_b64 s[4:5], -1, 0
	v_cndmask_b32_e32 v0, v51, v75, vcc
	v_lshlrev_b32_e32 v0, 2, v0
	ds_bpermute_b32 v0, v0, v80
	v_cmp_lt_i32_e32 vcc, v76, v74
	s_cmp_lg_u32 s3, 0
	s_cselect_b64 s[6:7], -1, 0
	v_cndmask_b32_e32 v1, v51, v76, vcc
	v_lshlrev_b32_e32 v1, 2, v1
	s_waitcnt lgkmcnt(0)
	v_add_f32_e32 v0, v80, v0
	ds_bpermute_b32 v1, v1, v0
	v_cmp_lt_i32_e32 vcc, v77, v74
	s_or_b64 s[4:5], s[6:7], s[4:5]
	s_waitcnt lgkmcnt(0)
	v_add_f32_e32 v0, v0, v1
	v_cndmask_b32_e32 v2, v51, v77, vcc
	v_lshlrev_b32_e32 v2, 2, v2
	ds_bpermute_b32 v1, v2, v0
	v_cmp_lt_i32_e32 vcc, v78, v74
	s_waitcnt lgkmcnt(0)
	v_add_f32_e32 v0, v0, v1
	v_cndmask_b32_e32 v2, v51, v78, vcc
	v_lshlrev_b32_e32 v2, 2, v2
	ds_bpermute_b32 v1, v2, v0
	v_cmp_lt_i32_e32 vcc, v79, v74
	s_waitcnt lgkmcnt(0)
	v_add_f32_e32 v0, v0, v1
	v_cndmask_b32_e32 v2, v51, v79, vcc
	v_lshlrev_b32_e32 v2, 2, v2
	ds_bpermute_b32 v1, v2, v0
	s_and_b64 vcc, exec, s[4:5]
	s_waitcnt lgkmcnt(0)
	v_add_f32_e32 v61, v0, v1
	s_cbranch_vccnz .LBB27_32
; %bb.30:
	v_add_u32_e32 v0, s29, v41
	v_ashrrev_i32_e32 v1, 31, v0
	v_lshl_add_u64 v[0:1], v[0:1], 2, s[16:17]
	global_load_dword v1, v[0:1], off
	v_max_f32_e32 v0, v60, v60
	s_mov_b32 s2, 0x3fb8aa3b
	s_mov_b32 s4, 0xc2ce8ed0
	s_waitcnt vmcnt(0)
	v_max_f32_e32 v2, v1, v1
	v_max_f32_e32 v0, v0, v2
	v_sub_f32_e32 v2, v60, v0
	v_sub_f32_e32 v1, v1, v0
	v_mul_f32_e32 v3, 0x3fb8aa3b, v2
	v_mul_f32_e32 v4, 0x3fb8aa3b, v1
	v_fma_f32 v5, v2, s2, -v3
	v_rndne_f32_e32 v6, v3
	v_fma_f32 v7, v1, s2, -v4
	v_rndne_f32_e32 v8, v4
	v_fmac_f32_e32 v5, 0x32a5705f, v2
	v_sub_f32_e32 v3, v3, v6
	v_fmac_f32_e32 v7, 0x32a5705f, v1
	v_sub_f32_e32 v4, v4, v8
	v_add_f32_e32 v3, v3, v5
	v_cvt_i32_f32_e32 v6, v6
	v_add_f32_e32 v4, v4, v7
	v_exp_f32_e32 v3, v3
	v_cvt_i32_f32_e32 v8, v8
	v_exp_f32_e32 v4, v4
	v_cmp_ngt_f32_e32 vcc, s4, v2
	v_ldexp_f32 v3, v3, v6
	s_mov_b32 s2, 0x42b17218
	v_ldexp_f32 v4, v4, v8
	v_cndmask_b32_e32 v3, 0, v3, vcc
	v_cmp_ngt_f32_e32 vcc, s4, v1
	v_mov_b32_e32 v5, 0x7f800000
	s_nop 0
	v_cndmask_b32_e32 v4, 0, v4, vcc
	v_cmp_nlt_f32_e32 vcc, s2, v2
	s_nop 1
	v_cndmask_b32_e32 v2, v5, v3, vcc
	v_cvt_f16_f32_e32 v3, v2
	v_cmp_nlt_f32_e32 vcc, s2, v1
	v_pk_mul_f16 v57, v3, v57 op_sel_hi:[0,1]
	s_nop 0
	v_cndmask_b32_e32 v1, v5, v4, vcc
	v_fmac_f32_e32 v1, v61, v2
	v_pk_mul_f16 v53, v3, v53 op_sel_hi:[0,1]
	v_mov_b64_e32 v[60:61], v[0:1]
	v_cmp_gt_i32_e32 vcc, s26, v45
	s_and_saveexec_b64 s[4:5], vcc
	s_cbranch_execnz .LBB27_33
.LBB27_31:
	s_endpgm
.LBB27_32:
	v_mov_b32_e32 v1, v61
	v_cmp_gt_i32_e32 vcc, s26, v45
	s_and_saveexec_b64 s[4:5], vcc
	s_cbranch_execz .LBB27_31
.LBB27_33:
	s_load_dword s2, s[0:1], 0xd4
	s_mul_i32 s33, s33, s26
	v_add_u32_e32 v0, s33, v45
	v_mul_lo_u32 v0, v0, s27
	v_add3_u32 v0, s29, v41, v0
	s_waitcnt lgkmcnt(0)
	s_cmp_lg_u32 s2, 1
	v_mul_lo_u32 v0, s2, v0
	s_cselect_b64 s[0:1], -1, 0
	v_add_u32_e32 v0, s3, v0
	s_and_saveexec_b64 s[2:3], s[14:15]
	s_cbranch_execz .LBB27_35
; %bb.34:
	v_div_scale_f32 v4, s[4:5], v1, v1, 1.0
	v_rcp_f32_e32 v5, v4
	v_cvt_f32_f16_sdwa v9, v57 dst_sel:DWORD dst_unused:UNUSED_PAD src0_sel:WORD_1
	v_cvt_f32_f16_sdwa v11, v53 dst_sel:DWORD dst_unused:UNUSED_PAD src0_sel:WORD_1
	v_cvt_f32_f16_e32 v10, v53
	v_fma_f32 v6, -v4, v5, 1.0
	v_fmac_f32_e32 v5, v6, v5
	v_div_scale_f32 v6, vcc, 1.0, v1, 1.0
	v_mul_f32_e32 v7, v6, v5
	v_fma_f32 v8, -v4, v7, v6
	v_fmac_f32_e32 v7, v8, v5
	v_fma_f32 v4, -v4, v7, v6
	v_div_fmas_f32 v4, v4, v5, v7
	v_cvt_f32_f16_e32 v8, v57
	v_div_fixup_f32 v1, v4, v1, 1.0
	s_movk_i32 s4, 0x50
	v_cndmask_b32_e64 v4, v1, 1.0, s[0:1]
	v_mul_lo_u32 v1, v0, s4
	v_mov_b32_e32 v2, s20
	v_mov_b32_e32 v3, s21
	v_lshl_add_u32 v6, v40, 2, v1
	v_mov_b32_e32 v7, 0
	v_lshl_add_u64 v[6:7], v[6:7], 2, v[2:3]
	v_pk_mul_f32 v[2:3], v[4:5], v[8:9] op_sel_hi:[0,1]
	v_pk_mul_f32 v[4:5], v[4:5], v[10:11] op_sel_hi:[0,1]
	global_store_dwordx4 v[6:7], v[2:5], off
.LBB27_35:
	s_or_b64 exec, exec, s[2:3]
	v_cmp_eq_u32_e32 vcc, 0, v40
	s_and_b64 s[0:1], vcc, s[0:1]
	s_and_b64 exec, exec, s[0:1]
	s_cbranch_execz .LBB27_31
; %bb.36:
	v_mov_b32_e32 v2, s22
	v_mov_b32_e32 v3, s23
	v_ashrrev_i32_e32 v1, 31, v0
	v_lshl_add_u64 v[0:1], v[0:1], 3, v[2:3]
	global_store_dwordx2 v[0:1], v[60:61], off
	s_endpgm
	.section	.rodata,"a",@progbits
	.p2align	6, 0x0
	.amdhsa_kernel _ZL15flash_attn_tileILi80ELi80ELi2ELi4ELb0EEvPKcS1_S1_S1_S1_PKiPfP15HIP_vector_typeIfLj2EEffffjfiS5_IjLj3EEiiiiiiiiiiiliiliiiiil
		.amdhsa_group_segment_fixed_size 5056
		.amdhsa_private_segment_fixed_size 0
		.amdhsa_kernarg_size 464
		.amdhsa_user_sgpr_count 2
		.amdhsa_user_sgpr_dispatch_ptr 0
		.amdhsa_user_sgpr_queue_ptr 0
		.amdhsa_user_sgpr_kernarg_segment_ptr 1
		.amdhsa_user_sgpr_dispatch_id 0
		.amdhsa_user_sgpr_kernarg_preload_length 0
		.amdhsa_user_sgpr_kernarg_preload_offset 0
		.amdhsa_user_sgpr_private_segment_size 0
		.amdhsa_uses_dynamic_stack 0
		.amdhsa_enable_private_segment 0
		.amdhsa_system_sgpr_workgroup_id_x 1
		.amdhsa_system_sgpr_workgroup_id_y 1
		.amdhsa_system_sgpr_workgroup_id_z 1
		.amdhsa_system_sgpr_workgroup_info 0
		.amdhsa_system_vgpr_workitem_id 1
		.amdhsa_next_free_vgpr 88
		.amdhsa_next_free_sgpr 45
		.amdhsa_accum_offset 88
		.amdhsa_reserve_vcc 1
		.amdhsa_float_round_mode_32 0
		.amdhsa_float_round_mode_16_64 0
		.amdhsa_float_denorm_mode_32 3
		.amdhsa_float_denorm_mode_16_64 3
		.amdhsa_dx10_clamp 1
		.amdhsa_ieee_mode 1
		.amdhsa_fp16_overflow 0
		.amdhsa_tg_split 0
		.amdhsa_exception_fp_ieee_invalid_op 0
		.amdhsa_exception_fp_denorm_src 0
		.amdhsa_exception_fp_ieee_div_zero 0
		.amdhsa_exception_fp_ieee_overflow 0
		.amdhsa_exception_fp_ieee_underflow 0
		.amdhsa_exception_fp_ieee_inexact 0
		.amdhsa_exception_int_div_zero 0
	.end_amdhsa_kernel
	.section	.text._ZL15flash_attn_tileILi80ELi80ELi2ELi4ELb0EEvPKcS1_S1_S1_S1_PKiPfP15HIP_vector_typeIfLj2EEffffjfiS5_IjLj3EEiiiiiiiiiiiliiliiiiil,"axG",@progbits,_ZL15flash_attn_tileILi80ELi80ELi2ELi4ELb0EEvPKcS1_S1_S1_S1_PKiPfP15HIP_vector_typeIfLj2EEffffjfiS5_IjLj3EEiiiiiiiiiiiliiliiiiil,comdat
.Lfunc_end27:
	.size	_ZL15flash_attn_tileILi80ELi80ELi2ELi4ELb0EEvPKcS1_S1_S1_S1_PKiPfP15HIP_vector_typeIfLj2EEffffjfiS5_IjLj3EEiiiiiiiiiiiliiliiiiil, .Lfunc_end27-_ZL15flash_attn_tileILi80ELi80ELi2ELi4ELb0EEvPKcS1_S1_S1_S1_PKiPfP15HIP_vector_typeIfLj2EEffffjfiS5_IjLj3EEiiiiiiiiiiiliiliiiiil
                                        ; -- End function
	.section	.AMDGPU.csdata,"",@progbits
; Kernel info:
; codeLenInByte = 4648
; NumSgprs: 51
; NumVgprs: 88
; NumAgprs: 0
; TotalNumVgprs: 88
; ScratchSize: 0
; MemoryBound: 0
; FloatMode: 240
; IeeeMode: 1
; LDSByteSize: 5056 bytes/workgroup (compile time only)
; SGPRBlocks: 6
; VGPRBlocks: 10
; NumSGPRsForWavesPerEU: 51
; NumVGPRsForWavesPerEU: 88
; AccumOffset: 88
; Occupancy: 5
; WaveLimiterHint : 1
; COMPUTE_PGM_RSRC2:SCRATCH_EN: 0
; COMPUTE_PGM_RSRC2:USER_SGPR: 2
; COMPUTE_PGM_RSRC2:TRAP_HANDLER: 0
; COMPUTE_PGM_RSRC2:TGID_X_EN: 1
; COMPUTE_PGM_RSRC2:TGID_Y_EN: 1
; COMPUTE_PGM_RSRC2:TGID_Z_EN: 1
; COMPUTE_PGM_RSRC2:TIDIG_COMP_CNT: 1
; COMPUTE_PGM_RSRC3_GFX90A:ACCUM_OFFSET: 21
; COMPUTE_PGM_RSRC3_GFX90A:TG_SPLIT: 0
	.section	.text._ZL33flash_attn_stream_k_fixup_uniformILi80ELi2ELi4EEvPfPK15HIP_vector_typeIfLj2EEiiiiiiS1_IjLj3EES5_S5_,"axG",@progbits,_ZL33flash_attn_stream_k_fixup_uniformILi80ELi2ELi4EEvPfPK15HIP_vector_typeIfLj2EEiiiiiiS1_IjLj3EES5_S5_,comdat
	.globl	_ZL33flash_attn_stream_k_fixup_uniformILi80ELi2ELi4EEvPfPK15HIP_vector_typeIfLj2EEiiiiiiS1_IjLj3EES5_S5_ ; -- Begin function _ZL33flash_attn_stream_k_fixup_uniformILi80ELi2ELi4EEvPfPK15HIP_vector_typeIfLj2EEiiiiiiS1_IjLj3EES5_S5_
	.p2align	8
	.type	_ZL33flash_attn_stream_k_fixup_uniformILi80ELi2ELi4EEvPfPK15HIP_vector_typeIfLj2EEiiiiiiS1_IjLj3EES5_S5_,@function
_ZL33flash_attn_stream_k_fixup_uniformILi80ELi2ELi4EEvPfPK15HIP_vector_typeIfLj2EEiiiiiiS1_IjLj3EES5_S5_: ; @_ZL33flash_attn_stream_k_fixup_uniformILi80ELi2ELi4EEvPfPK15HIP_vector_typeIfLj2EEiiiiiiS1_IjLj3EES5_S5_
; %bb.0:
	s_load_dwordx8 s[8:15], s[0:1], 0x1c
	s_load_dwordx2 s[6:7], s[0:1], 0x10
	s_load_dwordx4 s[16:19], s[0:1], 0x3c
	s_waitcnt lgkmcnt(0)
	s_mul_hi_u32 s5, s11, s2
	s_add_i32 s5, s2, s5
	s_lshr_b32 s5, s5, s12
	s_mul_i32 s11, s5, s13
	s_sub_i32 s12, s2, s11
	s_mul_hi_u32 s11, s12, s14
	s_add_i32 s11, s12, s11
	s_lshr_b32 s11, s11, s15
	s_mul_i32 s13, s11, s16
	s_sub_i32 s12, s12, s13
	;; [unrolled: 5-line block ×3, first 2 shown]
	s_lshl_b32 s12, s16, 1
	s_lshl_b32 s17, s13, 2
	s_add_i32 s12, s12, s3
	s_cmp_lt_i32 s12, s6
	s_cselect_b64 s[12:13], -1, 0
	s_add_i32 s17, s17, s4
	s_cmp_lt_i32 s17, s9
	s_cselect_b64 s[14:15], -1, 0
	s_and_b64 s[12:13], s[12:13], s[14:15]
	s_andn2_b64 vcc, exec, s[12:13]
	s_cbranch_vccnz .LBB28_6
; %bb.1:
	s_load_dwordx4 s[12:15], s[0:1], 0x0
	s_mul_i32 s0, s5, s6
	s_mul_i32 s11, s11, s9
	s_add_i32 s0, s0, s3
	s_mul_i32 s0, s0, s7
	s_add_i32 s5, s17, s11
	;; [unrolled: 2-line block ×3, first 2 shown]
	s_mulk_i32 s1, 0xa0
	s_mulk_i32 s0, 0x50
	s_add_i32 s0, s0, s1
	v_add_u32_e32 v4, s0, v0
	s_waitcnt lgkmcnt(0)
	v_mov_b32_e32 v2, s12
	v_mov_b32_e32 v3, s13
	v_ashrrev_i32_e32 v5, 31, v4
	v_lshl_add_u64 v[2:3], v[4:5], 2, v[2:3]
	global_load_dword v7, v[2:3], off
	s_mul_i32 s5, s2, s10
	s_lshl_b32 s11, s3, 2
	s_add_i32 s9, s5, s10
	s_add_i32 s0, s11, s4
	s_lshl_b32 s1, s9, 3
	s_add_i32 s0, s0, s1
	s_add_i32 s0, s0, -8
	s_ashr_i32 s1, s0, 31
	s_lshl_b64 s[0:1], s[0:1], 3
	s_add_u32 s0, s14, s0
	s_addc_u32 s1, s15, s1
	s_load_dword s12, s[0:1], 0x4
	s_add_i32 s6, s9, -2
	s_cmp_lt_i32 s6, s5
	s_cbranch_scc1 .LBB28_4
; %bb.2:
	s_lshl_b32 s6, s8, 5
	s_ashr_i32 s7, s6, 31
	s_lshl_b64 s[6:7], s[6:7], 2
	s_add_u32 s6, s14, s6
	s_addc_u32 s7, s15, s7
	s_add_i32 s2, s2, 1
	s_load_dword s0, s[0:1], 0x0
	s_mul_i32 s1, s10, s2
	s_lshl_b32 s2, s1, 3
	s_add_i32 s2, s4, s2
	s_mulk_i32 s3, 0x140
	s_mulk_i32 s4, 0x50
	s_lshl_b32 s8, s8, 3
	s_mulk_i32 s1, 0x280
	s_add_i32 s3, s4, s3
	s_add_i32 s2, s2, s8
	s_add_i32 s3, s3, s1
	s_add_i32 s2, s2, s11
	v_add_u32_e32 v0, s3, v0
	s_add_i32 s9, s9, -1
	s_add_i32 s2, s2, -16
	v_add_u32_e32 v0, 0xfffffb00, v0
	s_waitcnt lgkmcnt(0)
	v_mov_b32_e32 v6, s12
	v_mov_b32_e32 v5, s0
	s_mov_b32 s4, 0x3fb8aa3b
	s_mov_b32 s8, 0xc2ce8ed0
	;; [unrolled: 1-line block ×3, first 2 shown]
	v_mov_b32_e32 v4, 0x7f800000
	s_mov_b32 s11, 0xc1a00000
.LBB28_3:                               ; =>This Inner Loop Header: Depth=1
	v_ashrrev_i32_e32 v1, 31, v0
	v_lshl_add_u64 v[8:9], v[0:1], 2, s[6:7]
	global_load_dword v1, v[8:9], off
	s_ashr_i32 s3, s2, 31
	s_lshl_b64 s[0:1], s[2:3], 3
	s_add_u32 s0, s14, s0
	s_addc_u32 s1, s15, s1
	s_load_dwordx2 s[12:13], s[0:1], 0x0
	s_waitcnt vmcnt(1)
	v_mov_b32_e32 v8, v7
	v_max_f32_e32 v7, v5, v5
	v_mov_b32_e32 v9, v6
	s_add_i32 s9, s9, -1
	s_waitcnt lgkmcnt(0)
	v_max_f32_e64 v6, s12, s12
	v_max_f32_e32 v6, v7, v6
	v_sub_f32_e32 v10, s12, v6
	v_sub_f32_e32 v7, v5, v6
	v_mul_f32_e32 v11, 0x3fb8aa3b, v10
	v_mov_b32_e32 v5, v6
	v_mul_f32_e32 v6, 0x3fb8aa3b, v7
	v_fma_f32 v14, v10, s4, -v11
	v_rndne_f32_e32 v15, v11
	v_fma_f32 v12, v7, s4, -v6
	v_rndne_f32_e32 v13, v6
	v_fmac_f32_e32 v14, 0x32a5705f, v10
	v_sub_f32_e32 v11, v11, v15
	v_fmac_f32_e32 v12, 0x32a5705f, v7
	v_sub_f32_e32 v6, v6, v13
	v_add_f32_e32 v11, v11, v14
	v_cvt_i32_f32_e32 v15, v15
	v_add_f32_e32 v6, v6, v12
	v_exp_f32_e32 v11, v11
	v_cvt_i32_f32_e32 v13, v13
	v_exp_f32_e32 v6, v6
	v_cmp_ngt_f32_e32 vcc, s8, v10
	v_ldexp_f32 v11, v11, v15
	v_cmp_ngt_f32_e64 s[0:1], s8, v7
	v_ldexp_f32 v6, v6, v13
	v_cndmask_b32_e32 v11, 0, v11, vcc
	v_cmp_nlt_f32_e32 vcc, s10, v10
	v_cndmask_b32_e64 v6, 0, v6, s[0:1]
	v_cmp_nlt_f32_e64 s[0:1], s10, v7
	v_cndmask_b32_e32 v11, v4, v11, vcc
	v_cmp_le_f32_e32 vcc, s11, v10
	v_cndmask_b32_e64 v6, v4, v6, s[0:1]
	v_cmp_le_f32_e64 s[0:1], s11, v7
	v_cndmask_b32_e32 v7, 0, v11, vcc
	s_add_i32 s2, s2, -8
	v_cndmask_b32_e64 v10, 0, v6, s[0:1]
	v_mul_f32_e32 v6, s13, v7
	v_add_u32_e32 v0, 0xfffffd80, v0
	s_cmp_le_i32 s9, s5
	v_fmac_f32_e32 v6, v9, v10
	s_waitcnt vmcnt(0)
	v_mul_f32_e32 v7, v1, v7
	v_fmac_f32_e32 v7, v8, v10
	s_cbranch_scc0 .LBB28_3
	s_branch .LBB28_5
.LBB28_4:
	s_waitcnt lgkmcnt(0)
	v_mov_b32_e32 v6, s12
.LBB28_5:
	s_waitcnt vmcnt(0)
	v_div_scale_f32 v0, s[0:1], v6, v6, v7
	v_rcp_f32_e32 v1, v0
	v_div_scale_f32 v4, vcc, v7, v6, v7
	v_fma_f32 v5, -v0, v1, 1.0
	v_fmac_f32_e32 v1, v5, v1
	v_mul_f32_e32 v5, v4, v1
	v_fma_f32 v8, -v0, v5, v4
	v_fmac_f32_e32 v5, v8, v1
	v_fma_f32 v0, -v0, v5, v4
	v_div_fmas_f32 v0, v0, v1, v5
	v_div_fixup_f32 v0, v0, v6, v7
	global_store_dword v[2:3], v0, off
.LBB28_6:
	s_endpgm
	.section	.rodata,"a",@progbits
	.p2align	6, 0x0
	.amdhsa_kernel _ZL33flash_attn_stream_k_fixup_uniformILi80ELi2ELi4EEvPfPK15HIP_vector_typeIfLj2EEiiiiiiS1_IjLj3EES5_S5_
		.amdhsa_group_segment_fixed_size 0
		.amdhsa_private_segment_fixed_size 0
		.amdhsa_kernarg_size 76
		.amdhsa_user_sgpr_count 2
		.amdhsa_user_sgpr_dispatch_ptr 0
		.amdhsa_user_sgpr_queue_ptr 0
		.amdhsa_user_sgpr_kernarg_segment_ptr 1
		.amdhsa_user_sgpr_dispatch_id 0
		.amdhsa_user_sgpr_kernarg_preload_length 0
		.amdhsa_user_sgpr_kernarg_preload_offset 0
		.amdhsa_user_sgpr_private_segment_size 0
		.amdhsa_uses_dynamic_stack 0
		.amdhsa_enable_private_segment 0
		.amdhsa_system_sgpr_workgroup_id_x 1
		.amdhsa_system_sgpr_workgroup_id_y 1
		.amdhsa_system_sgpr_workgroup_id_z 1
		.amdhsa_system_sgpr_workgroup_info 0
		.amdhsa_system_vgpr_workitem_id 0
		.amdhsa_next_free_vgpr 16
		.amdhsa_next_free_sgpr 20
		.amdhsa_accum_offset 16
		.amdhsa_reserve_vcc 1
		.amdhsa_float_round_mode_32 0
		.amdhsa_float_round_mode_16_64 0
		.amdhsa_float_denorm_mode_32 3
		.amdhsa_float_denorm_mode_16_64 3
		.amdhsa_dx10_clamp 1
		.amdhsa_ieee_mode 1
		.amdhsa_fp16_overflow 0
		.amdhsa_tg_split 0
		.amdhsa_exception_fp_ieee_invalid_op 0
		.amdhsa_exception_fp_denorm_src 0
		.amdhsa_exception_fp_ieee_div_zero 0
		.amdhsa_exception_fp_ieee_overflow 0
		.amdhsa_exception_fp_ieee_underflow 0
		.amdhsa_exception_fp_ieee_inexact 0
		.amdhsa_exception_int_div_zero 0
	.end_amdhsa_kernel
	.section	.text._ZL33flash_attn_stream_k_fixup_uniformILi80ELi2ELi4EEvPfPK15HIP_vector_typeIfLj2EEiiiiiiS1_IjLj3EES5_S5_,"axG",@progbits,_ZL33flash_attn_stream_k_fixup_uniformILi80ELi2ELi4EEvPfPK15HIP_vector_typeIfLj2EEiiiiiiS1_IjLj3EES5_S5_,comdat
.Lfunc_end28:
	.size	_ZL33flash_attn_stream_k_fixup_uniformILi80ELi2ELi4EEvPfPK15HIP_vector_typeIfLj2EEiiiiiiS1_IjLj3EES5_S5_, .Lfunc_end28-_ZL33flash_attn_stream_k_fixup_uniformILi80ELi2ELi4EEvPfPK15HIP_vector_typeIfLj2EEiiiiiiS1_IjLj3EES5_S5_
                                        ; -- End function
	.section	.AMDGPU.csdata,"",@progbits
; Kernel info:
; codeLenInByte = 836
; NumSgprs: 26
; NumVgprs: 16
; NumAgprs: 0
; TotalNumVgprs: 16
; ScratchSize: 0
; MemoryBound: 0
; FloatMode: 240
; IeeeMode: 1
; LDSByteSize: 0 bytes/workgroup (compile time only)
; SGPRBlocks: 3
; VGPRBlocks: 1
; NumSGPRsForWavesPerEU: 26
; NumVGPRsForWavesPerEU: 16
; AccumOffset: 16
; Occupancy: 8
; WaveLimiterHint : 0
; COMPUTE_PGM_RSRC2:SCRATCH_EN: 0
; COMPUTE_PGM_RSRC2:USER_SGPR: 2
; COMPUTE_PGM_RSRC2:TRAP_HANDLER: 0
; COMPUTE_PGM_RSRC2:TGID_X_EN: 1
; COMPUTE_PGM_RSRC2:TGID_Y_EN: 1
; COMPUTE_PGM_RSRC2:TGID_Z_EN: 1
; COMPUTE_PGM_RSRC2:TIDIG_COMP_CNT: 0
; COMPUTE_PGM_RSRC3_GFX90A:ACCUM_OFFSET: 3
; COMPUTE_PGM_RSRC3_GFX90A:TG_SPLIT: 0
	.section	.text._ZL33flash_attn_stream_k_fixup_generalILi80ELi2ELi4EEvPfPK15HIP_vector_typeIfLj2EEiiiiS1_IjLj3EES5_S5_S5_,"axG",@progbits,_ZL33flash_attn_stream_k_fixup_generalILi80ELi2ELi4EEvPfPK15HIP_vector_typeIfLj2EEiiiiS1_IjLj3EES5_S5_S5_,comdat
	.globl	_ZL33flash_attn_stream_k_fixup_generalILi80ELi2ELi4EEvPfPK15HIP_vector_typeIfLj2EEiiiiS1_IjLj3EES5_S5_S5_ ; -- Begin function _ZL33flash_attn_stream_k_fixup_generalILi80ELi2ELi4EEvPfPK15HIP_vector_typeIfLj2EEiiiiS1_IjLj3EES5_S5_S5_
	.p2align	8
	.type	_ZL33flash_attn_stream_k_fixup_generalILi80ELi2ELi4EEvPfPK15HIP_vector_typeIfLj2EEiiiiS1_IjLj3EES5_S5_S5_,@function
_ZL33flash_attn_stream_k_fixup_generalILi80ELi2ELi4EEvPfPK15HIP_vector_typeIfLj2EEiiiiS1_IjLj3EES5_S5_S5_: ; @_ZL33flash_attn_stream_k_fixup_generalILi80ELi2ELi4EEvPfPK15HIP_vector_typeIfLj2EEiiiiS1_IjLj3EES5_S5_S5_
; %bb.0:
	s_load_dwordx4 s[12:15], s[0:1], 0x10
	s_load_dword s22, s[0:1], 0x50
	s_mov_b32 s8, 0
	s_waitcnt lgkmcnt(0)
	s_mul_hi_i32 s9, s15, s2
	s_cmp_lg_u64 s[8:9], 0
	s_mul_i32 s5, s15, s2
	s_cbranch_scc0 .LBB29_21
; %bb.1:
	v_cvt_f32_u32_e32 v1, s22
	v_cvt_f32_ubyte0_e32 v2, 0
	s_sub_u32 s8, 0, s22
	s_subb_u32 s10, 0, 0
	v_fmamk_f32 v1, v2, 0x4f800000, v1
	v_rcp_f32_e32 v1, v1
	s_nop 0
	v_mul_f32_e32 v1, 0x5f7ffffc, v1
	v_mul_f32_e32 v2, 0x2f800000, v1
	v_trunc_f32_e32 v2, v2
	v_fmamk_f32 v1, v2, 0xcf800000, v1
	v_cvt_u32_f32_e32 v2, v2
	v_cvt_u32_f32_e32 v1, v1
	v_readfirstlane_b32 s11, v2
	v_readfirstlane_b32 s16, v1
	s_mul_i32 s17, s8, s11
	s_mul_hi_u32 s19, s8, s16
	s_mul_i32 s18, s10, s16
	s_add_i32 s17, s19, s17
	s_add_i32 s17, s17, s18
	s_mul_i32 s20, s8, s16
	s_mul_hi_u32 s18, s16, s17
	s_mul_i32 s19, s16, s17
	s_mul_hi_u32 s16, s16, s20
	s_add_u32 s16, s16, s19
	s_addc_u32 s18, 0, s18
	s_mul_hi_u32 s21, s11, s20
	s_mul_i32 s20, s11, s20
	s_add_u32 s16, s16, s20
	s_mul_hi_u32 s19, s11, s17
	s_addc_u32 s16, s18, s21
	s_addc_u32 s18, s19, 0
	s_mul_i32 s17, s11, s17
	s_add_u32 s16, s16, s17
	s_addc_u32 s17, 0, s18
	v_add_co_u32_e32 v1, vcc, s16, v1
	s_cmp_lg_u64 vcc, 0
	s_addc_u32 s11, s11, s17
	v_readfirstlane_b32 s17, v1
	s_mul_i32 s16, s8, s11
	s_mul_hi_u32 s18, s8, s17
	s_add_i32 s16, s18, s16
	s_mul_i32 s10, s10, s17
	s_add_i32 s16, s16, s10
	s_mul_i32 s8, s8, s17
	s_mul_hi_u32 s18, s11, s8
	s_mul_i32 s19, s11, s8
	s_mul_i32 s21, s17, s16
	s_mul_hi_u32 s8, s17, s8
	s_mul_hi_u32 s20, s17, s16
	s_add_u32 s8, s8, s21
	s_addc_u32 s17, 0, s20
	s_add_u32 s8, s8, s19
	s_mul_hi_u32 s10, s11, s16
	s_addc_u32 s8, s17, s18
	s_addc_u32 s10, s10, 0
	s_mul_i32 s16, s11, s16
	s_add_u32 s8, s8, s16
	s_addc_u32 s10, 0, s10
	v_add_co_u32_e32 v1, vcc, s8, v1
	s_cmp_lg_u64 vcc, 0
	s_addc_u32 s16, s11, s10
	s_ashr_i32 s10, s9, 31
	s_add_u32 s8, s5, s10
	s_mov_b32 s11, s10
	s_addc_u32 s9, s9, s10
	s_xor_b64 s[8:9], s[8:9], s[10:11]
	v_readfirstlane_b32 s19, v1
	s_mul_i32 s18, s8, s16
	s_mul_hi_u32 s20, s8, s19
	s_mul_hi_u32 s17, s8, s16
	s_add_u32 s18, s20, s18
	s_addc_u32 s17, 0, s17
	s_mul_hi_u32 s21, s9, s19
	s_mul_i32 s19, s9, s19
	s_add_u32 s18, s18, s19
	s_mul_hi_u32 s20, s9, s16
	s_addc_u32 s17, s17, s21
	s_addc_u32 s18, s20, 0
	s_mul_i32 s16, s9, s16
	s_add_u32 s16, s17, s16
	s_addc_u32 s17, 0, s18
	s_add_u32 s18, s16, 1
	s_addc_u32 s19, s17, 0
	s_add_u32 s20, s16, 2
	s_mul_i32 s23, s22, s17
	s_mul_hi_u32 s24, s22, s16
	s_addc_u32 s21, s17, 0
	s_add_i32 s24, s24, s23
	s_mul_i32 s23, s22, s16
	v_mov_b32_e32 v1, s23
	v_sub_co_u32_e32 v1, vcc, s8, v1
	s_cmp_lg_u64 vcc, 0
	s_subb_u32 s8, s9, s24
	v_subrev_co_u32_e32 v2, vcc, s22, v1
	s_cmp_lg_u64 vcc, 0
	s_subb_u32 s9, s8, 0
	v_readfirstlane_b32 s23, v2
	s_cmp_ge_u32 s23, s22
	s_cselect_b32 s23, -1, 0
	s_cmp_eq_u32 s9, 0
	s_cselect_b32 s9, s23, -1
	s_cmp_lg_u32 s9, 0
	s_cselect_b32 s9, s21, s19
	v_readfirstlane_b32 s19, v1
	s_cselect_b32 s18, s20, s18
	s_cmp_ge_u32 s19, s22
	s_cselect_b32 s19, -1, 0
	s_cmp_eq_u32 s8, 0
	s_cselect_b32 s8, s19, -1
	s_cmp_lg_u32 s8, 0
	s_cselect_b32 s9, s9, s17
	s_cselect_b32 s8, s18, s16
	s_xor_b64 s[8:9], s[8:9], s[10:11]
	s_sub_u32 s20, s8, s10
	s_load_dwordx4 s[16:19], s[0:1], 0x44
	s_cbranch_execnz .LBB29_3
.LBB29_2:
	v_cvt_f32_u32_e32 v1, s22
	s_sub_i32 s6, 0, s22
	v_rcp_iflag_f32_e32 v1, v1
	s_nop 0
	v_mul_f32_e32 v1, 0x4f7ffffe, v1
	v_cvt_u32_f32_e32 v1, v1
	s_nop 0
	v_readfirstlane_b32 s7, v1
	s_mul_i32 s6, s6, s7
	s_mul_hi_u32 s6, s7, s6
	s_add_i32 s7, s7, s6
	s_mul_hi_u32 s6, s5, s7
	s_mul_i32 s8, s6, s22
	s_sub_i32 s5, s5, s8
	s_add_i32 s7, s6, 1
	s_sub_i32 s8, s5, s22
	s_cmp_ge_u32 s5, s22
	s_cselect_b32 s6, s7, s6
	s_cselect_b32 s5, s8, s5
	s_add_i32 s7, s6, 1
	s_cmp_ge_u32 s5, s22
	s_cselect_b32 s20, s7, s6
.LBB29_3:
	s_add_i32 s5, s2, 1
	s_mul_hi_i32 s9, s15, s5
	s_mov_b32 s8, 0
	s_cmp_lg_u64 s[8:9], 0
	s_mul_i32 s5, s15, s5
	s_cbranch_scc0 .LBB29_22
; %bb.4:
	v_cvt_f32_u32_e32 v1, s22
	v_cvt_f32_ubyte0_e32 v2, 0
	s_sub_u32 s8, 0, s22
	s_subb_u32 s10, 0, 0
	v_fmamk_f32 v1, v2, 0x4f800000, v1
	v_rcp_f32_e32 v1, v1
	s_nop 0
	v_mul_f32_e32 v1, 0x5f7ffffc, v1
	v_mul_f32_e32 v2, 0x2f800000, v1
	v_trunc_f32_e32 v2, v2
	v_fmamk_f32 v1, v2, 0xcf800000, v1
	v_cvt_u32_f32_e32 v2, v2
	v_cvt_u32_f32_e32 v1, v1
	v_readfirstlane_b32 s11, v2
	s_waitcnt lgkmcnt(0)
	v_readfirstlane_b32 s19, v1
	s_mul_i32 s21, s8, s11
	s_mul_hi_u32 s24, s8, s19
	s_mul_i32 s23, s10, s19
	s_add_i32 s21, s24, s21
	s_add_i32 s21, s21, s23
	s_mul_i32 s25, s8, s19
	s_mul_hi_u32 s23, s19, s21
	s_mul_i32 s24, s19, s21
	s_mul_hi_u32 s19, s19, s25
	s_add_u32 s19, s19, s24
	s_addc_u32 s23, 0, s23
	s_mul_hi_u32 s26, s11, s25
	s_mul_i32 s25, s11, s25
	s_add_u32 s19, s19, s25
	s_mul_hi_u32 s24, s11, s21
	s_addc_u32 s19, s23, s26
	s_addc_u32 s23, s24, 0
	s_mul_i32 s21, s11, s21
	s_add_u32 s19, s19, s21
	s_addc_u32 s21, 0, s23
	v_add_co_u32_e32 v1, vcc, s19, v1
	s_cmp_lg_u64 vcc, 0
	s_addc_u32 s11, s11, s21
	v_readfirstlane_b32 s21, v1
	s_mul_i32 s19, s8, s11
	s_mul_hi_u32 s23, s8, s21
	s_add_i32 s19, s23, s19
	s_mul_i32 s10, s10, s21
	s_add_i32 s19, s19, s10
	s_mul_i32 s8, s8, s21
	s_mul_hi_u32 s23, s11, s8
	s_mul_i32 s24, s11, s8
	s_mul_i32 s26, s21, s19
	s_mul_hi_u32 s8, s21, s8
	s_mul_hi_u32 s25, s21, s19
	s_add_u32 s8, s8, s26
	s_addc_u32 s21, 0, s25
	s_add_u32 s8, s8, s24
	s_mul_hi_u32 s10, s11, s19
	s_addc_u32 s8, s21, s23
	s_addc_u32 s10, s10, 0
	s_mul_i32 s19, s11, s19
	s_add_u32 s8, s8, s19
	s_addc_u32 s10, 0, s10
	v_add_co_u32_e32 v1, vcc, s8, v1
	s_cmp_lg_u64 vcc, 0
	s_addc_u32 s19, s11, s10
	s_ashr_i32 s10, s9, 31
	s_add_u32 s8, s5, s10
	s_mov_b32 s11, s10
	s_addc_u32 s9, s9, s10
	s_xor_b64 s[8:9], s[8:9], s[10:11]
	v_readfirstlane_b32 s23, v1
	s_mul_i32 s21, s8, s19
	s_mul_hi_u32 s24, s8, s23
	s_mul_hi_u32 s11, s8, s19
	s_add_u32 s21, s24, s21
	s_addc_u32 s11, 0, s11
	s_mul_hi_u32 s25, s9, s23
	s_mul_i32 s23, s9, s23
	s_add_u32 s21, s21, s23
	s_mul_hi_u32 s24, s9, s19
	s_addc_u32 s11, s11, s25
	s_addc_u32 s21, s24, 0
	s_mul_i32 s19, s9, s19
	s_add_u32 s11, s11, s19
	s_addc_u32 s19, 0, s21
	s_mul_i32 s19, s22, s19
	s_mul_hi_u32 s24, s22, s11
	s_add_i32 s24, s24, s19
	s_mul_i32 s19, s22, s11
	v_mov_b32_e32 v1, s19
	s_add_u32 s21, s11, 1
	s_add_u32 s23, s11, 2
	v_sub_co_u32_e32 v1, vcc, s8, v1
	s_cmp_lg_u64 vcc, 0
	s_subb_u32 s8, s9, s24
	v_subrev_co_u32_e32 v2, vcc, s22, v1
	s_cmp_lg_u64 vcc, 0
	s_subb_u32 s9, s8, 0
	v_cmp_le_u32_e32 vcc, s22, v2
	s_cmp_eq_u32 s9, 0
	v_mov_b32_e32 v3, s21
	v_cndmask_b32_e64 v2, 0, -1, vcc
	s_cselect_b64 vcc, -1, 0
	v_cndmask_b32_e32 v2, -1, v2, vcc
	v_mov_b32_e32 v4, s23
	v_cmp_ne_u32_e32 vcc, 0, v2
	s_cmp_eq_u32 s8, 0
	s_nop 0
	v_cndmask_b32_e32 v2, v3, v4, vcc
	v_cmp_le_u32_e32 vcc, s22, v1
	v_mov_b32_e32 v3, s11
	s_nop 0
	v_cndmask_b32_e64 v1, 0, -1, vcc
	s_cselect_b64 vcc, -1, 0
	v_cndmask_b32_e32 v1, -1, v1, vcc
	v_cmp_ne_u32_e32 vcc, 0, v1
	s_nop 1
	v_cndmask_b32_e32 v1, v3, v2, vcc
	v_xor_b32_e32 v1, s10, v1
	v_subrev_co_u32_e32 v2, vcc, s10, v1
	s_cbranch_execnz .LBB29_6
.LBB29_5:
	v_cvt_f32_u32_e32 v1, s22
	s_sub_i32 s6, 0, s22
	s_mov_b32 s7, 0
	v_rcp_iflag_f32_e32 v1, v1
	s_nop 0
	v_mul_f32_e32 v1, 0x4f7ffffe, v1
	v_cvt_u32_f32_e32 v1, v1
	s_nop 0
	v_readfirstlane_b32 s8, v1
	s_mul_i32 s6, s6, s8
	s_mul_hi_u32 s6, s8, s6
	s_add_i32 s8, s8, s6
	s_mul_hi_u32 s6, s5, s8
	s_mul_i32 s9, s6, s22
	s_sub_i32 s5, s5, s9
	s_add_i32 s8, s6, 1
	s_sub_i32 s9, s5, s22
	s_cmp_ge_u32 s5, s22
	s_cselect_b32 s6, s8, s6
	s_cselect_b32 s5, s9, s5
	s_add_i32 s8, s6, 1
	s_cmp_ge_u32 s5, s22
	s_cselect_b32 s6, s8, s6
	v_mov_b64_e32 v[2:3], s[6:7]
.LBB29_6:
	s_waitcnt lgkmcnt(0)
	s_mul_hi_u32 s5, s20, s16
	s_add_i32 s5, s5, s20
	v_mul_hi_u32 v1, v2, s16
	s_lshr_b32 s19, s5, s17
	v_add_u32_e32 v1, v1, v2
	s_mul_i32 s5, s19, s18
	v_lshrrev_b32_e32 v1, s17, v1
	s_cmp_eq_u32 s5, s20
	v_cmp_eq_u32_e64 s[6:7], s19, v1
	v_mul_lo_u32 v1, v1, s18
	v_cmp_eq_u32_e32 vcc, s20, v2
	s_cselect_b64 s[10:11], -1, 0
	v_cmp_ne_u32_e64 s[8:9], v1, v2
	s_and_b64 s[6:7], s[6:7], s[8:9]
	s_or_b64 s[8:9], vcc, s[10:11]
	s_or_b64 s[6:7], s[8:9], s[6:7]
	s_and_b64 vcc, exec, s[6:7]
	s_cbranch_vccnz .LBB29_24
; %bb.7:
	s_load_dwordx8 s[24:31], s[0:1], 0x20
	s_load_dword s5, s[0:1], 0x40
	s_waitcnt lgkmcnt(0)
	s_mul_hi_u32 s6, s20, s24
	s_add_i32 s6, s6, s20
	s_lshr_b32 s7, s6, s25
	s_mul_i32 s6, s7, s26
	s_sub_i32 s6, s20, s6
	s_mul_hi_u32 s8, s6, s27
	s_add_i32 s8, s6, s8
	s_lshr_b32 s23, s8, s28
	s_mul_i32 s8, s23, s29
	s_sub_i32 s6, s6, s8
	;; [unrolled: 5-line block ×3, first 2 shown]
	s_mul_hi_u32 s6, s5, s16
	s_add_i32 s5, s5, s6
	s_lshr_b32 s24, s5, s17
	s_lshl_b32 s5, s24, 1
	s_lshl_b32 s25, s8, 2
	s_add_i32 s5, s5, s3
	s_cmp_lt_i32 s5, s12
	s_cselect_b64 s[8:9], -1, 0
	s_add_i32 s25, s25, s4
	s_cmp_lt_i32 s25, s14
	s_cselect_b64 s[10:11], -1, 0
	s_and_b64 s[8:9], s[8:9], s[10:11]
	s_andn2_b64 vcc, exec, s[8:9]
	s_mov_b32 s6, 0
	s_cbranch_vccnz .LBB29_24
; %bb.8:
	s_load_dwordx4 s[8:11], s[0:1], 0x0
	s_lshl_b32 s21, s3, 2
	s_lshl_b32 s0, s22, 5
	s_mov_b32 s1, s6
	s_add_i32 s21, s21, s4
	s_lshl_b64 s[0:1], s[0:1], 2
	s_waitcnt lgkmcnt(0)
	s_add_u32 s4, s10, s0
	s_mul_i32 s0, s7, s12
	s_addc_u32 s5, s11, s1
	s_mul_i32 s23, s23, s14
	s_add_i32 s0, s0, s3
	s_mul_i32 s0, s0, s13
	s_add_i32 s3, s25, s23
	s_mul_i32 s1, s13, s24
	s_add_i32 s0, s3, s0
	s_mulk_i32 s1, 0xa0
	s_mulk_i32 s0, 0x50
	s_add_i32 s1, s1, s0
	v_add_u32_e32 v4, s1, v0
	v_mov_b32_e32 v2, s8
	v_mov_b32_e32 v3, s9
	v_ashrrev_i32_e32 v5, 31, v4
	v_lshl_add_u64 v[2:3], v[4:5], 2, v[2:3]
	global_load_dword v5, v[2:3], off
	s_lshl_b32 s0, s2, 3
	s_add_i32 s0, s21, s0
	s_ashr_i32 s1, s0, 31
	s_lshl_b64 s[0:1], s[0:1], 3
	s_add_u32 s0, s10, s0
	s_addc_u32 s1, s11, s1
	s_add_i32 s12, s2, -1
	s_mul_i32 s2, s21, 0x50
	v_add_u32_e32 v4, s2, v0
	v_cvt_f32_u32_e32 v0, s22
	v_cvt_f32_ubyte0_e32 v1, 0
	s_load_dwordx2 s[0:1], s[0:1], 0x0
	v_mov_b32_e32 v8, s20
	v_fmac_f32_e32 v0, 0x4f800000, v1
	v_rcp_f32_e32 v0, v0
	v_cvt_f32_u32_e32 v1, s22
	s_waitcnt lgkmcnt(0)
	v_mov_b32_e32 v6, s1
	v_mov_b32_e32 v7, s0
	v_mul_f32_e32 v0, 0x5f7ffffc, v0
	v_rcp_iflag_f32_e32 v1, v1
	v_mul_f32_e32 v9, 0x2f800000, v0
	v_trunc_f32_e32 v10, v9
	v_fmac_f32_e32 v0, 0xcf800000, v10
	v_cvt_u32_f32_e32 v9, v0
	v_mul_f32_e32 v0, 0x4f7ffffe, v1
	v_cvt_u32_f32_e32 v10, v10
	v_cvt_u32_f32_e32 v11, v0
	s_mov_b32 s8, 0x3fb8aa3b
	s_mov_b32 s9, 0xc2ce8ed0
	s_mov_b32 s13, 0x42b17218
	s_mov_b32 s14, 0xc1a00000
	v_mov_b32_e32 v12, 0x7f800000
	s_mul_hi_i32 s7, s12, s15
	s_cmp_lg_u64 s[6:7], 0
	s_mul_i32 s2, s12, s15
	s_cbranch_scc0 .LBB29_15
.LBB29_9:
	s_sub_u32 s0, 0, s22
	v_readfirstlane_b32 s3, v9
	v_readfirstlane_b32 s24, v10
	s_subb_u32 s1, 0, 0
	s_mul_hi_u32 s23, s0, s3
	s_mul_i32 s25, s0, s24
	s_mul_i32 s20, s1, s3
	s_add_i32 s23, s23, s25
	s_add_i32 s23, s23, s20
	s_mul_i32 s26, s0, s3
	s_mul_hi_u32 s20, s3, s23
	s_mul_i32 s25, s3, s23
	s_mul_hi_u32 s3, s3, s26
	s_add_u32 s3, s3, s25
	s_addc_u32 s20, 0, s20
	s_mul_hi_u32 s27, s24, s26
	s_mul_i32 s26, s24, s26
	s_add_u32 s3, s3, s26
	s_mul_hi_u32 s25, s24, s23
	s_addc_u32 s3, s20, s27
	s_addc_u32 s20, s25, 0
	s_mul_i32 s23, s24, s23
	s_add_u32 s3, s3, s23
	s_addc_u32 s20, 0, s20
	v_add_co_u32_e32 v0, vcc, s3, v9
	s_cmp_lg_u64 vcc, 0
	s_addc_u32 s3, s24, s20
	v_readfirstlane_b32 s23, v0
	s_mul_i32 s20, s0, s3
	s_mul_hi_u32 s24, s0, s23
	s_add_i32 s20, s24, s20
	s_mul_i32 s1, s1, s23
	s_add_i32 s20, s20, s1
	s_mul_i32 s0, s0, s23
	s_mul_hi_u32 s24, s3, s0
	s_mul_i32 s25, s3, s0
	s_mul_i32 s27, s23, s20
	s_mul_hi_u32 s0, s23, s0
	s_mul_hi_u32 s26, s23, s20
	s_add_u32 s0, s0, s27
	s_addc_u32 s23, 0, s26
	s_add_u32 s0, s0, s25
	s_mul_hi_u32 s1, s3, s20
	s_addc_u32 s0, s23, s24
	s_addc_u32 s1, s1, 0
	s_mul_i32 s20, s3, s20
	s_add_u32 s0, s0, s20
	s_addc_u32 s1, 0, s1
	v_add_co_u32_e32 v0, vcc, s0, v0
	s_cmp_lg_u64 vcc, 0
	s_addc_u32 s3, s3, s1
	s_ashr_i32 s0, s7, 31
	s_add_u32 s24, s2, s0
	s_mov_b32 s1, s0
	s_addc_u32 s25, s7, s0
	s_xor_b64 s[24:25], s[24:25], s[0:1]
	v_readfirstlane_b32 s20, v0
	s_mul_i32 s7, s24, s3
	s_mul_hi_u32 s23, s24, s20
	s_mul_hi_u32 s1, s24, s3
	s_add_u32 s7, s23, s7
	s_addc_u32 s1, 0, s1
	s_mul_hi_u32 s26, s25, s20
	s_mul_i32 s20, s25, s20
	s_add_u32 s7, s7, s20
	s_mul_hi_u32 s23, s25, s3
	s_addc_u32 s1, s1, s26
	s_addc_u32 s7, s23, 0
	s_mul_i32 s3, s25, s3
	s_add_u32 s1, s1, s3
	s_addc_u32 s3, 0, s7
	s_mul_i32 s3, s22, s3
	s_mul_hi_u32 s23, s22, s1
	s_add_i32 s23, s23, s3
	s_mul_i32 s3, s22, s1
	v_mov_b32_e32 v0, s3
	s_add_u32 s7, s1, 1
	s_add_u32 s20, s1, 2
	v_sub_co_u32_e32 v0, vcc, s24, v0
	s_cmp_lg_u64 vcc, 0
	s_subb_u32 s3, s25, s23
	v_subrev_co_u32_e32 v1, vcc, s22, v0
	s_cmp_lg_u64 vcc, 0
	s_subb_u32 s23, s3, 0
	v_cmp_le_u32_e32 vcc, s22, v1
	s_cmp_eq_u32 s23, 0
	v_mov_b32_e32 v13, s7
	v_cndmask_b32_e64 v1, 0, -1, vcc
	s_cselect_b64 vcc, -1, 0
	v_cndmask_b32_e32 v1, -1, v1, vcc
	v_mov_b32_e32 v14, s20
	v_cmp_ne_u32_e32 vcc, 0, v1
	s_cmp_eq_u32 s3, 0
	s_nop 0
	v_cndmask_b32_e32 v1, v13, v14, vcc
	v_cmp_le_u32_e32 vcc, s22, v0
	v_mov_b32_e32 v13, s1
	s_nop 0
	v_cndmask_b32_e64 v0, 0, -1, vcc
	s_cselect_b64 vcc, -1, 0
	v_cndmask_b32_e32 v0, -1, v0, vcc
	v_cmp_ne_u32_e32 vcc, 0, v0
	s_nop 1
	v_cndmask_b32_e32 v0, v13, v1, vcc
	v_xor_b32_e32 v0, s0, v0
	v_subrev_co_u32_e32 v0, vcc, s0, v0
	s_cbranch_execnz .LBB29_11
.LBB29_10:
	s_sub_i32 s0, 0, s22
	v_mul_lo_u32 v0, s0, v11
	v_mul_hi_u32 v0, v11, v0
	v_add_u32_e32 v0, v11, v0
	v_mul_hi_u32 v0, s2, v0
	v_mul_lo_u32 v13, v0, s22
	v_sub_u32_e32 v13, s2, v13
	v_add_u32_e32 v1, 1, v0
	v_subrev_u32_e32 v14, s22, v13
	v_cmp_le_u32_e32 vcc, s22, v13
	s_nop 1
	v_cndmask_b32_e32 v13, v13, v14, vcc
	v_cndmask_b32_e32 v0, v0, v1, vcc
	v_add_u32_e32 v1, 1, v0
	v_cmp_le_u32_e32 vcc, s22, v13
	s_nop 1
	v_cndmask_b32_e32 v0, v0, v1, vcc
.LBB29_11:
	v_cmp_ne_u32_e32 vcc, v8, v0
	s_cbranch_vccz .LBB29_14
; %bb.12:
	s_add_i32 s0, s12, s22
	s_lshl_b32 s0, s0, 3
	v_mul_hi_u32 v1, v0, s16
	s_add_i32 s0, s0, s21
	s_mov_b32 s1, s6
	v_add_u32_e32 v1, v1, v0
	s_lshl_b64 s[0:1], s[0:1], 3
	v_lshrrev_b32_e32 v1, s17, v1
	s_add_u32 s2, s10, s0
	v_mul_lo_u32 v13, v1, s18
	s_addc_u32 s3, s11, s1
	v_cmp_eq_u32_e32 vcc, v13, v0
	v_cmp_gt_u32_e64 s[0:1], s19, v1
	s_or_b64 s[0:1], s[0:1], vcc
	s_and_b64 vcc, exec, s[0:1]
	s_cbranch_vccnz .LBB29_16
; %bb.13:
	s_add_i32 s7, s12, -1
	s_mov_b64 s[0:1], 0
	s_branch .LBB29_17
.LBB29_14:
                                        ; implicit-def: $sgpr0_sgpr1
                                        ; implicit-def: $vgpr14
                                        ; implicit-def: $vgpr1
                                        ; implicit-def: $vgpr13
                                        ; implicit-def: $sgpr7
                                        ; implicit-def: $vgpr0
	s_branch .LBB29_18
.LBB29_15:
                                        ; implicit-def: $vgpr0_vgpr1
	s_branch .LBB29_10
.LBB29_16:
	s_mov_b64 s[0:1], -1
	s_mov_b32 s7, s12
	v_mov_b32_e32 v0, v8
.LBB29_17:
	s_mul_i32 s20, s12, 0x280
	v_add_u32_e32 v14, s20, v4
	v_ashrrev_i32_e32 v15, 31, v14
	v_lshl_add_u64 v[14:15], v[14:15], 2, s[4:5]
	global_load_dword v14, v[14:15], off
	s_load_dwordx2 s[2:3], s[2:3], 0x0
	v_max_f32_e32 v1, v7, v7
	s_waitcnt lgkmcnt(0)
	v_max_f32_e64 v13, s2, s2
	v_max_f32_e32 v1, v1, v13
	v_sub_f32_e32 v13, v7, v1
	v_sub_f32_e32 v15, s2, v1
	v_mul_f32_e32 v16, 0x3fb8aa3b, v13
	v_mul_f32_e32 v17, 0x3fb8aa3b, v15
	v_fma_f32 v18, v13, s8, -v16
	v_rndne_f32_e32 v19, v16
	v_fma_f32 v20, v15, s8, -v17
	v_rndne_f32_e32 v21, v17
	v_fmac_f32_e32 v18, 0x32a5705f, v13
	v_sub_f32_e32 v16, v16, v19
	v_fmac_f32_e32 v20, 0x32a5705f, v15
	v_sub_f32_e32 v17, v17, v21
	v_add_f32_e32 v16, v16, v18
	v_cvt_i32_f32_e32 v19, v19
	v_add_f32_e32 v17, v17, v20
	v_exp_f32_e32 v16, v16
	v_cvt_i32_f32_e32 v21, v21
	v_exp_f32_e32 v17, v17
	v_cmp_ngt_f32_e32 vcc, s9, v13
	v_ldexp_f32 v16, v16, v19
	v_ldexp_f32 v17, v17, v21
	v_cndmask_b32_e32 v16, 0, v16, vcc
	v_cmp_ngt_f32_e32 vcc, s9, v15
	s_nop 1
	v_cndmask_b32_e32 v17, 0, v17, vcc
	v_cmp_nlt_f32_e32 vcc, s13, v13
	s_nop 1
	v_cndmask_b32_e32 v16, v12, v16, vcc
	v_cmp_nlt_f32_e32 vcc, s13, v15
	s_nop 1
	v_cndmask_b32_e32 v17, v12, v17, vcc
	v_cmp_le_f32_e32 vcc, s14, v13
	s_nop 1
	v_cndmask_b32_e32 v16, 0, v16, vcc
	v_cmp_le_f32_e32 vcc, s14, v15
	s_nop 1
	v_cndmask_b32_e32 v15, 0, v17, vcc
	v_mul_f32_e32 v13, s3, v15
	v_fmac_f32_e32 v13, v6, v16
	s_waitcnt vmcnt(0)
	v_mul_f32_e32 v14, v14, v15
	v_fmac_f32_e32 v14, v5, v16
	s_cbranch_execnz .LBB29_19
.LBB29_18:
	s_add_i32 s7, s12, -1
	s_mov_b64 s[0:1], 0
	v_mov_b32_e32 v0, v8
	v_mov_b32_e32 v13, v6
	;; [unrolled: 1-line block ×3, first 2 shown]
	s_waitcnt vmcnt(0)
	v_mov_b32_e32 v14, v5
.LBB29_19:
	s_andn2_b64 vcc, exec, s[0:1]
	s_cbranch_vccz .LBB29_23
; %bb.20:
	v_mov_b32_e32 v8, v0
	s_mov_b32 s12, s7
	v_mov_b32_e32 v6, v13
	v_mov_b32_e32 v7, v1
	s_waitcnt vmcnt(0)
	v_mov_b32_e32 v5, v14
	s_mul_hi_i32 s7, s12, s15
	s_cmp_lg_u64 s[6:7], 0
	s_mul_i32 s2, s12, s15
	s_cbranch_scc1 .LBB29_9
	s_branch .LBB29_15
.LBB29_21:
                                        ; implicit-def: $sgpr20_sgpr21
	s_load_dwordx4 s[16:19], s[0:1], 0x44
	s_branch .LBB29_2
.LBB29_22:
                                        ; implicit-def: $vgpr2_vgpr3
	s_branch .LBB29_5
.LBB29_23:
	v_div_scale_f32 v0, s[0:1], v13, v13, v14
	v_rcp_f32_e32 v1, v0
	v_div_scale_f32 v4, vcc, v14, v13, v14
	s_waitcnt vmcnt(0)
	v_fma_f32 v5, -v0, v1, 1.0
	v_fmac_f32_e32 v1, v5, v1
	v_mul_f32_e32 v5, v4, v1
	v_fma_f32 v6, -v0, v5, v4
	v_fmac_f32_e32 v5, v6, v1
	v_fma_f32 v0, -v0, v5, v4
	v_div_fmas_f32 v0, v0, v1, v5
	v_div_fixup_f32 v0, v0, v13, v14
	global_store_dword v[2:3], v0, off
.LBB29_24:
	s_endpgm
	.section	.rodata,"a",@progbits
	.p2align	6, 0x0
	.amdhsa_kernel _ZL33flash_attn_stream_k_fixup_generalILi80ELi2ELi4EEvPfPK15HIP_vector_typeIfLj2EEiiiiS1_IjLj3EES5_S5_S5_
		.amdhsa_group_segment_fixed_size 0
		.amdhsa_private_segment_fixed_size 0
		.amdhsa_kernarg_size 336
		.amdhsa_user_sgpr_count 2
		.amdhsa_user_sgpr_dispatch_ptr 0
		.amdhsa_user_sgpr_queue_ptr 0
		.amdhsa_user_sgpr_kernarg_segment_ptr 1
		.amdhsa_user_sgpr_dispatch_id 0
		.amdhsa_user_sgpr_kernarg_preload_length 0
		.amdhsa_user_sgpr_kernarg_preload_offset 0
		.amdhsa_user_sgpr_private_segment_size 0
		.amdhsa_uses_dynamic_stack 0
		.amdhsa_enable_private_segment 0
		.amdhsa_system_sgpr_workgroup_id_x 1
		.amdhsa_system_sgpr_workgroup_id_y 1
		.amdhsa_system_sgpr_workgroup_id_z 1
		.amdhsa_system_sgpr_workgroup_info 0
		.amdhsa_system_vgpr_workitem_id 0
		.amdhsa_next_free_vgpr 22
		.amdhsa_next_free_sgpr 32
		.amdhsa_accum_offset 24
		.amdhsa_reserve_vcc 1
		.amdhsa_float_round_mode_32 0
		.amdhsa_float_round_mode_16_64 0
		.amdhsa_float_denorm_mode_32 3
		.amdhsa_float_denorm_mode_16_64 3
		.amdhsa_dx10_clamp 1
		.amdhsa_ieee_mode 1
		.amdhsa_fp16_overflow 0
		.amdhsa_tg_split 0
		.amdhsa_exception_fp_ieee_invalid_op 0
		.amdhsa_exception_fp_denorm_src 0
		.amdhsa_exception_fp_ieee_div_zero 0
		.amdhsa_exception_fp_ieee_overflow 0
		.amdhsa_exception_fp_ieee_underflow 0
		.amdhsa_exception_fp_ieee_inexact 0
		.amdhsa_exception_int_div_zero 0
	.end_amdhsa_kernel
	.section	.text._ZL33flash_attn_stream_k_fixup_generalILi80ELi2ELi4EEvPfPK15HIP_vector_typeIfLj2EEiiiiS1_IjLj3EES5_S5_S5_,"axG",@progbits,_ZL33flash_attn_stream_k_fixup_generalILi80ELi2ELi4EEvPfPK15HIP_vector_typeIfLj2EEiiiiS1_IjLj3EES5_S5_S5_,comdat
.Lfunc_end29:
	.size	_ZL33flash_attn_stream_k_fixup_generalILi80ELi2ELi4EEvPfPK15HIP_vector_typeIfLj2EEiiiiS1_IjLj3EES5_S5_S5_, .Lfunc_end29-_ZL33flash_attn_stream_k_fixup_generalILi80ELi2ELi4EEvPfPK15HIP_vector_typeIfLj2EEiiiiS1_IjLj3EES5_S5_S5_
                                        ; -- End function
	.section	.AMDGPU.csdata,"",@progbits
; Kernel info:
; codeLenInByte = 2868
; NumSgprs: 38
; NumVgprs: 22
; NumAgprs: 0
; TotalNumVgprs: 22
; ScratchSize: 0
; MemoryBound: 0
; FloatMode: 240
; IeeeMode: 1
; LDSByteSize: 0 bytes/workgroup (compile time only)
; SGPRBlocks: 4
; VGPRBlocks: 2
; NumSGPRsForWavesPerEU: 38
; NumVGPRsForWavesPerEU: 22
; AccumOffset: 24
; Occupancy: 8
; WaveLimiterHint : 0
; COMPUTE_PGM_RSRC2:SCRATCH_EN: 0
; COMPUTE_PGM_RSRC2:USER_SGPR: 2
; COMPUTE_PGM_RSRC2:TRAP_HANDLER: 0
; COMPUTE_PGM_RSRC2:TGID_X_EN: 1
; COMPUTE_PGM_RSRC2:TGID_Y_EN: 1
; COMPUTE_PGM_RSRC2:TGID_Z_EN: 1
; COMPUTE_PGM_RSRC2:TIDIG_COMP_CNT: 0
; COMPUTE_PGM_RSRC3_GFX90A:ACCUM_OFFSET: 5
; COMPUTE_PGM_RSRC3_GFX90A:TG_SPLIT: 0
	.section	.text._ZL15flash_attn_tileILi80ELi80ELi1ELi4ELb0EEvPKcS1_S1_S1_S1_PKiPfP15HIP_vector_typeIfLj2EEffffjfiS5_IjLj3EEiiiiiiiiiiiliiliiiiil,"axG",@progbits,_ZL15flash_attn_tileILi80ELi80ELi1ELi4ELb0EEvPKcS1_S1_S1_S1_PKiPfP15HIP_vector_typeIfLj2EEffffjfiS5_IjLj3EEiiiiiiiiiiiliiliiiiil,comdat
	.globl	_ZL15flash_attn_tileILi80ELi80ELi1ELi4ELb0EEvPKcS1_S1_S1_S1_PKiPfP15HIP_vector_typeIfLj2EEffffjfiS5_IjLj3EEiiiiiiiiiiiliiliiiiil ; -- Begin function _ZL15flash_attn_tileILi80ELi80ELi1ELi4ELb0EEvPKcS1_S1_S1_S1_PKiPfP15HIP_vector_typeIfLj2EEffffjfiS5_IjLj3EEiiiiiiiiiiiliiliiiiil
	.p2align	8
	.type	_ZL15flash_attn_tileILi80ELi80ELi1ELi4ELb0EEvPKcS1_S1_S1_S1_PKiPfP15HIP_vector_typeIfLj2EEffffjfiS5_IjLj3EEiiiiiiiiiiiliiliiiiil,@function
_ZL15flash_attn_tileILi80ELi80ELi1ELi4ELb0EEvPKcS1_S1_S1_S1_PKiPfP15HIP_vector_typeIfLj2EEffffjfiS5_IjLj3EEiiiiiiiiiiiliiliiiiil: ; @_ZL15flash_attn_tileILi80ELi80ELi1ELi4ELb0EEvPKcS1_S1_S1_S1_PKiPfP15HIP_vector_typeIfLj2EEffffjfiS5_IjLj3EEiiiiiiiiiiiliiliiiiil
; %bb.0:
	s_load_dwordx4 s[20:23], s[0:1], 0x5c
	s_load_dwordx2 s[24:25], s[0:1], 0x80
	s_load_dwordx2 s[28:29], s[0:1], 0xb8
	s_mov_b64 s[26:27], 0
	s_waitcnt lgkmcnt(0)
	s_ashr_i32 s5, s23, 31
	s_lshr_b32 s5, s5, 30
	s_add_i32 s5, s23, s5
	s_ashr_i32 s5, s5, 2
	v_cvt_f32_u32_e32 v1, s5
	s_sub_i32 s6, 0, s5
	v_rcp_iflag_f32_e32 v1, v1
	s_nop 0
	v_mul_f32_e32 v1, 0x4f7ffffe, v1
	v_cvt_u32_f32_e32 v1, v1
	s_nop 0
	v_readfirstlane_b32 s7, v1
	s_mul_i32 s6, s6, s7
	s_mul_hi_u32 s6, s7, s6
	s_add_i32 s7, s7, s6
	s_mul_hi_u32 s6, s4, s7
	s_mul_i32 s7, s6, s5
	s_sub_i32 s7, s4, s7
	s_add_i32 s8, s6, 1
	s_sub_i32 s9, s7, s5
	s_cmp_ge_u32 s7, s5
	s_cselect_b32 s6, s8, s6
	s_cselect_b32 s7, s9, s7
	s_add_i32 s8, s6, 1
	s_cmp_ge_u32 s7, s5
	s_cselect_b32 s33, s8, s6
	s_abs_i32 s5, s25
	v_cvt_f32_u32_e32 v1, s5
	s_sub_i32 s7, 0, s5
	s_abs_i32 s6, s23
	s_lshl_b32 s30, s4, 2
	v_rcp_iflag_f32_e32 v1, v1
	s_xor_b32 s4, s23, s25
	s_ashr_i32 s4, s4, 31
	s_mul_i32 s25, s33, s23
	v_mul_f32_e32 v1, 0x4f7ffffe, v1
	v_cvt_u32_f32_e32 v1, v1
	s_nop 0
	v_readfirstlane_b32 s8, v1
	s_mul_i32 s7, s7, s8
	s_mul_hi_u32 s7, s8, s7
	s_add_i32 s8, s8, s7
	s_mul_hi_u32 s7, s6, s8
	s_mul_i32 s8, s7, s5
	s_sub_i32 s6, s6, s8
	s_add_i32 s9, s7, 1
	s_sub_i32 s8, s6, s5
	s_cmp_ge_u32 s6, s5
	s_cselect_b32 s7, s9, s7
	s_cselect_b32 s6, s8, s6
	s_add_i32 s8, s7, 1
	s_cmp_ge_u32 s6, s5
	s_cselect_b32 s5, s8, s7
	s_xor_b32 s5, s5, s4
	s_sub_i32 s34, s5, s4
	s_abs_i32 s35, s34
	v_cvt_f32_u32_e32 v1, s35
	s_load_dwordx16 s[4:19], s[0:1], 0x0
	v_rcp_iflag_f32_e32 v1, v1
	s_waitcnt lgkmcnt(0)
	s_cmp_eq_u64 s[10:11], 0
	v_mul_f32_e32 v1, 0x4f7ffffe, v1
	v_cvt_u32_f32_e32 v1, v1
	s_nop 0
	v_readfirstlane_b32 s36, v1
	s_cbranch_scc1 .LBB30_2
; %bb.1:
	s_abs_i32 s28, s28
	v_cvt_f32_u32_e32 v1, s28
	s_sub_i32 s38, 0, s28
	s_abs_i32 s37, s33
	s_ashr_i32 s31, s33, 31
	v_rcp_iflag_f32_e32 v1, v1
	s_load_dwordx2 s[26:27], s[0:1], 0xc8
	v_mul_f32_e32 v1, 0x4f7ffffe, v1
	v_cvt_u32_f32_e32 v1, v1
	s_nop 0
	v_readfirstlane_b32 s39, v1
	s_mul_i32 s38, s38, s39
	s_mul_hi_u32 s38, s39, s38
	s_add_i32 s39, s39, s38
	s_mul_hi_u32 s38, s37, s39
	s_mul_i32 s38, s38, s28
	s_sub_i32 s37, s37, s38
	s_sub_i32 s38, s37, s28
	s_cmp_ge_u32 s37, s28
	s_cselect_b32 s37, s38, s37
	s_sub_i32 s38, s37, s28
	s_cmp_ge_u32 s37, s28
	s_cselect_b32 s28, s38, s37
	s_xor_b32 s28, s28, s31
	s_sub_i32 s28, s28, s31
	s_ashr_i32 s31, s28, 31
	s_waitcnt lgkmcnt(0)
	s_mul_i32 s27, s28, s27
	s_mul_hi_u32 s37, s28, s26
	s_add_i32 s27, s37, s27
	s_mul_i32 s31, s31, s26
	s_add_i32 s27, s27, s31
	s_mul_i32 s28, s28, s26
	s_add_u32 s26, s10, s28
	s_addc_u32 s27, s11, s27
.LBB30_2:
	v_bfe_u32 v1, v0, 10, 10
	v_lshrrev_b32_e32 v41, 2, v1
	v_and_b32_e32 v40, 0x3ff, v0
	v_add_u32_e32 v0, s2, v41
	s_sub_i32 s25, s30, s25
	v_and_b32_e32 v53, 3, v1
	v_cmp_gt_u32_e64 s[10:11], 20, v40
	v_mul_hi_u32 v2, s20, v0
	s_and_saveexec_b64 s[30:31], s[10:11]
	s_cbranch_execz .LBB30_4
; %bb.3:
	s_load_dwordx4 s[40:43], s[0:1], 0x70
	s_waitcnt lgkmcnt(0)
	s_mul_i32 s20, s33, s42
	s_ashr_i32 s37, s20, 31
	s_mul_i32 s28, s25, s41
	s_add_u32 s4, s4, s20
	s_addc_u32 s5, s5, s37
	s_ashr_i32 s20, s28, 31
	s_add_u32 s4, s4, s28
	v_mov_b32_e32 v3, s41
	s_addc_u32 s5, s5, s20
	s_ashr_i32 s20, s41, 31
	v_alignbit_b32 v3, s20, v3, 2
	v_mad_u64_u32 v[4:5], s[38:39], v3, v53, 0
	v_mov_b32_e32 v6, v5
	s_lshr_b32 s20, s20, 2
	v_add_u32_e32 v3, v0, v2
	v_mad_u64_u32 v[6:7], s[38:39], s20, v53, v[6:7]
	v_lshrrev_b32_e32 v3, s21, v3
	v_mov_b32_e32 v5, v6
	v_mul_lo_u32 v3, v3, s22
	s_ashr_i32 s20, s40, 31
	v_mov_b32_e32 v6, s40
	v_sub_u32_e32 v3, v0, v3
	v_alignbit_b32 v6, s20, v6, 2
	v_mad_u64_u32 v[6:7], s[38:39], v6, v3, 0
	v_mov_b32_e32 v8, v7
	s_lshr_b32 s20, s20, 2
	v_mad_u64_u32 v[8:9], s[38:39], s20, v3, v[8:9]
	v_mov_b32_e32 v7, v8
	v_lshl_add_u64 v[4:5], v[4:5], 2, s[4:5]
	v_lshl_add_u64 v[4:5], v[6:7], 2, v[4:5]
	v_lshlrev_b32_e32 v6, 4, v40
	v_mov_b32_e32 v7, 0
	v_lshl_add_u64 v[4:5], v[4:5], 0, v[6:7]
	global_load_dwordx4 v[4:7], v[4:5], off
	s_load_dword s4, s[0:1], 0x40
	v_mul_u32_u24_e32 v3, 40, v1
	s_waitcnt vmcnt(0) lgkmcnt(0)
	v_pk_mul_f32 v[4:5], v[4:5], s[4:5] op_sel_hi:[1,0]
	v_pk_mul_f32 v[6:7], v[6:7], s[4:5] op_sel_hi:[1,0]
	v_cvt_f16_f32_e32 v8, v5
	v_cvt_f16_f32_e32 v5, v7
	;; [unrolled: 1-line block ×4, first 2 shown]
	v_lshlrev_b32_e32 v7, 1, v40
	v_add_lshl_u32 v3, v3, v7, 2
	v_pack_b32_f16 v5, v6, v5
	v_pack_b32_f16 v4, v4, v8
	ds_write_b64 v3, v[4:5] offset:3264
.LBB30_4:
	s_or_b64 exec, exec, s[30:31]
	s_cmp_eq_u64 s[14:15], 0
	s_waitcnt lgkmcnt(0)
	s_barrier
	s_cbranch_scc1 .LBB30_6
; %bb.5:
	s_load_dword s4, s[0:1], 0xd0
	s_mov_b32 s5, 0
	s_waitcnt lgkmcnt(0)
	s_mul_i32 s4, s4, s33
	s_add_i32 s4, s4, s2
	s_lshl_b64 s[4:5], s[4:5], 2
	s_add_u32 s4, s14, s4
	s_addc_u32 s5, s15, s5
	s_load_dword s24, s[4:5], 0x0
.LBB30_6:
	s_lshl_b32 s30, s3, 5
	s_waitcnt lgkmcnt(0)
	s_cmp_lt_i32 s30, s24
	v_mbcnt_lo_u32_b32 v3, -1, 0
	s_cbranch_scc1 .LBB30_8
; %bb.7:
	v_mbcnt_hi_u32_b32 v49, -1, v3
	v_and_b32_e32 v4, 0x60, v49
	s_mov_b32 s14, 0
	v_add_u32_e32 v74, 32, v4
	v_xor_b32_e32 v75, 16, v49
	v_xor_b32_e32 v76, 8, v49
	;; [unrolled: 1-line block ×5, first 2 shown]
	s_mov_b64 s[4:5], 0
	s_mov_b32 s15, 0xfeffffff
	s_branch .LBB30_9
.LBB30_8:
	s_mov_b64 s[4:5], -1
                                        ; implicit-def: $sgpr15
                                        ; implicit-def: $sgpr14
                                        ; implicit-def: $vgpr49
                                        ; implicit-def: $vgpr74
                                        ; implicit-def: $vgpr75
                                        ; implicit-def: $vgpr76
                                        ; implicit-def: $vgpr77
                                        ; implicit-def: $vgpr78
                                        ; implicit-def: $vgpr79
.LBB30_9:
	s_andn2_b64 vcc, exec, s[4:5]
	v_mov_b32_e32 v58, s15
	v_mov_b32_e32 v80, s14
	v_mov_b32_e32 v62, s14
	v_mov_b32_e32 v63, s14
	s_cbranch_vccnz .LBB30_21
; %bb.10:
	s_sub_i32 s4, 0, s35
	s_mul_i32 s4, s4, s36
	s_mul_hi_u32 s4, s36, s4
	s_add_i32 s14, s36, s4
	s_load_dwordx2 s[4:5], s[0:1], 0x8c
	s_load_dwordx4 s[36:39], s[0:1], 0x98
	s_ashr_i32 s41, s34, 31
	s_abs_i32 s20, s25
	s_ashr_i32 s40, s25, 31
	s_waitcnt lgkmcnt(0)
	s_ashr_i32 s34, s4, 2
	s_ashr_i32 s31, s38, 2
	;; [unrolled: 1-line block ×4, first 2 shown]
	s_mul_i32 s37, s33, s37
	s_mul_hi_u32 s38, s33, s36
	s_add_i32 s37, s38, s37
	s_mul_i32 s38, s29, s36
	s_add_i32 s37, s37, s38
	s_mul_i32 s36, s33, s36
	s_mul_hi_u32 s28, s20, s14
	s_add_u32 s6, s6, s36
	s_addc_u32 s7, s7, s37
	s_mul_i32 s37, s28, s35
	s_sub_i32 s20, s20, s37
	s_xor_b32 s36, s40, s41
	s_add_i32 s37, s28, 1
	s_sub_i32 s38, s20, s35
	s_cmp_ge_u32 s20, s35
	s_cselect_b32 s28, s37, s28
	s_cselect_b32 s20, s38, s20
	s_add_i32 s37, s28, 1
	s_cmp_ge_u32 s20, s35
	s_load_dwordx2 s[14:15], s[0:1], 0xa8
	s_cselect_b32 s20, s37, s28
	s_xor_b32 s20, s20, s36
	s_sub_i32 s20, s20, s36
	s_mul_i32 s5, s20, s5
	s_ashr_i32 s28, s5, 31
	s_add_u32 s35, s6, s5
	s_waitcnt lgkmcnt(0)
	s_mul_i32 s5, s33, s15
	s_mul_hi_u32 s6, s33, s14
	s_addc_u32 s36, s7, s28
	s_add_i32 s5, s6, s5
	s_mul_i32 s29, s29, s14
	s_add_i32 s5, s5, s29
	s_mul_i32 s6, s33, s14
	s_add_u32 s6, s8, s6
	s_mul_i32 s20, s20, s39
	v_add_u32_e32 v2, v0, v2
	s_addc_u32 s5, s9, s5
	s_ashr_i32 s7, s20, 31
	v_lshlrev_b32_e32 v7, 2, v40
	v_lshrrev_b32_e32 v2, s21, v2
	s_add_u32 s37, s6, s20
	v_lshrrev_b32_e32 v5, 2, v40
	v_and_b32_e32 v6, 12, v7
	v_mul_lo_u32 v2, v2, s22
	s_addc_u32 s38, s5, s7
	v_lshl_add_u32 v4, v1, 5, v40
	v_lshl_add_u32 v5, v1, 3, v5
	v_lshlrev_b32_e32 v8, 2, v6
	s_movk_i32 s5, 0x60
	v_sub_u32_e32 v0, v0, v2
	v_mad_u32_u24 v59, v5, s5, v8
	v_mad_u32_u24 v66, v4, s5, 64
	v_mad_u64_u32 v[48:49], s[4:5], v0, s4, v[40:41]
	v_mov_b32_e32 v0, 0xf40
	v_lshl_add_u32 v67, v1, 6, v0
	v_lshrrev_b32_e32 v0, 1, v40
	v_lshl_add_u32 v0, v1, 4, v0
	v_lshrrev_b32_e32 v2, 3, v40
	v_mul_u32_u24_e32 v65, 0xa0, v1
	v_lshl_add_u32 v1, v1, 2, v2
	v_and_b32_e32 v52, 4, v7
	v_mul_u32_u24_e32 v2, 0xa0, v0
	v_cmp_gt_u32_e64 s[4:5], 16, v0
	v_lshl_or_b32 v2, v52, 2, v2
	v_mul_lo_u32 v54, s31, v0
	v_and_b32_e32 v0, 28, v7
	v_mov_b32_e32 v43, 0
	v_mul_lo_u32 v44, s34, v5
	s_movk_i32 s6, 0xa0
	v_mul_lo_u32 v46, s34, v4
	v_mul_lo_u32 v50, s31, v1
	v_add_u32_e32 v70, 0x80, v2
	v_lshlrev_b32_e32 v2, 2, v0
	s_add_u32 s14, s0, 0xd0
	v_cmp_gt_u32_e32 vcc, 32, v4
	v_ashrrev_i32_e32 v45, 31, v44
	v_mul_u32_u24_e32 v64, 0x60, v40
	v_ashrrev_i32_e32 v47, 31, v46
	v_lshl_add_u32 v68, v40, 1, v67
	v_ashrrev_i32_e32 v51, 31, v50
	v_lshlrev_b32_e32 v69, 3, v40
	v_ashrrev_i32_e32 v55, 31, v54
	v_mad_u32_u24 v71, v1, s6, v2
	s_addc_u32 s15, s1, 0
	v_mov_b32_e32 v4, 0xfeffffff
	v_lshlrev_b32_e32 v56, 2, v6
	v_mbcnt_hi_u32_b32 v49, -1, v3
	s_mov_b32 s39, 0x3fb8aa3b
	s_mov_b32 s40, 0xc2ce8ed0
	;; [unrolled: 1-line block ×3, first 2 shown]
	v_lshlrev_b32_e32 v42, 2, v0
	v_mov_b32_e32 v57, v43
	v_mov_b32_e32 v72, 0x7f800000
	v_mov_b32_e32 v63, v43
	v_mov_b32_e32 v62, v43
	v_mov_b32_e32 v73, v43
.LBB30_11:                              ; =>This Inner Loop Header: Depth=1
	s_mul_hi_i32 s7, s30, s34
	s_mul_i32 s6, s30, s34
	s_lshl_b64 s[6:7], s[6:7], 2
	s_add_u32 s6, s35, s6
	s_addc_u32 s7, s36, s7
	v_lshl_add_u64 v[0:1], v[46:47], 2, s[6:7]
	s_and_saveexec_b64 s[8:9], vcc
	s_cbranch_execz .LBB30_13
; %bb.12:                               ;   in Loop: Header=BB30_11 Depth=1
	global_load_dwordx4 v[6:9], v[0:1], off offset:64
	s_waitcnt vmcnt(0)
	ds_write_b128 v66, v[6:9]
.LBB30_13:                              ;   in Loop: Header=BB30_11 Depth=1
	s_or_b64 exec, exec, s[8:9]
	v_lshl_add_u64 v[2:3], v[44:45], 2, s[6:7]
	v_lshl_add_u64 v[2:3], v[2:3], 0, v[56:57]
	global_load_dwordx4 v[6:9], v[2:3], off
	v_mov_b32_e32 v5, v43
	s_waitcnt vmcnt(0)
	ds_write_b128 v59, v[6:9]
	s_waitcnt lgkmcnt(0)
	s_barrier
	ds_read_b128 v[6:9], v64
	ds_read_b128 v[10:13], v65 offset:3264
	s_waitcnt lgkmcnt(0)
	;;#ASMSTART
	v_dot2_f32_f16 v5, v6, v10, v5
	;;#ASMEND
	s_nop 0
	;;#ASMSTART
	v_dot2_f32_f16 v5, v7, v11, v5
	;;#ASMEND
	s_nop 0
	;;#ASMSTART
	v_dot2_f32_f16 v5, v8, v12, v5
	;;#ASMEND
	s_nop 0
	;;#ASMSTART
	v_dot2_f32_f16 v5, v9, v13, v5
	;;#ASMEND
	ds_read_b128 v[6:9], v64 offset:16
	ds_read_b128 v[10:13], v65 offset:3280
	s_waitcnt lgkmcnt(0)
	;;#ASMSTART
	v_dot2_f32_f16 v5, v6, v10, v5
	;;#ASMEND
	s_nop 0
	;;#ASMSTART
	v_dot2_f32_f16 v5, v7, v11, v5
	;;#ASMEND
	s_nop 0
	;;#ASMSTART
	v_dot2_f32_f16 v5, v8, v12, v5
	;;#ASMEND
	s_nop 0
	;;#ASMSTART
	v_dot2_f32_f16 v5, v9, v13, v5
	;;#ASMEND
	ds_read_b128 v[6:9], v64 offset:32
	;; [unrolled: 18-line block ×4, first 2 shown]
	ds_read_b128 v[10:13], v65 offset:3328
	s_waitcnt lgkmcnt(0)
	;;#ASMSTART
	v_dot2_f32_f16 v5, v6, v10, v5
	;;#ASMEND
	s_nop 0
	;;#ASMSTART
	v_dot2_f32_f16 v5, v7, v11, v5
	;;#ASMEND
	s_nop 0
	;; [unrolled: 4-line block ×3, first 2 shown]
	;;#ASMSTART
	v_dot2_f32_f16 v5, v9, v13, v5
	;;#ASMEND
	s_barrier
	s_and_saveexec_b64 s[6:7], vcc
	s_cbranch_execz .LBB30_15
; %bb.14:                               ;   in Loop: Header=BB30_11 Depth=1
	global_load_dwordx4 v[6:9], v[0:1], off offset:144
	s_waitcnt vmcnt(0)
	ds_write_b128 v66, v[6:9]
.LBB30_15:                              ;   in Loop: Header=BB30_11 Depth=1
	s_or_b64 exec, exec, s[6:7]
	global_load_dwordx4 v[0:3], v[2:3], off offset:80
	v_add_u32_e32 v10, s30, v48
	v_ashrrev_i32_e32 v11, 31, v10
	v_lshl_add_u64 v[10:11], v[10:11], 1, s[26:27]
	v_xor_b32_e32 v75, 16, v49
	v_xor_b32_e32 v76, 8, v49
	;; [unrolled: 1-line block ×5, first 2 shown]
	v_lshlrev_b32_e32 v60, 2, v52
	s_waitcnt vmcnt(0)
	ds_write_b128 v59, v[0:3]
	s_waitcnt lgkmcnt(0)
	s_barrier
	ds_read_b128 v[0:3], v64
	ds_read_b128 v[6:9], v65 offset:3344
	s_waitcnt lgkmcnt(0)
	;;#ASMSTART
	v_dot2_f32_f16 v5, v0, v6, v5
	;;#ASMEND
	s_nop 0
	;;#ASMSTART
	v_dot2_f32_f16 v5, v1, v7, v5
	;;#ASMEND
	s_nop 0
	;;#ASMSTART
	v_dot2_f32_f16 v5, v2, v8, v5
	;;#ASMEND
	s_nop 0
	;;#ASMSTART
	v_dot2_f32_f16 v5, v3, v9, v5
	;;#ASMEND
	ds_read_b128 v[0:3], v64 offset:16
	ds_read_b128 v[6:9], v65 offset:3360
	s_waitcnt lgkmcnt(0)
	;;#ASMSTART
	v_dot2_f32_f16 v5, v0, v6, v5
	;;#ASMEND
	s_nop 0
	;;#ASMSTART
	v_dot2_f32_f16 v5, v1, v7, v5
	;;#ASMEND
	s_nop 0
	;;#ASMSTART
	v_dot2_f32_f16 v5, v2, v8, v5
	;;#ASMEND
	s_nop 0
	;;#ASMSTART
	v_dot2_f32_f16 v5, v3, v9, v5
	;;#ASMEND
	ds_read_b128 v[0:3], v64 offset:32
	;; [unrolled: 18-line block ×4, first 2 shown]
	ds_read_b128 v[6:9], v65 offset:3408
	s_waitcnt lgkmcnt(0)
	;;#ASMSTART
	v_dot2_f32_f16 v5, v0, v6, v5
	;;#ASMEND
	s_nop 0
	;;#ASMSTART
	v_dot2_f32_f16 v5, v1, v7, v5
	;;#ASMEND
	v_max_f32_e32 v1, v4, v4
	;;#ASMSTART
	v_dot2_f32_f16 v5, v2, v8, v5
	;;#ASMEND
	v_and_b32_e32 v2, 0x60, v49
	;;#ASMSTART
	v_dot2_f32_f16 v5, v3, v9, v5
	;;#ASMEND
	flat_load_ushort v0, v[10:11]
	v_add_u32_e32 v74, 32, v2
	v_cmp_lt_i32_e64 s[6:7], v75, v74
	s_waitcnt lgkmcnt(0)
	s_barrier
	v_cndmask_b32_e64 v2, v49, v75, s[6:7]
	v_lshlrev_b32_e32 v2, 2, v2
	v_cmp_lt_i32_e64 s[6:7], v76, v74
	s_waitcnt vmcnt(0)
	v_cvt_f32_f16_e32 v0, v0
	v_add_f32_e32 v0, v5, v0
	v_add_f32_e32 v3, 0x40051340, v0
	v_max_f32_e32 v1, v1, v3
	ds_bpermute_b32 v2, v2, v1
	v_cndmask_b32_e64 v3, v49, v76, s[6:7]
	v_lshlrev_b32_e32 v3, 2, v3
	v_cmp_lt_i32_e64 s[6:7], v77, v74
	s_waitcnt lgkmcnt(0)
	v_max_f32_e32 v2, v2, v2
	v_max_f32_e32 v1, v1, v2
	ds_bpermute_b32 v2, v3, v1
	v_cndmask_b32_e64 v3, v49, v77, s[6:7]
	v_lshlrev_b32_e32 v3, 2, v3
	v_cmp_lt_i32_e64 s[6:7], v78, v74
	s_waitcnt lgkmcnt(0)
	v_max_f32_e32 v2, v2, v2
	;; [unrolled: 7-line block ×3, first 2 shown]
	v_max_f32_e32 v1, v1, v2
	ds_bpermute_b32 v2, v3, v1
	v_cndmask_b32_e64 v3, v49, v79, s[6:7]
	v_lshlrev_b32_e32 v3, 2, v3
	s_mul_hi_i32 s7, s30, s31
	s_mul_i32 s6, s30, s31
	s_waitcnt lgkmcnt(0)
	v_max_f32_e32 v2, v2, v2
	v_max_f32_e32 v1, v1, v2
	ds_bpermute_b32 v2, v3, v1
	s_lshl_b64 s[6:7], s[6:7], 2
	s_add_u32 s8, s37, s6
	s_addc_u32 s9, s38, s7
	s_waitcnt lgkmcnt(0)
	v_max_f32_e32 v2, v2, v2
	v_max_f32_e32 v58, v1, v2
	v_sub_f32_e32 v0, v0, v58
	v_mul_f32_e32 v1, 0x3fb8aa3b, v0
	v_fma_f32 v2, v0, s39, -v1
	v_rndne_f32_e32 v3, v1
	v_fmac_f32_e32 v2, 0x32a5705f, v0
	v_sub_f32_e32 v1, v1, v3
	v_add_f32_e32 v1, v1, v2
	v_cvt_i32_f32_e32 v3, v3
	v_exp_f32_e32 v1, v1
	v_cmp_ngt_f32_e64 s[6:7], s40, v0
	v_ldexp_f32 v1, v1, v3
	s_nop 0
	v_cndmask_b32_e64 v1, 0, v1, s[6:7]
	v_cmp_nlt_f32_e64 s[6:7], s41, v0
	s_nop 1
	v_cndmask_b32_e64 v80, v72, v1, s[6:7]
	v_cvt_f16_f32_e32 v0, v80
	ds_write_b16 v68, v0
	s_and_saveexec_b64 s[6:7], s[4:5]
	s_cbranch_execz .LBB30_17
; %bb.16:                               ;   in Loop: Header=BB30_11 Depth=1
	v_lshl_add_u64 v[0:1], v[54:55], 2, s[8:9]
	v_mov_b32_e32 v61, v43
	v_lshl_add_u64 v[0:1], v[0:1], 0, v[60:61]
	global_load_dwordx4 v[0:3], v[0:1], off offset:128
	s_waitcnt vmcnt(0)
	ds_write_b128 v70, v[0:3]
.LBB30_17:                              ;   in Loop: Header=BB30_11 Depth=1
	s_or_b64 exec, exec, s[6:7]
	v_lshl_add_u64 v[0:1], v[50:51], 2, s[8:9]
	v_lshl_add_u64 v[0:1], v[0:1], 0, v[42:43]
	global_load_dwordx4 v[0:3], v[0:1], off
	v_sub_f32_e32 v83, v4, v58
	v_add_u32_e32 v82, 0x400, v69
	v_add_u32_e32 v81, 0x800, v69
	s_or_b32 s20, s30, 16
	s_mul_hi_i32 s21, s20, s31
	s_mul_i32 s20, s20, s31
	s_lshl_b64 s[20:21], s[20:21], 2
	s_add_u32 s20, s37, s20
	v_cmp_ngt_f32_e64 s[6:7], s40, v83
	v_cmp_nlt_f32_e64 s[8:9], s41, v83
	s_addc_u32 s21, s38, s21
	s_waitcnt vmcnt(0)
	ds_write_b128 v71, v[0:3]
	s_waitcnt lgkmcnt(0)
	s_barrier
	ds_read2_b64 v[36:39], v69 offset1:20
	ds_read_b128 v[16:19], v67
	ds_read_b128 v[0:3], v67 offset:16
	ds_read2_b64 v[32:35], v69 offset0:40 offset1:60
	ds_read2_b64 v[28:31], v69 offset0:80 offset1:100
	;; [unrolled: 1-line block ×7, first 2 shown]
	s_waitcnt lgkmcnt(0)
	s_barrier
	s_and_saveexec_b64 s[28:29], s[4:5]
	s_cbranch_execz .LBB30_19
; %bb.18:                               ;   in Loop: Header=BB30_11 Depth=1
	v_lshl_add_u64 v[84:85], v[54:55], 2, s[20:21]
	v_mov_b32_e32 v61, v43
	v_lshl_add_u64 v[60:61], v[84:85], 0, v[60:61]
	global_load_dwordx4 v[84:87], v[60:61], off offset:128
	s_waitcnt vmcnt(0)
	ds_write_b128 v70, v[84:87]
.LBB30_19:                              ;   in Loop: Header=BB30_11 Depth=1
	s_or_b64 exec, exec, s[28:29]
	v_lshl_add_u64 v[60:61], v[50:51], 2, s[20:21]
	v_lshl_add_u64 v[60:61], v[60:61], 0, v[42:43]
	global_load_dwordx4 v[84:87], v[60:61], off
	v_mul_f32_e32 v60, 0x3fb8aa3b, v83
	v_fma_f32 v61, v83, s39, -v60
	v_rndne_f32_e32 v88, v60
	v_fmac_f32_e32 v61, 0x32a5705f, v83
	v_sub_f32_e32 v60, v60, v88
	v_add_f32_e32 v60, v60, v61
	v_cvt_i32_f32_e32 v83, v88
	v_exp_f32_e32 v60, v60
	v_pk_mul_f16 v36, v36, v16 op_sel_hi:[1,0]
	v_pk_mul_f16 v37, v37, v16 op_sel_hi:[1,0]
	v_ldexp_f32 v60, v60, v83
	v_cndmask_b32_e64 v60, 0, v60, s[6:7]
	v_cndmask_b32_e64 v60, v72, v60, s[8:9]
	v_cvt_f16_f32_e32 v61, v60
	v_fmac_f32_e32 v80, v73, v60
	v_pk_fma_f16 v36, v63, v61, v36 op_sel_hi:[1,0,1]
	v_pk_fma_f16 v37, v62, v61, v37 op_sel_hi:[1,0,1]
	v_pk_fma_f16 v36, v38, v16, v36 op_sel:[0,1,0]
	v_pk_fma_f16 v16, v39, v16, v37 op_sel:[0,1,0]
	v_pk_fma_f16 v32, v32, v17, v36 op_sel_hi:[1,0,1]
	v_pk_fma_f16 v16, v33, v17, v16 op_sel_hi:[1,0,1]
	v_pk_fma_f16 v32, v34, v17, v32 op_sel:[0,1,0]
	v_pk_fma_f16 v16, v35, v17, v16 op_sel:[0,1,0]
	;; [unrolled: 4-line block ×8, first 2 shown]
	s_waitcnt vmcnt(0)
	ds_write_b128 v71, v[84:87]
	s_waitcnt lgkmcnt(0)
	s_barrier
	ds_read2_b64 v[8:11], v69 offset1:20
	ds_read_b128 v[12:15], v67 offset:32
	ds_read_b128 v[16:19], v67 offset:48
	ds_read2_b64 v[20:23], v69 offset0:40 offset1:60
	ds_read2_b64 v[24:27], v69 offset0:80 offset1:100
	;; [unrolled: 1-line block ×7, first 2 shown]
	s_waitcnt lgkmcnt(8)
	v_pk_fma_f16 v1, v8, v12, v1 op_sel_hi:[1,0,1]
	v_pk_fma_f16 v0, v9, v12, v0 op_sel_hi:[1,0,1]
	v_pk_fma_f16 v1, v10, v12, v1 op_sel:[0,1,0]
	v_pk_fma_f16 v0, v11, v12, v0 op_sel:[0,1,0]
	s_waitcnt lgkmcnt(6)
	v_pk_fma_f16 v1, v20, v13, v1 op_sel_hi:[1,0,1]
	v_pk_fma_f16 v0, v21, v13, v0 op_sel_hi:[1,0,1]
	v_pk_fma_f16 v1, v22, v13, v1 op_sel:[0,1,0]
	v_pk_fma_f16 v0, v23, v13, v0 op_sel:[0,1,0]
	;; [unrolled: 5-line block ×4, first 2 shown]
	s_waitcnt lgkmcnt(0)
	s_barrier
	s_load_dword s6, s[14:15], 0x4
	v_pk_fma_f16 v1, v32, v16, v1 op_sel_hi:[1,0,1]
	v_pk_fma_f16 v0, v33, v16, v0 op_sel_hi:[1,0,1]
	v_pk_fma_f16 v1, v34, v16, v1 op_sel:[0,1,0]
	v_pk_fma_f16 v0, v35, v16, v0 op_sel:[0,1,0]
	v_pk_fma_f16 v1, v36, v17, v1 op_sel_hi:[1,0,1]
	v_pk_fma_f16 v0, v37, v17, v0 op_sel_hi:[1,0,1]
	v_pk_fma_f16 v1, v38, v17, v1 op_sel:[0,1,0]
	v_pk_fma_f16 v0, v39, v17, v0 op_sel:[0,1,0]
	v_pk_fma_f16 v1, v60, v18, v1 op_sel_hi:[1,0,1]
	v_pk_fma_f16 v0, v61, v18, v0 op_sel_hi:[1,0,1]
	s_waitcnt lgkmcnt(0)
	s_lshl_b32 s6, s6, 5
	v_pk_fma_f16 v1, v62, v18, v1 op_sel:[0,1,0]
	v_pk_fma_f16 v0, v63, v18, v0 op_sel:[0,1,0]
	s_add_i32 s30, s6, s30
	v_pk_fma_f16 v1, v82, v19, v1 op_sel_hi:[1,0,1]
	v_pk_fma_f16 v0, v83, v19, v0 op_sel_hi:[1,0,1]
	s_cmp_lt_i32 s30, s24
	v_pk_fma_f16 v63, v84, v19, v1 op_sel:[0,1,0]
	v_pk_fma_f16 v62, v85, v19, v0 op_sel:[0,1,0]
	s_cbranch_scc0 .LBB30_21
; %bb.20:                               ;   in Loop: Header=BB30_11 Depth=1
	v_mov_b32_e32 v4, v58
	v_mov_b32_e32 v73, v80
	s_branch .LBB30_11
.LBB30_21:
	v_cmp_lt_i32_e32 vcc, v75, v74
	s_cmp_eq_u64 s[12:13], 0
	s_cselect_b64 s[4:5], -1, 0
	v_cndmask_b32_e32 v0, v49, v75, vcc
	v_lshlrev_b32_e32 v0, 2, v0
	ds_bpermute_b32 v0, v0, v80
	v_cmp_lt_i32_e32 vcc, v76, v74
	s_cmp_lg_u32 s3, 0
	s_cselect_b64 s[6:7], -1, 0
	v_cndmask_b32_e32 v1, v49, v76, vcc
	v_lshlrev_b32_e32 v1, 2, v1
	s_waitcnt lgkmcnt(0)
	v_add_f32_e32 v0, v80, v0
	ds_bpermute_b32 v1, v1, v0
	v_cmp_lt_i32_e32 vcc, v77, v74
	s_or_b64 s[4:5], s[6:7], s[4:5]
	s_waitcnt lgkmcnt(0)
	v_add_f32_e32 v0, v0, v1
	v_cndmask_b32_e32 v2, v49, v77, vcc
	v_lshlrev_b32_e32 v2, 2, v2
	ds_bpermute_b32 v1, v2, v0
	v_cmp_lt_i32_e32 vcc, v78, v74
	s_waitcnt lgkmcnt(0)
	v_add_f32_e32 v1, v0, v1
	v_cndmask_b32_e32 v2, v49, v78, vcc
	v_lshlrev_b32_e32 v2, 2, v2
	ds_bpermute_b32 v2, v2, v1
	v_cmp_lt_i32_e32 vcc, v79, v74
	v_add_u32_e32 v0, s25, v53
	s_waitcnt lgkmcnt(0)
	v_add_f32_e32 v1, v1, v2
	v_cndmask_b32_e32 v3, v49, v79, vcc
	v_lshlrev_b32_e32 v3, 2, v3
	ds_bpermute_b32 v2, v3, v1
	s_and_b64 vcc, exec, s[4:5]
	s_waitcnt lgkmcnt(0)
	v_add_f32_e32 v59, v1, v2
	s_cbranch_vccnz .LBB30_23
; %bb.22:
	v_ashrrev_i32_e32 v1, 31, v0
	v_lshl_add_u64 v[2:3], v[0:1], 2, s[12:13]
	global_load_dword v1, v[2:3], off
	v_max_f32_e32 v2, v58, v58
	s_mov_b32 s4, 0x3fb8aa3b
	s_mov_b32 s5, 0xc2ce8ed0
	s_waitcnt vmcnt(0)
	v_max_f32_e32 v3, v1, v1
	v_max_f32_e32 v2, v2, v3
	v_sub_f32_e32 v3, v58, v2
	v_sub_f32_e32 v1, v1, v2
	v_mul_f32_e32 v4, 0x3fb8aa3b, v3
	v_mul_f32_e32 v5, 0x3fb8aa3b, v1
	v_fma_f32 v6, v3, s4, -v4
	v_rndne_f32_e32 v7, v4
	v_fma_f32 v8, v1, s4, -v5
	v_rndne_f32_e32 v9, v5
	v_fmac_f32_e32 v6, 0x32a5705f, v3
	v_sub_f32_e32 v4, v4, v7
	v_fmac_f32_e32 v8, 0x32a5705f, v1
	v_sub_f32_e32 v5, v5, v9
	v_add_f32_e32 v4, v4, v6
	v_cvt_i32_f32_e32 v7, v7
	v_add_f32_e32 v5, v5, v8
	v_exp_f32_e32 v4, v4
	v_cvt_i32_f32_e32 v9, v9
	v_exp_f32_e32 v5, v5
	v_cmp_ngt_f32_e32 vcc, s5, v3
	v_ldexp_f32 v4, v4, v7
	s_mov_b32 s4, 0x42b17218
	v_ldexp_f32 v5, v5, v9
	v_cndmask_b32_e32 v4, 0, v4, vcc
	v_cmp_ngt_f32_e32 vcc, s5, v1
	v_mov_b32_e32 v6, 0x7f800000
	s_nop 0
	v_cndmask_b32_e32 v5, 0, v5, vcc
	v_cmp_nlt_f32_e32 vcc, s4, v3
	s_nop 1
	v_cndmask_b32_e32 v4, v6, v4, vcc
	v_cvt_f16_f32_e32 v7, v4
	v_cmp_nlt_f32_e32 vcc, s4, v1
	v_pk_mul_f16 v63, v7, v63 op_sel_hi:[0,1]
	s_nop 0
	v_cndmask_b32_e32 v3, v6, v5, vcc
	v_fmac_f32_e32 v3, v59, v4
	v_pk_mul_f16 v62, v7, v62 op_sel_hi:[0,1]
	v_mov_b64_e32 v[58:59], v[2:3]
	s_branch .LBB30_24
.LBB30_23:
	v_mov_b32_e32 v3, v59
.LBB30_24:
	s_load_dword s6, s[0:1], 0xd4
	s_mul_i32 s4, s33, s22
	s_waitcnt lgkmcnt(0)
	s_cmp_lg_u32 s6, 1
	s_cselect_b64 s[0:1], -1, 0
	s_add_i32 s4, s4, s2
	v_add_u32_e32 v1, s4, v41
	v_mad_u64_u32 v[0:1], s[4:5], v1, s23, v[0:1]
	v_mul_lo_u32 v0, s6, v0
	v_add_u32_e32 v0, s3, v0
	s_and_saveexec_b64 s[2:3], s[10:11]
	s_cbranch_execz .LBB30_26
; %bb.25:
	v_div_scale_f32 v1, s[4:5], v3, v3, 1.0
	v_rcp_f32_e32 v2, v1
	v_cvt_f32_f16_sdwa v9, v63 dst_sel:DWORD dst_unused:UNUSED_PAD src0_sel:WORD_1
	v_cvt_f32_f16_sdwa v11, v62 dst_sel:DWORD dst_unused:UNUSED_PAD src0_sel:WORD_1
	v_cvt_f32_f16_e32 v10, v62
	v_fma_f32 v6, -v1, v2, 1.0
	v_fmac_f32_e32 v2, v6, v2
	v_div_scale_f32 v6, vcc, 1.0, v3, 1.0
	v_mul_f32_e32 v7, v6, v2
	v_fma_f32 v8, -v1, v7, v6
	v_fmac_f32_e32 v7, v8, v2
	v_fma_f32 v1, -v1, v7, v6
	v_div_fmas_f32 v1, v1, v2, v7
	v_cvt_f32_f16_e32 v8, v63
	v_div_fixup_f32 v1, v1, v3, 1.0
	s_movk_i32 s4, 0x50
	v_cndmask_b32_e64 v6, v1, 1.0, s[0:1]
	v_mul_lo_u32 v1, v0, s4
	v_mov_b32_e32 v4, s16
	v_mov_b32_e32 v5, s17
	v_lshl_add_u32 v2, v40, 2, v1
	v_mov_b32_e32 v3, 0
	v_lshl_add_u64 v[12:13], v[2:3], 2, v[4:5]
	v_pk_mul_f32 v[2:3], v[6:7], v[8:9] op_sel_hi:[0,1]
	v_pk_mul_f32 v[4:5], v[6:7], v[10:11] op_sel_hi:[0,1]
	global_store_dwordx4 v[12:13], v[2:5], off
.LBB30_26:
	s_or_b64 exec, exec, s[2:3]
	v_cmp_eq_u32_e32 vcc, 0, v40
	s_and_b64 s[0:1], vcc, s[0:1]
	s_and_saveexec_b64 s[2:3], s[0:1]
	s_cbranch_execz .LBB30_28
; %bb.27:
	v_mov_b32_e32 v2, s18
	v_mov_b32_e32 v3, s19
	v_ashrrev_i32_e32 v1, 31, v0
	v_lshl_add_u64 v[0:1], v[0:1], 3, v[2:3]
	global_store_dwordx2 v[0:1], v[58:59], off
.LBB30_28:
	s_endpgm
	.section	.rodata,"a",@progbits
	.p2align	6, 0x0
	.amdhsa_kernel _ZL15flash_attn_tileILi80ELi80ELi1ELi4ELb0EEvPKcS1_S1_S1_S1_PKiPfP15HIP_vector_typeIfLj2EEffffjfiS5_IjLj3EEiiiiiiiiiiiliiliiiiil
		.amdhsa_group_segment_fixed_size 4160
		.amdhsa_private_segment_fixed_size 0
		.amdhsa_kernarg_size 464
		.amdhsa_user_sgpr_count 2
		.amdhsa_user_sgpr_dispatch_ptr 0
		.amdhsa_user_sgpr_queue_ptr 0
		.amdhsa_user_sgpr_kernarg_segment_ptr 1
		.amdhsa_user_sgpr_dispatch_id 0
		.amdhsa_user_sgpr_kernarg_preload_length 0
		.amdhsa_user_sgpr_kernarg_preload_offset 0
		.amdhsa_user_sgpr_private_segment_size 0
		.amdhsa_uses_dynamic_stack 0
		.amdhsa_enable_private_segment 0
		.amdhsa_system_sgpr_workgroup_id_x 1
		.amdhsa_system_sgpr_workgroup_id_y 1
		.amdhsa_system_sgpr_workgroup_id_z 1
		.amdhsa_system_sgpr_workgroup_info 0
		.amdhsa_system_vgpr_workitem_id 1
		.amdhsa_next_free_vgpr 89
		.amdhsa_next_free_sgpr 44
		.amdhsa_accum_offset 92
		.amdhsa_reserve_vcc 1
		.amdhsa_float_round_mode_32 0
		.amdhsa_float_round_mode_16_64 0
		.amdhsa_float_denorm_mode_32 3
		.amdhsa_float_denorm_mode_16_64 3
		.amdhsa_dx10_clamp 1
		.amdhsa_ieee_mode 1
		.amdhsa_fp16_overflow 0
		.amdhsa_tg_split 0
		.amdhsa_exception_fp_ieee_invalid_op 0
		.amdhsa_exception_fp_denorm_src 0
		.amdhsa_exception_fp_ieee_div_zero 0
		.amdhsa_exception_fp_ieee_overflow 0
		.amdhsa_exception_fp_ieee_underflow 0
		.amdhsa_exception_fp_ieee_inexact 0
		.amdhsa_exception_int_div_zero 0
	.end_amdhsa_kernel
	.section	.text._ZL15flash_attn_tileILi80ELi80ELi1ELi4ELb0EEvPKcS1_S1_S1_S1_PKiPfP15HIP_vector_typeIfLj2EEffffjfiS5_IjLj3EEiiiiiiiiiiiliiliiiiil,"axG",@progbits,_ZL15flash_attn_tileILi80ELi80ELi1ELi4ELb0EEvPKcS1_S1_S1_S1_PKiPfP15HIP_vector_typeIfLj2EEffffjfiS5_IjLj3EEiiiiiiiiiiiliiliiiiil,comdat
.Lfunc_end30:
	.size	_ZL15flash_attn_tileILi80ELi80ELi1ELi4ELb0EEvPKcS1_S1_S1_S1_PKiPfP15HIP_vector_typeIfLj2EEffffjfiS5_IjLj3EEiiiiiiiiiiiliiliiiiil, .Lfunc_end30-_ZL15flash_attn_tileILi80ELi80ELi1ELi4ELb0EEvPKcS1_S1_S1_S1_PKiPfP15HIP_vector_typeIfLj2EEffffjfiS5_IjLj3EEiiiiiiiiiiiliiliiiiil
                                        ; -- End function
	.section	.AMDGPU.csdata,"",@progbits
; Kernel info:
; codeLenInByte = 4568
; NumSgprs: 50
; NumVgprs: 89
; NumAgprs: 0
; TotalNumVgprs: 89
; ScratchSize: 0
; MemoryBound: 0
; FloatMode: 240
; IeeeMode: 1
; LDSByteSize: 4160 bytes/workgroup (compile time only)
; SGPRBlocks: 6
; VGPRBlocks: 11
; NumSGPRsForWavesPerEU: 50
; NumVGPRsForWavesPerEU: 89
; AccumOffset: 92
; Occupancy: 5
; WaveLimiterHint : 1
; COMPUTE_PGM_RSRC2:SCRATCH_EN: 0
; COMPUTE_PGM_RSRC2:USER_SGPR: 2
; COMPUTE_PGM_RSRC2:TRAP_HANDLER: 0
; COMPUTE_PGM_RSRC2:TGID_X_EN: 1
; COMPUTE_PGM_RSRC2:TGID_Y_EN: 1
; COMPUTE_PGM_RSRC2:TGID_Z_EN: 1
; COMPUTE_PGM_RSRC2:TIDIG_COMP_CNT: 1
; COMPUTE_PGM_RSRC3_GFX90A:ACCUM_OFFSET: 22
; COMPUTE_PGM_RSRC3_GFX90A:TG_SPLIT: 0
	.section	.text._ZL33flash_attn_stream_k_fixup_uniformILi80ELi1ELi4EEvPfPK15HIP_vector_typeIfLj2EEiiiiiiS1_IjLj3EES5_S5_,"axG",@progbits,_ZL33flash_attn_stream_k_fixup_uniformILi80ELi1ELi4EEvPfPK15HIP_vector_typeIfLj2EEiiiiiiS1_IjLj3EES5_S5_,comdat
	.globl	_ZL33flash_attn_stream_k_fixup_uniformILi80ELi1ELi4EEvPfPK15HIP_vector_typeIfLj2EEiiiiiiS1_IjLj3EES5_S5_ ; -- Begin function _ZL33flash_attn_stream_k_fixup_uniformILi80ELi1ELi4EEvPfPK15HIP_vector_typeIfLj2EEiiiiiiS1_IjLj3EES5_S5_
	.p2align	8
	.type	_ZL33flash_attn_stream_k_fixup_uniformILi80ELi1ELi4EEvPfPK15HIP_vector_typeIfLj2EEiiiiiiS1_IjLj3EES5_S5_,@function
_ZL33flash_attn_stream_k_fixup_uniformILi80ELi1ELi4EEvPfPK15HIP_vector_typeIfLj2EEiiiiiiS1_IjLj3EES5_S5_: ; @_ZL33flash_attn_stream_k_fixup_uniformILi80ELi1ELi4EEvPfPK15HIP_vector_typeIfLj2EEiiiiiiS1_IjLj3EES5_S5_
; %bb.0:
	s_load_dwordx8 s[8:15], s[0:1], 0x1c
	s_load_dwordx2 s[6:7], s[0:1], 0x10
	s_load_dwordx4 s[16:19], s[0:1], 0x3c
	s_waitcnt lgkmcnt(0)
	s_mul_hi_u32 s5, s11, s2
	s_add_i32 s5, s2, s5
	s_lshr_b32 s5, s5, s12
	s_mul_i32 s11, s5, s13
	s_sub_i32 s12, s2, s11
	s_mul_hi_u32 s11, s12, s14
	s_add_i32 s11, s12, s11
	s_lshr_b32 s11, s11, s15
	s_mul_i32 s13, s11, s16
	s_sub_i32 s12, s12, s13
	;; [unrolled: 5-line block ×3, first 2 shown]
	s_lshl_b32 s16, s13, 2
	s_add_i32 s17, s17, s3
	s_cmp_lt_i32 s17, s6
	s_cselect_b64 s[12:13], -1, 0
	s_add_i32 s16, s16, s4
	s_cmp_lt_i32 s16, s9
	s_cselect_b64 s[14:15], -1, 0
	s_and_b64 s[12:13], s[12:13], s[14:15]
	s_andn2_b64 vcc, exec, s[12:13]
	s_cbranch_vccnz .LBB31_6
; %bb.1:
	s_mul_i32 s5, s5, s6
	s_load_dwordx4 s[12:15], s[0:1], 0x0
	s_mul_i32 s11, s11, s9
	s_add_i32 s0, s17, s5
	s_mul_i32 s0, s0, s7
	s_add_i32 s1, s16, s11
	s_add_i32 s0, s1, s0
	s_mulk_i32 s0, 0x50
	v_add_u32_e32 v4, s0, v0
	s_waitcnt lgkmcnt(0)
	v_mov_b32_e32 v2, s12
	v_mov_b32_e32 v3, s13
	v_ashrrev_i32_e32 v5, 31, v4
	v_lshl_add_u64 v[2:3], v[4:5], 2, v[2:3]
	global_load_dword v7, v[2:3], off
	s_mul_i32 s5, s2, s10
	s_add_i32 s11, s5, s10
	s_add_i32 s0, s3, s11
	s_lshl_b32 s0, s0, 2
	s_add_i32 s0, s0, s4
	s_add_i32 s0, s0, -4
	s_ashr_i32 s1, s0, 31
	s_lshl_b64 s[0:1], s[0:1], 3
	s_add_u32 s0, s14, s0
	s_addc_u32 s1, s15, s1
	s_load_dword s12, s[0:1], 0x4
	s_add_i32 s6, s11, -2
	s_cmp_lt_i32 s6, s5
	s_cbranch_scc1 .LBB31_4
; %bb.2:
	s_lshl_b32 s6, s8, 4
	s_ashr_i32 s7, s6, 31
	s_lshl_b64 s[6:7], s[6:7], 2
	s_add_u32 s6, s14, s6
	s_addc_u32 s7, s15, s7
	s_add_i32 s2, s2, 1
	s_load_dword s0, s[0:1], 0x0
	s_mul_i32 s1, s10, s2
	s_mul_i32 s2, s3, 0x140
	;; [unrolled: 1-line block ×3, first 2 shown]
	s_mulk_i32 s1, 0x140
	s_add_i32 s2, s10, s2
	s_add_i32 s2, s2, s1
	;; [unrolled: 1-line block ×4, first 2 shown]
	s_lshl_b32 s1, s1, 2
	v_add_u32_e32 v0, s2, v0
	s_add_i32 s1, s4, s1
	s_add_i32 s9, s11, -1
	v_add_u32_e32 v0, 0xfffffd80, v0
	s_add_i32 s2, s1, -8
	s_waitcnt lgkmcnt(0)
	v_mov_b32_e32 v6, s12
	v_mov_b32_e32 v5, s0
	s_mov_b32 s4, 0x3fb8aa3b
	s_mov_b32 s8, 0xc2ce8ed0
	;; [unrolled: 1-line block ×3, first 2 shown]
	v_mov_b32_e32 v4, 0x7f800000
	s_mov_b32 s11, 0xc1a00000
.LBB31_3:                               ; =>This Inner Loop Header: Depth=1
	v_ashrrev_i32_e32 v1, 31, v0
	v_lshl_add_u64 v[8:9], v[0:1], 2, s[6:7]
	global_load_dword v1, v[8:9], off
	s_ashr_i32 s3, s2, 31
	s_lshl_b64 s[0:1], s[2:3], 3
	s_add_u32 s0, s14, s0
	s_addc_u32 s1, s15, s1
	s_load_dwordx2 s[12:13], s[0:1], 0x0
	s_waitcnt vmcnt(1)
	v_mov_b32_e32 v8, v7
	v_max_f32_e32 v7, v5, v5
	v_mov_b32_e32 v9, v6
	s_add_i32 s9, s9, -1
	s_waitcnt lgkmcnt(0)
	v_max_f32_e64 v6, s12, s12
	v_max_f32_e32 v6, v7, v6
	v_sub_f32_e32 v10, s12, v6
	v_sub_f32_e32 v7, v5, v6
	v_mul_f32_e32 v11, 0x3fb8aa3b, v10
	v_mov_b32_e32 v5, v6
	v_mul_f32_e32 v6, 0x3fb8aa3b, v7
	v_fma_f32 v14, v10, s4, -v11
	v_rndne_f32_e32 v15, v11
	v_fma_f32 v12, v7, s4, -v6
	v_rndne_f32_e32 v13, v6
	v_fmac_f32_e32 v14, 0x32a5705f, v10
	v_sub_f32_e32 v11, v11, v15
	v_fmac_f32_e32 v12, 0x32a5705f, v7
	v_sub_f32_e32 v6, v6, v13
	v_add_f32_e32 v11, v11, v14
	v_cvt_i32_f32_e32 v15, v15
	v_add_f32_e32 v6, v6, v12
	v_exp_f32_e32 v11, v11
	v_cvt_i32_f32_e32 v13, v13
	v_exp_f32_e32 v6, v6
	v_cmp_ngt_f32_e32 vcc, s8, v10
	v_ldexp_f32 v11, v11, v15
	v_cmp_ngt_f32_e64 s[0:1], s8, v7
	v_ldexp_f32 v6, v6, v13
	v_cndmask_b32_e32 v11, 0, v11, vcc
	v_cmp_nlt_f32_e32 vcc, s10, v10
	v_cndmask_b32_e64 v6, 0, v6, s[0:1]
	v_cmp_nlt_f32_e64 s[0:1], s10, v7
	v_cndmask_b32_e32 v11, v4, v11, vcc
	v_cmp_le_f32_e32 vcc, s11, v10
	v_cndmask_b32_e64 v6, v4, v6, s[0:1]
	v_cmp_le_f32_e64 s[0:1], s11, v7
	v_cndmask_b32_e32 v7, 0, v11, vcc
	s_add_i32 s2, s2, -4
	v_cndmask_b32_e64 v10, 0, v6, s[0:1]
	v_mul_f32_e32 v6, s13, v7
	v_add_u32_e32 v0, 0xfffffec0, v0
	s_cmp_le_i32 s9, s5
	v_fmac_f32_e32 v6, v9, v10
	s_waitcnt vmcnt(0)
	v_mul_f32_e32 v7, v1, v7
	v_fmac_f32_e32 v7, v8, v10
	s_cbranch_scc0 .LBB31_3
	s_branch .LBB31_5
.LBB31_4:
	s_waitcnt lgkmcnt(0)
	v_mov_b32_e32 v6, s12
.LBB31_5:
	s_waitcnt vmcnt(0)
	v_div_scale_f32 v0, s[0:1], v6, v6, v7
	v_rcp_f32_e32 v1, v0
	v_div_scale_f32 v4, vcc, v7, v6, v7
	v_fma_f32 v5, -v0, v1, 1.0
	v_fmac_f32_e32 v1, v5, v1
	v_mul_f32_e32 v5, v4, v1
	v_fma_f32 v8, -v0, v5, v4
	v_fmac_f32_e32 v5, v8, v1
	v_fma_f32 v0, -v0, v5, v4
	v_div_fmas_f32 v0, v0, v1, v5
	v_div_fixup_f32 v0, v0, v6, v7
	global_store_dword v[2:3], v0, off
.LBB31_6:
	s_endpgm
	.section	.rodata,"a",@progbits
	.p2align	6, 0x0
	.amdhsa_kernel _ZL33flash_attn_stream_k_fixup_uniformILi80ELi1ELi4EEvPfPK15HIP_vector_typeIfLj2EEiiiiiiS1_IjLj3EES5_S5_
		.amdhsa_group_segment_fixed_size 0
		.amdhsa_private_segment_fixed_size 0
		.amdhsa_kernarg_size 76
		.amdhsa_user_sgpr_count 2
		.amdhsa_user_sgpr_dispatch_ptr 0
		.amdhsa_user_sgpr_queue_ptr 0
		.amdhsa_user_sgpr_kernarg_segment_ptr 1
		.amdhsa_user_sgpr_dispatch_id 0
		.amdhsa_user_sgpr_kernarg_preload_length 0
		.amdhsa_user_sgpr_kernarg_preload_offset 0
		.amdhsa_user_sgpr_private_segment_size 0
		.amdhsa_uses_dynamic_stack 0
		.amdhsa_enable_private_segment 0
		.amdhsa_system_sgpr_workgroup_id_x 1
		.amdhsa_system_sgpr_workgroup_id_y 1
		.amdhsa_system_sgpr_workgroup_id_z 1
		.amdhsa_system_sgpr_workgroup_info 0
		.amdhsa_system_vgpr_workitem_id 0
		.amdhsa_next_free_vgpr 16
		.amdhsa_next_free_sgpr 20
		.amdhsa_accum_offset 16
		.amdhsa_reserve_vcc 1
		.amdhsa_float_round_mode_32 0
		.amdhsa_float_round_mode_16_64 0
		.amdhsa_float_denorm_mode_32 3
		.amdhsa_float_denorm_mode_16_64 3
		.amdhsa_dx10_clamp 1
		.amdhsa_ieee_mode 1
		.amdhsa_fp16_overflow 0
		.amdhsa_tg_split 0
		.amdhsa_exception_fp_ieee_invalid_op 0
		.amdhsa_exception_fp_denorm_src 0
		.amdhsa_exception_fp_ieee_div_zero 0
		.amdhsa_exception_fp_ieee_overflow 0
		.amdhsa_exception_fp_ieee_underflow 0
		.amdhsa_exception_fp_ieee_inexact 0
		.amdhsa_exception_int_div_zero 0
	.end_amdhsa_kernel
	.section	.text._ZL33flash_attn_stream_k_fixup_uniformILi80ELi1ELi4EEvPfPK15HIP_vector_typeIfLj2EEiiiiiiS1_IjLj3EES5_S5_,"axG",@progbits,_ZL33flash_attn_stream_k_fixup_uniformILi80ELi1ELi4EEvPfPK15HIP_vector_typeIfLj2EEiiiiiiS1_IjLj3EES5_S5_,comdat
.Lfunc_end31:
	.size	_ZL33flash_attn_stream_k_fixup_uniformILi80ELi1ELi4EEvPfPK15HIP_vector_typeIfLj2EEiiiiiiS1_IjLj3EES5_S5_, .Lfunc_end31-_ZL33flash_attn_stream_k_fixup_uniformILi80ELi1ELi4EEvPfPK15HIP_vector_typeIfLj2EEiiiiiiS1_IjLj3EES5_S5_
                                        ; -- End function
	.section	.AMDGPU.csdata,"",@progbits
; Kernel info:
; codeLenInByte = 820
; NumSgprs: 26
; NumVgprs: 16
; NumAgprs: 0
; TotalNumVgprs: 16
; ScratchSize: 0
; MemoryBound: 0
; FloatMode: 240
; IeeeMode: 1
; LDSByteSize: 0 bytes/workgroup (compile time only)
; SGPRBlocks: 3
; VGPRBlocks: 1
; NumSGPRsForWavesPerEU: 26
; NumVGPRsForWavesPerEU: 16
; AccumOffset: 16
; Occupancy: 8
; WaveLimiterHint : 0
; COMPUTE_PGM_RSRC2:SCRATCH_EN: 0
; COMPUTE_PGM_RSRC2:USER_SGPR: 2
; COMPUTE_PGM_RSRC2:TRAP_HANDLER: 0
; COMPUTE_PGM_RSRC2:TGID_X_EN: 1
; COMPUTE_PGM_RSRC2:TGID_Y_EN: 1
; COMPUTE_PGM_RSRC2:TGID_Z_EN: 1
; COMPUTE_PGM_RSRC2:TIDIG_COMP_CNT: 0
; COMPUTE_PGM_RSRC3_GFX90A:ACCUM_OFFSET: 3
; COMPUTE_PGM_RSRC3_GFX90A:TG_SPLIT: 0
	.section	.text._ZL33flash_attn_stream_k_fixup_generalILi80ELi1ELi4EEvPfPK15HIP_vector_typeIfLj2EEiiiiS1_IjLj3EES5_S5_S5_,"axG",@progbits,_ZL33flash_attn_stream_k_fixup_generalILi80ELi1ELi4EEvPfPK15HIP_vector_typeIfLj2EEiiiiS1_IjLj3EES5_S5_S5_,comdat
	.globl	_ZL33flash_attn_stream_k_fixup_generalILi80ELi1ELi4EEvPfPK15HIP_vector_typeIfLj2EEiiiiS1_IjLj3EES5_S5_S5_ ; -- Begin function _ZL33flash_attn_stream_k_fixup_generalILi80ELi1ELi4EEvPfPK15HIP_vector_typeIfLj2EEiiiiS1_IjLj3EES5_S5_S5_
	.p2align	8
	.type	_ZL33flash_attn_stream_k_fixup_generalILi80ELi1ELi4EEvPfPK15HIP_vector_typeIfLj2EEiiiiS1_IjLj3EES5_S5_S5_,@function
_ZL33flash_attn_stream_k_fixup_generalILi80ELi1ELi4EEvPfPK15HIP_vector_typeIfLj2EEiiiiS1_IjLj3EES5_S5_S5_: ; @_ZL33flash_attn_stream_k_fixup_generalILi80ELi1ELi4EEvPfPK15HIP_vector_typeIfLj2EEiiiiS1_IjLj3EES5_S5_S5_
; %bb.0:
	s_load_dwordx4 s[12:15], s[0:1], 0x10
	s_load_dword s5, s[0:1], 0x50
	s_mov_b32 s8, 0
	s_waitcnt lgkmcnt(0)
	s_mul_hi_i32 s9, s15, s2
	s_cmp_lg_u64 s[8:9], 0
	s_mul_i32 s8, s15, s2
	s_cbranch_scc0 .LBB32_21
; %bb.1:
	v_cvt_f32_u32_e32 v1, s5
	v_cvt_f32_ubyte0_e32 v2, 0
	s_sub_u32 s10, 0, s5
	s_subb_u32 s11, 0, 0
	v_fmamk_f32 v1, v2, 0x4f800000, v1
	v_rcp_f32_e32 v1, v1
	s_nop 0
	v_mul_f32_e32 v1, 0x5f7ffffc, v1
	v_mul_f32_e32 v2, 0x2f800000, v1
	v_trunc_f32_e32 v2, v2
	v_fmamk_f32 v1, v2, 0xcf800000, v1
	v_cvt_u32_f32_e32 v2, v2
	v_cvt_u32_f32_e32 v1, v1
	v_readfirstlane_b32 s16, v2
	v_readfirstlane_b32 s17, v1
	s_mul_i32 s18, s10, s16
	s_mul_hi_u32 s20, s10, s17
	s_mul_i32 s19, s11, s17
	s_add_i32 s18, s20, s18
	s_add_i32 s18, s18, s19
	s_mul_i32 s21, s10, s17
	s_mul_hi_u32 s19, s17, s18
	s_mul_i32 s20, s17, s18
	s_mul_hi_u32 s17, s17, s21
	s_add_u32 s17, s17, s20
	s_addc_u32 s19, 0, s19
	s_mul_hi_u32 s22, s16, s21
	s_mul_i32 s21, s16, s21
	s_add_u32 s17, s17, s21
	s_mul_hi_u32 s20, s16, s18
	s_addc_u32 s17, s19, s22
	s_addc_u32 s19, s20, 0
	s_mul_i32 s18, s16, s18
	s_add_u32 s17, s17, s18
	s_addc_u32 s18, 0, s19
	v_add_co_u32_e32 v1, vcc, s17, v1
	s_cmp_lg_u64 vcc, 0
	s_addc_u32 s16, s16, s18
	v_readfirstlane_b32 s18, v1
	s_mul_i32 s17, s10, s16
	s_mul_hi_u32 s19, s10, s18
	s_add_i32 s17, s19, s17
	s_mul_i32 s11, s11, s18
	s_add_i32 s17, s17, s11
	s_mul_i32 s10, s10, s18
	s_mul_hi_u32 s19, s16, s10
	s_mul_i32 s20, s16, s10
	s_mul_i32 s22, s18, s17
	s_mul_hi_u32 s10, s18, s10
	s_mul_hi_u32 s21, s18, s17
	s_add_u32 s10, s10, s22
	s_addc_u32 s18, 0, s21
	s_add_u32 s10, s10, s20
	s_mul_hi_u32 s11, s16, s17
	s_addc_u32 s10, s18, s19
	s_addc_u32 s11, s11, 0
	s_mul_i32 s17, s16, s17
	s_add_u32 s10, s10, s17
	s_addc_u32 s11, 0, s11
	v_add_co_u32_e32 v1, vcc, s10, v1
	s_cmp_lg_u64 vcc, 0
	s_addc_u32 s18, s16, s11
	s_ashr_i32 s10, s9, 31
	s_add_u32 s16, s8, s10
	s_mov_b32 s11, s10
	s_addc_u32 s17, s9, s10
	s_xor_b64 s[16:17], s[16:17], s[10:11]
	v_readfirstlane_b32 s20, v1
	s_mul_i32 s19, s16, s18
	s_mul_hi_u32 s21, s16, s20
	s_mul_hi_u32 s9, s16, s18
	s_add_u32 s19, s21, s19
	s_addc_u32 s9, 0, s9
	s_mul_hi_u32 s22, s17, s20
	s_mul_i32 s20, s17, s20
	s_add_u32 s19, s19, s20
	s_mul_hi_u32 s21, s17, s18
	s_addc_u32 s9, s9, s22
	s_addc_u32 s19, s21, 0
	s_mul_i32 s18, s17, s18
	s_add_u32 s9, s9, s18
	s_addc_u32 s18, 0, s19
	s_add_u32 s19, s9, 1
	s_addc_u32 s20, s18, 0
	s_add_u32 s21, s9, 2
	s_mul_i32 s23, s5, s18
	s_mul_hi_u32 s24, s5, s9
	s_addc_u32 s22, s18, 0
	s_add_i32 s24, s24, s23
	s_mul_i32 s23, s5, s9
	v_mov_b32_e32 v1, s23
	v_sub_co_u32_e32 v1, vcc, s16, v1
	s_cmp_lg_u64 vcc, 0
	s_subb_u32 s16, s17, s24
	v_subrev_co_u32_e32 v2, vcc, s5, v1
	s_cmp_lg_u64 vcc, 0
	s_subb_u32 s17, s16, 0
	v_readfirstlane_b32 s23, v2
	s_cmp_ge_u32 s23, s5
	s_cselect_b32 s23, -1, 0
	s_cmp_eq_u32 s17, 0
	s_cselect_b32 s17, s23, -1
	s_cmp_lg_u32 s17, 0
	s_cselect_b32 s17, s22, s20
	v_readfirstlane_b32 s20, v1
	s_cselect_b32 s19, s21, s19
	s_cmp_ge_u32 s20, s5
	s_cselect_b32 s20, -1, 0
	s_cmp_eq_u32 s16, 0
	s_cselect_b32 s16, s20, -1
	s_cmp_lg_u32 s16, 0
	s_cselect_b32 s17, s17, s18
	s_cselect_b32 s16, s19, s9
	s_xor_b64 s[16:17], s[16:17], s[10:11]
	s_sub_u32 s20, s16, s10
	s_load_dwordx4 s[16:19], s[0:1], 0x44
	s_cbranch_execnz .LBB32_3
.LBB32_2:
	v_cvt_f32_u32_e32 v1, s5
	s_sub_i32 s6, 0, s5
	v_rcp_iflag_f32_e32 v1, v1
	s_nop 0
	v_mul_f32_e32 v1, 0x4f7ffffe, v1
	v_cvt_u32_f32_e32 v1, v1
	s_nop 0
	v_readfirstlane_b32 s7, v1
	s_mul_i32 s6, s6, s7
	s_mul_hi_u32 s6, s7, s6
	s_add_i32 s7, s7, s6
	s_mul_hi_u32 s6, s8, s7
	s_mul_i32 s9, s6, s5
	s_sub_i32 s8, s8, s9
	s_add_i32 s7, s6, 1
	s_sub_i32 s9, s8, s5
	s_cmp_ge_u32 s8, s5
	s_cselect_b32 s6, s7, s6
	s_cselect_b32 s8, s9, s8
	s_add_i32 s7, s6, 1
	s_cmp_ge_u32 s8, s5
	s_cselect_b32 s20, s7, s6
.LBB32_3:
	s_add_i32 s6, s2, 1
	s_mul_hi_i32 s9, s15, s6
	s_mov_b32 s8, 0
	s_cmp_lg_u64 s[8:9], 0
	s_mul_i32 s8, s15, s6
	s_cbranch_scc0 .LBB32_22
; %bb.4:
	v_cvt_f32_u32_e32 v1, s5
	v_cvt_f32_ubyte0_e32 v2, 0
	s_sub_u32 s10, 0, s5
	s_subb_u32 s11, 0, 0
	v_fmamk_f32 v1, v2, 0x4f800000, v1
	v_rcp_f32_e32 v1, v1
	s_nop 0
	v_mul_f32_e32 v1, 0x5f7ffffc, v1
	v_mul_f32_e32 v2, 0x2f800000, v1
	v_trunc_f32_e32 v2, v2
	v_fmamk_f32 v1, v2, 0xcf800000, v1
	v_cvt_u32_f32_e32 v2, v2
	v_cvt_u32_f32_e32 v1, v1
	s_waitcnt lgkmcnt(0)
	v_readfirstlane_b32 s19, v2
	v_readfirstlane_b32 s21, v1
	s_mul_i32 s22, s10, s19
	s_mul_hi_u32 s24, s10, s21
	s_mul_i32 s23, s11, s21
	s_add_i32 s22, s24, s22
	s_add_i32 s22, s22, s23
	s_mul_i32 s25, s10, s21
	s_mul_hi_u32 s23, s21, s22
	s_mul_i32 s24, s21, s22
	s_mul_hi_u32 s21, s21, s25
	s_add_u32 s21, s21, s24
	s_addc_u32 s23, 0, s23
	s_mul_hi_u32 s26, s19, s25
	s_mul_i32 s25, s19, s25
	s_add_u32 s21, s21, s25
	s_mul_hi_u32 s24, s19, s22
	s_addc_u32 s21, s23, s26
	s_addc_u32 s23, s24, 0
	s_mul_i32 s22, s19, s22
	s_add_u32 s21, s21, s22
	s_addc_u32 s22, 0, s23
	v_add_co_u32_e32 v1, vcc, s21, v1
	s_cmp_lg_u64 vcc, 0
	s_addc_u32 s19, s19, s22
	v_readfirstlane_b32 s22, v1
	s_mul_i32 s21, s10, s19
	s_mul_hi_u32 s23, s10, s22
	s_add_i32 s21, s23, s21
	s_mul_i32 s11, s11, s22
	s_add_i32 s21, s21, s11
	s_mul_i32 s10, s10, s22
	s_mul_hi_u32 s23, s19, s10
	s_mul_i32 s24, s19, s10
	s_mul_i32 s26, s22, s21
	s_mul_hi_u32 s10, s22, s10
	s_mul_hi_u32 s25, s22, s21
	s_add_u32 s10, s10, s26
	s_addc_u32 s22, 0, s25
	s_add_u32 s10, s10, s24
	s_mul_hi_u32 s11, s19, s21
	s_addc_u32 s10, s22, s23
	s_addc_u32 s11, s11, 0
	s_mul_i32 s21, s19, s21
	s_add_u32 s10, s10, s21
	s_addc_u32 s11, 0, s11
	v_add_co_u32_e32 v1, vcc, s10, v1
	s_cmp_lg_u64 vcc, 0
	s_addc_u32 s19, s19, s11
	s_ashr_i32 s10, s9, 31
	s_add_u32 s22, s8, s10
	s_mov_b32 s11, s10
	s_addc_u32 s23, s9, s10
	s_xor_b64 s[22:23], s[22:23], s[10:11]
	v_readfirstlane_b32 s21, v1
	s_mul_i32 s11, s22, s19
	s_mul_hi_u32 s24, s22, s21
	s_mul_hi_u32 s9, s22, s19
	s_add_u32 s11, s24, s11
	s_addc_u32 s9, 0, s9
	s_mul_hi_u32 s25, s23, s21
	s_mul_i32 s21, s23, s21
	s_add_u32 s11, s11, s21
	s_mul_hi_u32 s24, s23, s19
	s_addc_u32 s9, s9, s25
	s_addc_u32 s11, s24, 0
	s_mul_i32 s19, s23, s19
	s_add_u32 s9, s9, s19
	s_addc_u32 s11, 0, s11
	s_mul_i32 s11, s5, s11
	s_mul_hi_u32 s24, s5, s9
	s_add_i32 s24, s24, s11
	s_mul_i32 s11, s5, s9
	v_mov_b32_e32 v1, s11
	s_add_u32 s19, s9, 1
	s_add_u32 s21, s9, 2
	v_sub_co_u32_e32 v1, vcc, s22, v1
	s_cmp_lg_u64 vcc, 0
	s_subb_u32 s11, s23, s24
	v_subrev_co_u32_e32 v2, vcc, s5, v1
	s_cmp_lg_u64 vcc, 0
	s_subb_u32 s22, s11, 0
	v_cmp_le_u32_e32 vcc, s5, v2
	s_cmp_eq_u32 s22, 0
	v_mov_b32_e32 v3, s19
	v_cndmask_b32_e64 v2, 0, -1, vcc
	s_cselect_b64 vcc, -1, 0
	v_cndmask_b32_e32 v2, -1, v2, vcc
	v_mov_b32_e32 v4, s21
	v_cmp_ne_u32_e32 vcc, 0, v2
	s_cmp_eq_u32 s11, 0
	s_nop 0
	v_cndmask_b32_e32 v2, v3, v4, vcc
	v_cmp_le_u32_e32 vcc, s5, v1
	v_mov_b32_e32 v3, s9
	s_nop 0
	v_cndmask_b32_e64 v1, 0, -1, vcc
	s_cselect_b64 vcc, -1, 0
	v_cndmask_b32_e32 v1, -1, v1, vcc
	v_cmp_ne_u32_e32 vcc, 0, v1
	s_nop 1
	v_cndmask_b32_e32 v1, v3, v2, vcc
	v_xor_b32_e32 v1, s10, v1
	v_subrev_co_u32_e32 v2, vcc, s10, v1
	s_cbranch_execnz .LBB32_6
.LBB32_5:
	v_cvt_f32_u32_e32 v1, s5
	s_sub_i32 s6, 0, s5
	s_mov_b32 s7, 0
	v_rcp_iflag_f32_e32 v1, v1
	s_nop 0
	v_mul_f32_e32 v1, 0x4f7ffffe, v1
	v_cvt_u32_f32_e32 v1, v1
	s_nop 0
	v_readfirstlane_b32 s9, v1
	s_mul_i32 s6, s6, s9
	s_mul_hi_u32 s6, s9, s6
	s_add_i32 s9, s9, s6
	s_mul_hi_u32 s6, s8, s9
	s_mul_i32 s10, s6, s5
	s_sub_i32 s8, s8, s10
	s_add_i32 s9, s6, 1
	s_sub_i32 s10, s8, s5
	s_cmp_ge_u32 s8, s5
	s_cselect_b32 s6, s9, s6
	s_cselect_b32 s8, s10, s8
	s_add_i32 s9, s6, 1
	s_cmp_ge_u32 s8, s5
	s_cselect_b32 s6, s9, s6
	v_mov_b64_e32 v[2:3], s[6:7]
.LBB32_6:
	s_waitcnt lgkmcnt(0)
	s_mul_hi_u32 s6, s20, s16
	s_add_i32 s6, s6, s20
	v_mul_hi_u32 v1, v2, s16
	s_lshr_b32 s19, s6, s17
	v_add_u32_e32 v1, v1, v2
	s_mul_i32 s6, s19, s18
	v_lshrrev_b32_e32 v1, s17, v1
	s_cmp_eq_u32 s6, s20
	v_cmp_eq_u32_e64 s[6:7], s19, v1
	v_mul_lo_u32 v1, v1, s18
	v_cmp_eq_u32_e32 vcc, s20, v2
	s_cselect_b64 s[10:11], -1, 0
	v_cmp_ne_u32_e64 s[8:9], v1, v2
	s_and_b64 s[6:7], s[6:7], s[8:9]
	s_or_b64 s[8:9], vcc, s[10:11]
	s_or_b64 s[6:7], s[8:9], s[6:7]
	s_and_b64 vcc, exec, s[6:7]
	s_cbranch_vccnz .LBB32_24
; %bb.7:
	s_load_dwordx8 s[24:31], s[0:1], 0x20
	s_load_dword s6, s[0:1], 0x40
	s_waitcnt lgkmcnt(0)
	s_mul_hi_u32 s7, s20, s24
	s_add_i32 s7, s7, s20
	s_lshr_b32 s7, s7, s25
	s_mul_i32 s8, s7, s26
	s_sub_i32 s8, s20, s8
	s_mul_hi_u32 s9, s8, s27
	s_add_i32 s9, s8, s9
	s_lshr_b32 s21, s9, s28
	s_mul_i32 s9, s21, s29
	s_sub_i32 s8, s8, s9
	;; [unrolled: 5-line block ×3, first 2 shown]
	s_mul_hi_u32 s8, s6, s16
	s_add_i32 s6, s6, s8
	s_lshr_b32 s22, s6, s17
	s_lshl_b32 s23, s9, 2
	s_add_i32 s22, s22, s3
	s_cmp_lt_i32 s22, s12
	s_cselect_b64 s[8:9], -1, 0
	s_add_i32 s23, s23, s4
	s_cmp_lt_i32 s23, s14
	s_cselect_b64 s[10:11], -1, 0
	s_and_b64 s[8:9], s[8:9], s[10:11]
	s_andn2_b64 vcc, exec, s[8:9]
	s_mov_b32 s6, 0
	s_cbranch_vccnz .LBB32_24
; %bb.8:
	s_load_dwordx4 s[8:11], s[0:1], 0x0
	s_lshl_b32 s1, s3, 2
	s_lshl_b32 s0, s5, 4
	s_add_i32 s24, s1, s4
	s_mov_b32 s1, s6
	s_lshl_b64 s[0:1], s[0:1], 2
	s_waitcnt lgkmcnt(0)
	v_mov_b32_e32 v2, s8
	s_add_u32 s8, s10, s0
	s_mul_i32 s7, s7, s12
	v_mov_b32_e32 v3, s9
	s_addc_u32 s9, s11, s1
	s_mul_i32 s21, s21, s14
	s_add_i32 s0, s22, s7
	s_mul_i32 s0, s0, s13
	s_add_i32 s1, s23, s21
	s_add_i32 s0, s1, s0
	s_mulk_i32 s0, 0x50
	v_add_u32_e32 v4, s0, v0
	v_ashrrev_i32_e32 v5, 31, v4
	v_lshl_add_u64 v[2:3], v[4:5], 2, v[2:3]
	global_load_dword v5, v[2:3], off
	s_mulk_i32 s24, 0x50
	v_add_u32_e32 v4, s24, v0
	v_cvt_f32_u32_e32 v0, s5
	v_cvt_f32_ubyte0_e32 v1, 0
	s_add_i32 s0, s3, s2
	s_lshl_b32 s0, s0, 2
	v_fmamk_f32 v0, v1, 0x4f800000, v0
	v_rcp_f32_e32 v0, v0
	v_cvt_f32_u32_e32 v1, s5
	s_add_i32 s0, s0, s4
	s_ashr_i32 s1, s0, 31
	s_lshl_b64 s[0:1], s[0:1], 3
	v_mul_f32_e32 v0, 0x5f7ffffc, v0
	v_rcp_iflag_f32_e32 v1, v1
	s_add_u32 s0, s10, s0
	v_mul_f32_e32 v6, 0x2f800000, v0
	s_addc_u32 s1, s11, s1
	v_trunc_f32_e32 v7, v6
	s_load_dwordx2 s[0:1], s[0:1], 0x0
	v_fmamk_f32 v0, v7, 0xcf800000, v0
	v_cvt_u32_f32_e32 v6, v0
	v_mul_f32_e32 v0, 0x4f7ffffe, v1
	v_cvt_u32_f32_e32 v7, v7
	v_cvt_u32_f32_e32 v9, v0
	s_add_i32 s13, s2, -1
	s_add_i32 s12, s5, s3
	s_waitcnt lgkmcnt(0)
	v_mov_b32_e32 v8, s1
	v_mov_b32_e32 v10, s0
	;; [unrolled: 1-line block ×3, first 2 shown]
	s_mov_b32 s14, 0x3fb8aa3b
	s_mov_b32 s20, 0xc2ce8ed0
	;; [unrolled: 1-line block ×4, first 2 shown]
	v_mov_b32_e32 v12, 0x7f800000
	s_mul_hi_i32 s7, s13, s15
	s_cmp_lg_u64 s[6:7], 0
	s_mul_i32 s2, s13, s15
	s_cbranch_scc0 .LBB32_15
.LBB32_9:
	s_sub_u32 s0, 0, s5
	v_readfirstlane_b32 s3, v6
	v_readfirstlane_b32 s25, v7
	s_subb_u32 s1, 0, 0
	s_mul_hi_u32 s24, s0, s3
	s_mul_i32 s26, s0, s25
	s_mul_i32 s23, s1, s3
	s_add_i32 s24, s24, s26
	s_add_i32 s24, s24, s23
	s_mul_i32 s27, s0, s3
	s_mul_hi_u32 s23, s3, s24
	s_mul_i32 s26, s3, s24
	s_mul_hi_u32 s3, s3, s27
	s_add_u32 s3, s3, s26
	s_addc_u32 s23, 0, s23
	s_mul_hi_u32 s28, s25, s27
	s_mul_i32 s27, s25, s27
	s_add_u32 s3, s3, s27
	s_mul_hi_u32 s26, s25, s24
	s_addc_u32 s3, s23, s28
	s_addc_u32 s23, s26, 0
	s_mul_i32 s24, s25, s24
	s_add_u32 s3, s3, s24
	s_addc_u32 s23, 0, s23
	v_add_co_u32_e32 v0, vcc, s3, v6
	s_cmp_lg_u64 vcc, 0
	s_addc_u32 s3, s25, s23
	v_readfirstlane_b32 s24, v0
	s_mul_i32 s23, s0, s3
	s_mul_hi_u32 s25, s0, s24
	s_add_i32 s23, s25, s23
	s_mul_i32 s1, s1, s24
	s_add_i32 s23, s23, s1
	s_mul_i32 s0, s0, s24
	s_mul_hi_u32 s25, s3, s0
	s_mul_i32 s26, s3, s0
	s_mul_i32 s28, s24, s23
	s_mul_hi_u32 s0, s24, s0
	s_mul_hi_u32 s27, s24, s23
	s_add_u32 s0, s0, s28
	s_addc_u32 s24, 0, s27
	s_add_u32 s0, s0, s26
	s_mul_hi_u32 s1, s3, s23
	s_addc_u32 s0, s24, s25
	s_addc_u32 s1, s1, 0
	s_mul_i32 s23, s3, s23
	s_add_u32 s0, s0, s23
	s_addc_u32 s1, 0, s1
	v_add_co_u32_e32 v0, vcc, s0, v0
	s_cmp_lg_u64 vcc, 0
	s_addc_u32 s3, s3, s1
	s_ashr_i32 s0, s7, 31
	s_add_u32 s24, s2, s0
	s_mov_b32 s1, s0
	s_addc_u32 s25, s7, s0
	s_xor_b64 s[24:25], s[24:25], s[0:1]
	v_readfirstlane_b32 s23, v0
	s_mul_i32 s7, s24, s3
	s_mul_hi_u32 s26, s24, s23
	s_mul_hi_u32 s1, s24, s3
	s_add_u32 s7, s26, s7
	s_addc_u32 s1, 0, s1
	s_mul_hi_u32 s27, s25, s23
	s_mul_i32 s23, s25, s23
	s_add_u32 s7, s7, s23
	s_mul_hi_u32 s26, s25, s3
	s_addc_u32 s1, s1, s27
	s_addc_u32 s7, s26, 0
	s_mul_i32 s3, s25, s3
	s_add_u32 s1, s1, s3
	s_addc_u32 s3, 0, s7
	s_mul_i32 s3, s5, s3
	s_mul_hi_u32 s26, s5, s1
	s_add_i32 s26, s26, s3
	s_mul_i32 s3, s5, s1
	v_mov_b32_e32 v0, s3
	s_add_u32 s7, s1, 1
	s_add_u32 s23, s1, 2
	v_sub_co_u32_e32 v0, vcc, s24, v0
	s_cmp_lg_u64 vcc, 0
	s_subb_u32 s3, s25, s26
	v_subrev_co_u32_e32 v1, vcc, s5, v0
	s_cmp_lg_u64 vcc, 0
	s_subb_u32 s24, s3, 0
	v_cmp_le_u32_e32 vcc, s5, v1
	s_cmp_eq_u32 s24, 0
	v_mov_b32_e32 v13, s7
	v_cndmask_b32_e64 v1, 0, -1, vcc
	s_cselect_b64 vcc, -1, 0
	v_cndmask_b32_e32 v1, -1, v1, vcc
	v_mov_b32_e32 v14, s23
	v_cmp_ne_u32_e32 vcc, 0, v1
	s_cmp_eq_u32 s3, 0
	s_nop 0
	v_cndmask_b32_e32 v1, v13, v14, vcc
	v_cmp_le_u32_e32 vcc, s5, v0
	v_mov_b32_e32 v13, s1
	s_nop 0
	v_cndmask_b32_e64 v0, 0, -1, vcc
	s_cselect_b64 vcc, -1, 0
	v_cndmask_b32_e32 v0, -1, v0, vcc
	v_cmp_ne_u32_e32 vcc, 0, v0
	s_nop 1
	v_cndmask_b32_e32 v0, v13, v1, vcc
	v_xor_b32_e32 v0, s0, v0
	v_subrev_co_u32_e32 v0, vcc, s0, v0
	s_cbranch_execnz .LBB32_11
.LBB32_10:
	s_sub_i32 s0, 0, s5
	v_mul_lo_u32 v0, s0, v9
	v_mul_hi_u32 v0, v9, v0
	v_add_u32_e32 v0, v9, v0
	v_mul_hi_u32 v0, s2, v0
	v_mul_lo_u32 v13, v0, s5
	v_sub_u32_e32 v13, s2, v13
	v_add_u32_e32 v1, 1, v0
	v_subrev_u32_e32 v14, s5, v13
	v_cmp_le_u32_e32 vcc, s5, v13
	s_nop 1
	v_cndmask_b32_e32 v13, v13, v14, vcc
	v_cndmask_b32_e32 v0, v0, v1, vcc
	v_add_u32_e32 v1, 1, v0
	v_cmp_le_u32_e32 vcc, s5, v13
	s_nop 1
	v_cndmask_b32_e32 v0, v0, v1, vcc
.LBB32_11:
	v_cmp_ne_u32_e32 vcc, v11, v0
	s_cbranch_vccz .LBB32_14
; %bb.12:
	s_add_i32 s0, s12, s13
	s_lshl_b32 s0, s0, 2
	v_mul_hi_u32 v1, v0, s16
	s_add_i32 s0, s0, s4
	s_mov_b32 s1, s6
	v_add_u32_e32 v1, v1, v0
	s_lshl_b64 s[0:1], s[0:1], 3
	v_lshrrev_b32_e32 v1, s17, v1
	s_add_u32 s2, s10, s0
	v_mul_lo_u32 v13, v1, s18
	s_addc_u32 s3, s11, s1
	v_cmp_eq_u32_e32 vcc, v13, v0
	v_cmp_gt_u32_e64 s[0:1], s19, v1
	s_or_b64 s[0:1], s[0:1], vcc
	s_and_b64 vcc, exec, s[0:1]
	s_cbranch_vccnz .LBB32_16
; %bb.13:
	s_add_i32 s7, s13, -1
	s_mov_b64 s[0:1], 0
	s_branch .LBB32_17
.LBB32_14:
                                        ; implicit-def: $sgpr0_sgpr1
                                        ; implicit-def: $vgpr14
                                        ; implicit-def: $vgpr1
                                        ; implicit-def: $vgpr13
                                        ; implicit-def: $sgpr7
                                        ; implicit-def: $vgpr0
	s_branch .LBB32_18
.LBB32_15:
                                        ; implicit-def: $vgpr0_vgpr1
	s_branch .LBB32_10
.LBB32_16:
	s_mov_b64 s[0:1], -1
	s_mov_b32 s7, s13
	v_mov_b32_e32 v0, v11
.LBB32_17:
	s_mul_i32 s23, s13, 0x140
	v_add_u32_e32 v14, s23, v4
	v_ashrrev_i32_e32 v15, 31, v14
	v_lshl_add_u64 v[14:15], v[14:15], 2, s[8:9]
	global_load_dword v14, v[14:15], off
	s_load_dwordx2 s[2:3], s[2:3], 0x0
	v_max_f32_e32 v1, v10, v10
	s_waitcnt lgkmcnt(0)
	v_max_f32_e64 v13, s2, s2
	v_max_f32_e32 v1, v1, v13
	v_sub_f32_e32 v13, v10, v1
	v_sub_f32_e32 v15, s2, v1
	v_mul_f32_e32 v16, 0x3fb8aa3b, v13
	v_mul_f32_e32 v17, 0x3fb8aa3b, v15
	v_fma_f32 v18, v13, s14, -v16
	v_rndne_f32_e32 v19, v16
	v_fma_f32 v20, v15, s14, -v17
	v_rndne_f32_e32 v21, v17
	v_fmac_f32_e32 v18, 0x32a5705f, v13
	v_sub_f32_e32 v16, v16, v19
	v_fmac_f32_e32 v20, 0x32a5705f, v15
	v_sub_f32_e32 v17, v17, v21
	v_add_f32_e32 v16, v16, v18
	v_cvt_i32_f32_e32 v19, v19
	v_add_f32_e32 v17, v17, v20
	v_exp_f32_e32 v16, v16
	v_cvt_i32_f32_e32 v21, v21
	v_exp_f32_e32 v17, v17
	v_cmp_ngt_f32_e32 vcc, s20, v13
	v_ldexp_f32 v16, v16, v19
	v_ldexp_f32 v17, v17, v21
	v_cndmask_b32_e32 v16, 0, v16, vcc
	v_cmp_ngt_f32_e32 vcc, s20, v15
	s_nop 1
	v_cndmask_b32_e32 v17, 0, v17, vcc
	v_cmp_nlt_f32_e32 vcc, s21, v13
	s_nop 1
	v_cndmask_b32_e32 v16, v12, v16, vcc
	v_cmp_nlt_f32_e32 vcc, s21, v15
	s_nop 1
	v_cndmask_b32_e32 v17, v12, v17, vcc
	v_cmp_le_f32_e32 vcc, s22, v13
	s_nop 1
	v_cndmask_b32_e32 v16, 0, v16, vcc
	v_cmp_le_f32_e32 vcc, s22, v15
	s_nop 1
	v_cndmask_b32_e32 v15, 0, v17, vcc
	v_mul_f32_e32 v13, s3, v15
	v_fmac_f32_e32 v13, v8, v16
	s_waitcnt vmcnt(0)
	v_mul_f32_e32 v14, v14, v15
	v_fmac_f32_e32 v14, v5, v16
	s_cbranch_execnz .LBB32_19
.LBB32_18:
	s_add_i32 s7, s13, -1
	s_mov_b64 s[0:1], 0
	v_mov_b32_e32 v0, v11
	v_mov_b32_e32 v13, v8
	;; [unrolled: 1-line block ×3, first 2 shown]
	s_waitcnt vmcnt(0)
	v_mov_b32_e32 v14, v5
.LBB32_19:
	s_andn2_b64 vcc, exec, s[0:1]
	s_cbranch_vccz .LBB32_23
; %bb.20:
	v_mov_b32_e32 v11, v0
	s_mov_b32 s13, s7
	v_mov_b32_e32 v8, v13
	v_mov_b32_e32 v10, v1
	s_waitcnt vmcnt(0)
	v_mov_b32_e32 v5, v14
	s_mul_hi_i32 s7, s13, s15
	s_cmp_lg_u64 s[6:7], 0
	s_mul_i32 s2, s13, s15
	s_cbranch_scc1 .LBB32_9
	s_branch .LBB32_15
.LBB32_21:
                                        ; implicit-def: $sgpr20_sgpr21
	s_load_dwordx4 s[16:19], s[0:1], 0x44
	s_branch .LBB32_2
.LBB32_22:
                                        ; implicit-def: $vgpr2_vgpr3
	s_branch .LBB32_5
.LBB32_23:
	v_div_scale_f32 v0, s[0:1], v13, v13, v14
	v_rcp_f32_e32 v1, v0
	v_div_scale_f32 v4, vcc, v14, v13, v14
	s_waitcnt vmcnt(0)
	v_fma_f32 v5, -v0, v1, 1.0
	v_fmac_f32_e32 v1, v5, v1
	v_mul_f32_e32 v5, v4, v1
	v_fma_f32 v6, -v0, v5, v4
	v_fmac_f32_e32 v5, v6, v1
	v_fma_f32 v0, -v0, v5, v4
	v_div_fmas_f32 v0, v0, v1, v5
	v_div_fixup_f32 v0, v0, v13, v14
	global_store_dword v[2:3], v0, off
.LBB32_24:
	s_endpgm
	.section	.rodata,"a",@progbits
	.p2align	6, 0x0
	.amdhsa_kernel _ZL33flash_attn_stream_k_fixup_generalILi80ELi1ELi4EEvPfPK15HIP_vector_typeIfLj2EEiiiiS1_IjLj3EES5_S5_S5_
		.amdhsa_group_segment_fixed_size 0
		.amdhsa_private_segment_fixed_size 0
		.amdhsa_kernarg_size 336
		.amdhsa_user_sgpr_count 2
		.amdhsa_user_sgpr_dispatch_ptr 0
		.amdhsa_user_sgpr_queue_ptr 0
		.amdhsa_user_sgpr_kernarg_segment_ptr 1
		.amdhsa_user_sgpr_dispatch_id 0
		.amdhsa_user_sgpr_kernarg_preload_length 0
		.amdhsa_user_sgpr_kernarg_preload_offset 0
		.amdhsa_user_sgpr_private_segment_size 0
		.amdhsa_uses_dynamic_stack 0
		.amdhsa_enable_private_segment 0
		.amdhsa_system_sgpr_workgroup_id_x 1
		.amdhsa_system_sgpr_workgroup_id_y 1
		.amdhsa_system_sgpr_workgroup_id_z 1
		.amdhsa_system_sgpr_workgroup_info 0
		.amdhsa_system_vgpr_workitem_id 0
		.amdhsa_next_free_vgpr 22
		.amdhsa_next_free_sgpr 32
		.amdhsa_accum_offset 24
		.amdhsa_reserve_vcc 1
		.amdhsa_float_round_mode_32 0
		.amdhsa_float_round_mode_16_64 0
		.amdhsa_float_denorm_mode_32 3
		.amdhsa_float_denorm_mode_16_64 3
		.amdhsa_dx10_clamp 1
		.amdhsa_ieee_mode 1
		.amdhsa_fp16_overflow 0
		.amdhsa_tg_split 0
		.amdhsa_exception_fp_ieee_invalid_op 0
		.amdhsa_exception_fp_denorm_src 0
		.amdhsa_exception_fp_ieee_div_zero 0
		.amdhsa_exception_fp_ieee_overflow 0
		.amdhsa_exception_fp_ieee_underflow 0
		.amdhsa_exception_fp_ieee_inexact 0
		.amdhsa_exception_int_div_zero 0
	.end_amdhsa_kernel
	.section	.text._ZL33flash_attn_stream_k_fixup_generalILi80ELi1ELi4EEvPfPK15HIP_vector_typeIfLj2EEiiiiS1_IjLj3EES5_S5_S5_,"axG",@progbits,_ZL33flash_attn_stream_k_fixup_generalILi80ELi1ELi4EEvPfPK15HIP_vector_typeIfLj2EEiiiiS1_IjLj3EES5_S5_S5_,comdat
.Lfunc_end32:
	.size	_ZL33flash_attn_stream_k_fixup_generalILi80ELi1ELi4EEvPfPK15HIP_vector_typeIfLj2EEiiiiS1_IjLj3EES5_S5_S5_, .Lfunc_end32-_ZL33flash_attn_stream_k_fixup_generalILi80ELi1ELi4EEvPfPK15HIP_vector_typeIfLj2EEiiiiS1_IjLj3EES5_S5_S5_
                                        ; -- End function
	.section	.AMDGPU.csdata,"",@progbits
; Kernel info:
; codeLenInByte = 2856
; NumSgprs: 38
; NumVgprs: 22
; NumAgprs: 0
; TotalNumVgprs: 22
; ScratchSize: 0
; MemoryBound: 0
; FloatMode: 240
; IeeeMode: 1
; LDSByteSize: 0 bytes/workgroup (compile time only)
; SGPRBlocks: 4
; VGPRBlocks: 2
; NumSGPRsForWavesPerEU: 38
; NumVGPRsForWavesPerEU: 22
; AccumOffset: 24
; Occupancy: 8
; WaveLimiterHint : 0
; COMPUTE_PGM_RSRC2:SCRATCH_EN: 0
; COMPUTE_PGM_RSRC2:USER_SGPR: 2
; COMPUTE_PGM_RSRC2:TRAP_HANDLER: 0
; COMPUTE_PGM_RSRC2:TGID_X_EN: 1
; COMPUTE_PGM_RSRC2:TGID_Y_EN: 1
; COMPUTE_PGM_RSRC2:TGID_Z_EN: 1
; COMPUTE_PGM_RSRC2:TIDIG_COMP_CNT: 0
; COMPUTE_PGM_RSRC3_GFX90A:ACCUM_OFFSET: 5
; COMPUTE_PGM_RSRC3_GFX90A:TG_SPLIT: 0
	.section	.text._ZL15flash_attn_tileILi80ELi80ELi32ELi2ELb0EEvPKcS1_S1_S1_S1_PKiPfP15HIP_vector_typeIfLj2EEffffjfiS5_IjLj3EEiiiiiiiiiiiliiliiiiil,"axG",@progbits,_ZL15flash_attn_tileILi80ELi80ELi32ELi2ELb0EEvPKcS1_S1_S1_S1_PKiPfP15HIP_vector_typeIfLj2EEffffjfiS5_IjLj3EEiiiiiiiiiiiliiliiiiil,comdat
	.globl	_ZL15flash_attn_tileILi80ELi80ELi32ELi2ELb0EEvPKcS1_S1_S1_S1_PKiPfP15HIP_vector_typeIfLj2EEffffjfiS5_IjLj3EEiiiiiiiiiiiliiliiiiil ; -- Begin function _ZL15flash_attn_tileILi80ELi80ELi32ELi2ELb0EEvPKcS1_S1_S1_S1_PKiPfP15HIP_vector_typeIfLj2EEffffjfiS5_IjLj3EEiiiiiiiiiiiliiliiiiil
	.p2align	8
	.type	_ZL15flash_attn_tileILi80ELi80ELi32ELi2ELb0EEvPKcS1_S1_S1_S1_PKiPfP15HIP_vector_typeIfLj2EEffffjfiS5_IjLj3EEiiiiiiiiiiiliiliiiiil,@function
_ZL15flash_attn_tileILi80ELi80ELi32ELi2ELb0EEvPKcS1_S1_S1_S1_PKiPfP15HIP_vector_typeIfLj2EEffffjfiS5_IjLj3EEiiiiiiiiiiiliiliiiiil: ; @_ZL15flash_attn_tileILi80ELi80ELi32ELi2ELb0EEvPKcS1_S1_S1_S1_PKiPfP15HIP_vector_typeIfLj2EEffffjfiS5_IjLj3EEiiiiiiiiiiiliiliiiiil
; %bb.0:
	s_load_dwordx4 s[60:63], s[0:1], 0x5c
	s_load_dwordx2 s[66:67], s[0:1], 0x80
	s_load_dwordx16 s[44:59], s[0:1], 0x0
	s_mov_b64 s[68:69], 0
	s_waitcnt lgkmcnt(0)
	s_lshr_b32 s5, s63, 31
	s_add_i32 s5, s63, s5
	s_ashr_i32 s5, s5, 1
	v_cvt_f32_u32_e32 v1, s5
	s_sub_i32 s6, 0, s5
	v_rcp_iflag_f32_e32 v1, v1
	s_nop 0
	v_mul_f32_e32 v1, 0x4f7ffffe, v1
	v_cvt_u32_f32_e32 v1, v1
	s_nop 0
	v_readfirstlane_b32 s7, v1
	s_mul_i32 s6, s6, s7
	s_mul_hi_u32 s6, s7, s6
	s_add_i32 s7, s7, s6
	s_mul_hi_u32 s6, s4, s7
	s_mul_i32 s7, s6, s5
	s_sub_i32 s7, s4, s7
	s_add_i32 s8, s6, 1
	s_sub_i32 s9, s7, s5
	s_cmp_ge_u32 s7, s5
	s_cselect_b32 s6, s8, s6
	s_cselect_b32 s7, s9, s7
	s_add_i32 s8, s6, 1
	s_cmp_ge_u32 s7, s5
	s_cselect_b32 s70, s8, s6
	s_abs_i32 s5, s67
	v_cvt_f32_u32_e32 v1, s5
	s_lshl_b32 s4, s4, 1
	s_mul_i32 s8, s70, s63
	s_sub_i32 s9, 0, s5
	v_rcp_iflag_f32_e32 v1, v1
	s_sub_i32 s64, s4, s8
	s_abs_i32 s7, s63
	s_xor_b32 s6, s63, s67
	v_mul_f32_e32 v1, 0x4f7ffffe, v1
	v_cvt_u32_f32_e32 v1, v1
	s_ashr_i32 s6, s6, 31
	v_readfirstlane_b32 s4, v1
	s_mul_i32 s9, s9, s4
	s_mul_hi_u32 s8, s4, s9
	s_add_i32 s4, s4, s8
	s_mul_hi_u32 s4, s7, s4
	s_mul_i32 s8, s4, s5
	s_sub_i32 s7, s7, s8
	s_add_i32 s9, s4, 1
	s_sub_i32 s8, s7, s5
	s_cmp_ge_u32 s7, s5
	s_cselect_b32 s4, s9, s4
	s_cselect_b32 s7, s8, s7
	s_add_i32 s8, s4, 1
	s_cmp_ge_u32 s7, s5
	s_cselect_b32 s4, s8, s4
	s_xor_b32 s4, s4, s6
	s_sub_i32 s15, s4, s6
	s_abs_i32 s14, s15
	v_cvt_f32_u32_e32 v1, s14
	s_load_dwordx2 s[4:5], s[0:1], 0xb8
	s_cmp_eq_u64 s[50:51], 0
	v_rcp_iflag_f32_e32 v1, v1
	s_nop 0
	v_mul_f32_e32 v1, 0x4f7ffffe, v1
	v_cvt_u32_f32_e32 v1, v1
	s_nop 0
	v_readfirstlane_b32 s16, v1
	s_cbranch_scc1 .LBB33_2
; %bb.1:
	s_waitcnt lgkmcnt(0)
	s_abs_i32 s4, s4
	v_cvt_f32_u32_e32 v1, s4
	s_sub_i32 s10, 0, s4
	s_abs_i32 s9, s70
	s_ashr_i32 s8, s70, 31
	v_rcp_iflag_f32_e32 v1, v1
	s_load_dwordx2 s[6:7], s[0:1], 0xc8
	v_mul_f32_e32 v1, 0x4f7ffffe, v1
	v_cvt_u32_f32_e32 v1, v1
	s_nop 0
	v_readfirstlane_b32 s11, v1
	s_mul_i32 s10, s10, s11
	s_mul_hi_u32 s10, s11, s10
	s_add_i32 s11, s11, s10
	s_mul_hi_u32 s10, s9, s11
	s_mul_i32 s10, s10, s4
	s_sub_i32 s9, s9, s10
	s_sub_i32 s10, s9, s4
	s_cmp_ge_u32 s9, s4
	s_cselect_b32 s9, s10, s9
	s_sub_i32 s10, s9, s4
	s_cmp_ge_u32 s9, s4
	s_cselect_b32 s4, s10, s9
	s_xor_b32 s4, s4, s8
	s_sub_i32 s4, s4, s8
	s_ashr_i32 s8, s4, 31
	s_waitcnt lgkmcnt(0)
	s_mul_i32 s7, s4, s7
	s_mul_hi_u32 s9, s4, s6
	s_add_i32 s7, s9, s7
	s_mul_i32 s8, s8, s6
	s_add_i32 s7, s7, s8
	s_mul_i32 s4, s4, s6
	s_add_u32 s68, s50, s4
	s_addc_u32 s69, s51, s7
.LBB33_2:
	s_load_dwordx4 s[20:23], s[0:1], 0x70
	s_waitcnt lgkmcnt(0)
	s_load_dword s4, s[0:1], 0x40
	s_lshl_b32 s33, s2, 5
	v_and_b32_e32 v151, 0x3ff, v0
	v_lshlrev_b32_e32 v104, 2, v151
	s_mul_i32 s6, s70, s22
	s_ashr_i32 s8, s6, 31
	s_mul_i32 s7, s64, s21
	s_add_u32 s6, s44, s6
	s_addc_u32 s8, s45, s8
	s_ashr_i32 s9, s7, 31
	s_add_u32 s6, s6, s7
	s_addc_u32 s7, s8, s9
	s_ashr_i32 s9, s21, 31
	s_mov_b32 s8, s21
	s_ashr_i32 s21, s20, 31
	v_bfe_u32 v8, v0, 10, 10
	v_cmp_gt_u32_e64 s[44:45], 20, v151
	s_lshr_b64 s[8:9], s[8:9], 2
	s_lshr_b64 s[10:11], s[20:21], 2
	v_lshlrev_b32_e32 v2, 1, v151
	v_lshlrev_b32_e32 v0, 2, v104
	s_and_saveexec_b64 s[12:13], s[44:45]
	s_cbranch_execz .LBB33_4
; %bb.3:
	v_lshl_add_u32 v1, v8, 2, s33
	v_mul_hi_u32 v3, v1, s60
	v_add_u32_e32 v3, v1, v3
	v_lshrrev_b32_e32 v3, s61, v3
	v_mul_lo_u32 v3, v3, s62
	v_sub_u32_e32 v1, v1, v3
	v_mad_u64_u32 v[4:5], s[18:19], s10, v1, 0
	v_mov_b32_e32 v6, v5
	v_mad_u64_u32 v[6:7], s[18:19], s11, v1, v[6:7]
	s_lshl_b64 s[18:19], s[8:9], 2
	v_mov_b32_e32 v5, v6
	s_add_u32 s18, s6, s18
	v_lshlrev_b64 v[4:5], 2, v[4:5]
	s_addc_u32 s19, s7, s19
	v_lshl_add_u64 v[6:7], s[6:7], 0, v[4:5]
	v_mov_b32_e32 v1, 0
	v_lshl_add_u64 v[10:11], s[18:19], 0, v[4:5]
	v_lshl_add_u64 v[6:7], v[6:7], 0, v[0:1]
	;; [unrolled: 1-line block ×3, first 2 shown]
	global_load_dwordx4 v[4:7], v[6:7], off
	v_mul_u32_u24_e32 v1, 0x140, v8
	global_load_dwordx4 v[10:13], v[10:11], off
	v_or_b32_e32 v1, v1, v2
	v_lshlrev_b32_e32 v1, 2, v1
	s_waitcnt vmcnt(1) lgkmcnt(0)
	v_pk_mul_f32 v[4:5], v[4:5], s[4:5] op_sel_hi:[1,0]
	v_pk_mul_f32 v[6:7], v[6:7], s[4:5] op_sel_hi:[1,0]
	s_waitcnt vmcnt(0)
	v_pk_mul_f32 v[10:11], v[10:11], s[4:5] op_sel_hi:[1,0]
	v_pk_mul_f32 v[12:13], v[12:13], s[4:5] op_sel_hi:[1,0]
	v_cvt_f16_f32_e32 v3, v5
	v_cvt_f16_f32_e32 v4, v4
	;; [unrolled: 1-line block ×8, first 2 shown]
	v_pack_b32_f16 v5, v6, v5
	v_pack_b32_f16 v4, v4, v3
	;; [unrolled: 1-line block ×4, first 2 shown]
	ds_write2_b64 v1, v[4:5], v[6:7] offset1:20
.LBB33_4:
	s_or_b64 exec, exec, s[12:13]
	v_lshlrev_b32_e32 v9, 3, v8
	v_or_b32_e32 v3, 2, v9
	v_lshrrev_b32_e32 v150, 1, v3
	s_and_saveexec_b64 s[12:13], s[44:45]
	s_cbranch_execnz .LBB33_15
; %bb.5:
	s_or_b64 exec, exec, s[12:13]
	v_or_b32_e32 v149, 3, v9
	s_and_saveexec_b64 s[12:13], s[44:45]
	s_cbranch_execnz .LBB33_16
.LBB33_6:
	s_or_b64 exec, exec, s[12:13]
	v_or_b32_e32 v148, 4, v9
	s_and_saveexec_b64 s[12:13], s[44:45]
	s_cbranch_execnz .LBB33_17
.LBB33_7:
	s_or_b64 exec, exec, s[12:13]
	v_or_b32_e32 v125, 5, v9
	s_and_saveexec_b64 s[12:13], s[44:45]
	s_cbranch_execnz .LBB33_18
.LBB33_8:
	s_or_b64 exec, exec, s[12:13]
	v_or_b32_e32 v121, 6, v9
	s_and_saveexec_b64 s[12:13], s[44:45]
	s_cbranch_execnz .LBB33_19
.LBB33_9:
	s_or_b64 exec, exec, s[12:13]
	v_or_b32_e32 v105, 7, v9
	s_and_saveexec_b64 s[12:13], s[44:45]
	s_cbranch_execz .LBB33_11
.LBB33_10:
	v_lshrrev_b32_e32 v1, 1, v105
	v_add_u32_e32 v1, s33, v1
	v_mul_hi_u32 v3, v1, s60
	v_add_u32_e32 v3, v1, v3
	v_lshrrev_b32_e32 v3, s61, v3
	v_mul_lo_u32 v3, v3, s62
	v_sub_u32_e32 v1, v1, v3
	v_mad_u64_u32 v[4:5], s[18:19], s10, v1, 0
	v_mov_b32_e32 v6, v5
	s_lshl_b64 s[8:9], s[8:9], 2
	v_mad_u64_u32 v[6:7], s[10:11], s11, v1, v[6:7]
	s_add_u32 s6, s6, s8
	v_mov_b32_e32 v5, v6
	s_addc_u32 s7, s7, s9
	v_lshl_add_u64 v[4:5], v[4:5], 2, s[6:7]
	v_mov_b32_e32 v1, 0
	v_lshl_add_u64 v[0:1], v[4:5], 0, v[0:1]
	global_load_dwordx4 v[4:7], v[0:1], off
	s_waitcnt vmcnt(0) lgkmcnt(0)
	v_pk_mul_f32 v[0:1], v[4:5], s[4:5] op_sel_hi:[1,0]
	v_pk_mul_f32 v[4:5], v[6:7], s[4:5] op_sel_hi:[1,0]
	v_cvt_f16_f32_e32 v3, v1
	v_cvt_f16_f32_e32 v1, v5
	;; [unrolled: 1-line block ×4, first 2 shown]
	v_mul_u32_u24_e32 v5, 40, v105
	v_add_lshl_u32 v2, v5, v2, 2
	v_pack_b32_f16 v1, v4, v1
	v_pack_b32_f16 v0, v0, v3
	ds_write_b64 v2, v[0:1]
.LBB33_11:
	s_or_b64 exec, exec, s[12:13]
	s_cmp_eq_u64 s[54:55], 0
	s_waitcnt lgkmcnt(0)
	s_barrier
	s_cbranch_scc1 .LBB33_13
; %bb.12:
	s_load_dword s4, s[0:1], 0xd0
	s_mov_b32 s7, 0
	s_waitcnt lgkmcnt(0)
	s_mul_i32 s4, s4, s70
	s_add_i32 s6, s4, s2
	s_lshl_b64 s[6:7], s[6:7], 2
	s_add_u32 s6, s54, s6
	s_addc_u32 s7, s55, s7
	s_load_dword s66, s[6:7], 0x0
.LBB33_13:
	s_lshl_b32 s54, s3, 5
	s_waitcnt lgkmcnt(0)
	s_cmp_lt_i32 s54, s66
	v_mbcnt_lo_u32_b32 v10, -1, 0
	s_cbranch_scc1 .LBB33_20
; %bb.14:
	v_mbcnt_hi_u32_b32 v167, -1, v10
	v_and_b32_e32 v0, 0x60, v167
	s_mov_b32 s2, 0
	v_add_u32_e32 v184, 32, v0
	v_xor_b32_e32 v188, 16, v167
	v_xor_b32_e32 v189, 8, v167
	;; [unrolled: 1-line block ×5, first 2 shown]
	s_mov_b64 s[6:7], 0
	s_mov_b32 s4, 0xfeffffff
	s_branch .LBB33_21
.LBB33_15:
	v_add_u32_e32 v1, s33, v150
	v_mul_hi_u32 v4, v1, s60
	v_add_u32_e32 v4, v1, v4
	v_lshrrev_b32_e32 v4, s61, v4
	v_mul_lo_u32 v4, v4, s62
	v_sub_u32_e32 v1, v1, v4
	v_mad_u64_u32 v[4:5], s[18:19], s10, v1, 0
	v_mov_b32_e32 v6, v5
	v_mad_u64_u32 v[6:7], s[18:19], s11, v1, v[6:7]
	v_mov_b32_e32 v5, v6
	v_lshl_add_u64 v[4:5], v[4:5], 2, s[6:7]
	v_mov_b32_e32 v1, 0
	v_lshl_add_u64 v[4:5], v[4:5], 0, v[0:1]
	global_load_dwordx4 v[4:7], v[4:5], off
	v_mul_u32_u24_e32 v3, 40, v3
	v_add_lshl_u32 v3, v3, v2, 2
	s_waitcnt vmcnt(0) lgkmcnt(0)
	v_pk_mul_f32 v[4:5], v[4:5], s[4:5] op_sel_hi:[1,0]
	v_pk_mul_f32 v[6:7], v[6:7], s[4:5] op_sel_hi:[1,0]
	v_cvt_f16_f32_e32 v1, v5
	v_cvt_f16_f32_e32 v5, v7
	;; [unrolled: 1-line block ×4, first 2 shown]
	v_pack_b32_f16 v5, v6, v5
	v_pack_b32_f16 v4, v4, v1
	ds_write_b64 v3, v[4:5]
	s_or_b64 exec, exec, s[12:13]
	v_or_b32_e32 v149, 3, v9
	s_and_saveexec_b64 s[12:13], s[44:45]
	s_cbranch_execz .LBB33_6
.LBB33_16:
	v_lshrrev_b32_e32 v1, 1, v149
	v_add_u32_e32 v1, s33, v1
	v_mul_hi_u32 v3, v1, s60
	v_add_u32_e32 v3, v1, v3
	v_lshrrev_b32_e32 v3, s61, v3
	v_mul_lo_u32 v3, v3, s62
	v_sub_u32_e32 v1, v1, v3
	v_mad_u64_u32 v[4:5], s[18:19], s10, v1, 0
	v_mov_b32_e32 v6, v5
	v_mad_u64_u32 v[6:7], s[18:19], s11, v1, v[6:7]
	s_lshl_b64 s[18:19], s[8:9], 2
	s_add_u32 s18, s6, s18
	v_mov_b32_e32 v5, v6
	s_addc_u32 s19, s7, s19
	v_lshl_add_u64 v[4:5], v[4:5], 2, s[18:19]
	v_mov_b32_e32 v1, 0
	v_lshl_add_u64 v[4:5], v[4:5], 0, v[0:1]
	global_load_dwordx4 v[4:7], v[4:5], off
	s_waitcnt vmcnt(0) lgkmcnt(0)
	v_pk_mul_f32 v[4:5], v[4:5], s[4:5] op_sel_hi:[1,0]
	v_pk_mul_f32 v[6:7], v[6:7], s[4:5] op_sel_hi:[1,0]
	v_cvt_f16_f32_e32 v1, v5
	v_cvt_f16_f32_e32 v3, v7
	;; [unrolled: 1-line block ×4, first 2 shown]
	v_mul_u32_u24_e32 v6, 40, v149
	v_add_lshl_u32 v6, v6, v2, 2
	v_pack_b32_f16 v5, v5, v3
	v_pack_b32_f16 v4, v4, v1
	ds_write_b64 v6, v[4:5]
	s_or_b64 exec, exec, s[12:13]
	v_or_b32_e32 v148, 4, v9
	s_and_saveexec_b64 s[12:13], s[44:45]
	s_cbranch_execz .LBB33_7
.LBB33_17:
	v_lshrrev_b32_e32 v1, 1, v148
	v_add_u32_e32 v1, s33, v1
	v_mul_hi_u32 v3, v1, s60
	v_add_u32_e32 v3, v1, v3
	v_lshrrev_b32_e32 v3, s61, v3
	v_mul_lo_u32 v3, v3, s62
	v_sub_u32_e32 v1, v1, v3
	v_mad_u64_u32 v[4:5], s[18:19], s10, v1, 0
	v_mov_b32_e32 v6, v5
	v_mad_u64_u32 v[6:7], s[18:19], s11, v1, v[6:7]
	v_mov_b32_e32 v5, v6
	v_lshl_add_u64 v[4:5], v[4:5], 2, s[6:7]
	v_mov_b32_e32 v1, 0
	v_lshl_add_u64 v[4:5], v[4:5], 0, v[0:1]
	global_load_dwordx4 v[4:7], v[4:5], off
	s_waitcnt vmcnt(0) lgkmcnt(0)
	v_pk_mul_f32 v[4:5], v[4:5], s[4:5] op_sel_hi:[1,0]
	v_pk_mul_f32 v[6:7], v[6:7], s[4:5] op_sel_hi:[1,0]
	v_cvt_f16_f32_e32 v1, v5
	v_cvt_f16_f32_e32 v3, v7
	;; [unrolled: 1-line block ×4, first 2 shown]
	v_mul_u32_u24_e32 v6, 40, v148
	v_add_lshl_u32 v6, v6, v2, 2
	v_pack_b32_f16 v5, v5, v3
	v_pack_b32_f16 v4, v4, v1
	ds_write_b64 v6, v[4:5]
	s_or_b64 exec, exec, s[12:13]
	v_or_b32_e32 v125, 5, v9
	s_and_saveexec_b64 s[12:13], s[44:45]
	s_cbranch_execz .LBB33_8
.LBB33_18:
	v_lshrrev_b32_e32 v1, 1, v125
	v_add_u32_e32 v1, s33, v1
	v_mul_hi_u32 v3, v1, s60
	v_add_u32_e32 v3, v1, v3
	v_lshrrev_b32_e32 v3, s61, v3
	v_mul_lo_u32 v3, v3, s62
	v_sub_u32_e32 v1, v1, v3
	v_mad_u64_u32 v[4:5], s[18:19], s10, v1, 0
	v_mov_b32_e32 v6, v5
	v_mad_u64_u32 v[6:7], s[18:19], s11, v1, v[6:7]
	s_lshl_b64 s[18:19], s[8:9], 2
	s_add_u32 s18, s6, s18
	v_mov_b32_e32 v5, v6
	s_addc_u32 s19, s7, s19
	v_lshl_add_u64 v[4:5], v[4:5], 2, s[18:19]
	v_mov_b32_e32 v1, 0
	v_lshl_add_u64 v[4:5], v[4:5], 0, v[0:1]
	global_load_dwordx4 v[4:7], v[4:5], off
	s_waitcnt vmcnt(0) lgkmcnt(0)
	v_pk_mul_f32 v[4:5], v[4:5], s[4:5] op_sel_hi:[1,0]
	v_pk_mul_f32 v[6:7], v[6:7], s[4:5] op_sel_hi:[1,0]
	v_cvt_f16_f32_e32 v1, v5
	v_cvt_f16_f32_e32 v3, v7
	;; [unrolled: 1-line block ×4, first 2 shown]
	v_mul_u32_u24_e32 v6, 40, v125
	v_add_lshl_u32 v6, v6, v2, 2
	v_pack_b32_f16 v5, v5, v3
	v_pack_b32_f16 v4, v4, v1
	ds_write_b64 v6, v[4:5]
	s_or_b64 exec, exec, s[12:13]
	v_or_b32_e32 v121, 6, v9
	s_and_saveexec_b64 s[12:13], s[44:45]
	s_cbranch_execz .LBB33_9
.LBB33_19:
	v_lshrrev_b32_e32 v1, 1, v121
	v_add_u32_e32 v1, s33, v1
	v_mul_hi_u32 v3, v1, s60
	v_add_u32_e32 v3, v1, v3
	v_lshrrev_b32_e32 v3, s61, v3
	v_mul_lo_u32 v3, v3, s62
	v_sub_u32_e32 v1, v1, v3
	v_mad_u64_u32 v[4:5], s[18:19], s10, v1, 0
	v_mov_b32_e32 v6, v5
	v_mad_u64_u32 v[6:7], s[18:19], s11, v1, v[6:7]
	v_mov_b32_e32 v5, v6
	v_lshl_add_u64 v[4:5], v[4:5], 2, s[6:7]
	v_mov_b32_e32 v1, 0
	v_lshl_add_u64 v[4:5], v[4:5], 0, v[0:1]
	global_load_dwordx4 v[4:7], v[4:5], off
	s_waitcnt vmcnt(0) lgkmcnt(0)
	v_pk_mul_f32 v[4:5], v[4:5], s[4:5] op_sel_hi:[1,0]
	v_pk_mul_f32 v[6:7], v[6:7], s[4:5] op_sel_hi:[1,0]
	v_cvt_f16_f32_e32 v1, v5
	v_cvt_f16_f32_e32 v3, v7
	;; [unrolled: 1-line block ×4, first 2 shown]
	v_mul_u32_u24_e32 v6, 40, v121
	v_add_lshl_u32 v6, v6, v2, 2
	v_pack_b32_f16 v5, v5, v3
	v_pack_b32_f16 v4, v4, v1
	ds_write_b64 v6, v[4:5]
	s_or_b64 exec, exec, s[12:13]
	v_or_b32_e32 v105, 7, v9
	s_and_saveexec_b64 s[12:13], s[44:45]
	s_cbranch_execnz .LBB33_10
	s_branch .LBB33_11
.LBB33_20:
	s_mov_b64 s[6:7], -1
                                        ; implicit-def: $sgpr4
                                        ; implicit-def: $sgpr2
                                        ; implicit-def: $vgpr167
                                        ; implicit-def: $vgpr184
                                        ; implicit-def: $vgpr188
                                        ; implicit-def: $vgpr189
                                        ; implicit-def: $vgpr187
                                        ; implicit-def: $vgpr186
                                        ; implicit-def: $vgpr185
.LBB33_21:
	s_andn2_b64 vcc, exec, s[6:7]
	v_mov_b32_e32 v7, s4
	v_mov_b32_e32 v107, s2
	;; [unrolled: 1-line block ×3, first 2 shown]
	v_lshlrev_b32_e32 v152, 2, v8
	v_mov_b32_e32 v6, s4
	v_mov_b32_e32 v5, s4
	;; [unrolled: 1-line block ×29, first 2 shown]
	s_cbranch_vccnz .LBB33_41
; %bb.22:
	s_load_dwordx2 s[6:7], s[0:1], 0x8c
	s_load_dwordx4 s[8:11], s[0:1], 0x98
	s_sub_i32 s2, 0, s14
	s_mul_i32 s2, s2, s16
	s_mul_hi_u32 s2, s16, s2
	s_waitcnt lgkmcnt(0)
	s_ashr_i32 s65, s6, 2
	s_ashr_i32 s55, s10, 2
	;; [unrolled: 1-line block ×4, first 2 shown]
	s_mul_i32 s6, s70, s9
	s_mul_hi_u32 s9, s70, s8
	s_abs_i32 s4, s64
	s_add_i32 s16, s16, s2
	s_add_i32 s6, s9, s6
	s_mul_i32 s9, s5, s8
	s_mul_hi_u32 s2, s4, s16
	s_ashr_i32 s16, s64, 31
	s_ashr_i32 s15, s15, 31
	s_add_i32 s6, s6, s9
	s_mul_i32 s8, s70, s8
	s_add_u32 s8, s46, s8
	s_addc_u32 s6, s47, s6
	s_xor_b32 s9, s16, s15
	s_mul_i32 s15, s2, s14
	s_sub_i32 s4, s4, s15
	s_add_i32 s15, s2, 1
	s_sub_i32 s16, s4, s14
	s_cmp_ge_u32 s4, s14
	s_cselect_b32 s2, s15, s2
	s_cselect_b32 s4, s16, s4
	s_add_i32 s15, s2, 1
	s_cmp_ge_u32 s4, s14
	s_cselect_b32 s2, s15, s2
	s_load_dwordx2 s[12:13], s[0:1], 0xa8
	s_xor_b32 s2, s2, s9
	s_sub_i32 s2, s2, s9
	s_mul_i32 s4, s2, s7
	s_ashr_i32 s7, s4, 31
	s_add_u32 s67, s8, s4
	s_addc_u32 s71, s6, s7
	s_waitcnt lgkmcnt(0)
	s_mul_i32 s4, s70, s13
	s_mul_hi_u32 s6, s70, s12
	s_add_i32 s4, s6, s4
	s_mul_i32 s5, s5, s12
	s_add_i32 s4, s4, s5
	s_mul_i32 s5, s70, s12
	s_add_u32 s5, s48, s5
	s_mul_i32 s2, s2, s11
	s_addc_u32 s4, s49, s4
	s_ashr_i32 s6, s2, 31
	s_add_u32 s72, s5, s2
	v_lshl_add_u32 v0, v8, 5, v151
	v_lshrrev_b32_e32 v1, 2, v151
	s_movk_i32 s2, 0x60
	v_mov_b32_e32 v2, 0x3840
	v_cmp_gt_u32_e32 vcc, 32, v0
	v_add_u32_e32 v1, v9, v1
	v_mad_u32_u24 v172, v0, s2, v2
	v_mul_lo_u32 v114, s65, v0
	v_and_b32_e32 v0, 12, v104
	s_addc_u32 s73, s4, s6
	v_cmp_gt_u32_e64 s[4:5], 32, v1
	v_mul_u32_u24_e32 v2, 0x60, v1
	v_lshlrev_b32_e32 v3, 2, v0
	s_movk_i32 s2, 0x3800
	v_mul_lo_u32 v118, s65, v1
	v_add_u32_e32 v1, s33, v152
	v_add3_u32 v173, v2, v3, s2
	v_mul_hi_u32 v2, s60, v1
	v_add_u32_e32 v2, v1, v2
	v_lshrrev_b32_e32 v2, s61, v2
	v_mul_lo_u32 v2, v2, s62
	v_sub_u32_e32 v2, v1, v2
	v_mul_lo_u32 v174, v2, s10
	v_add_u32_e32 v2, 1, v1
	v_mul_hi_u32 v3, s60, v2
	v_add_u32_e32 v3, v2, v3
	v_lshrrev_b32_e32 v3, s61, v3
	v_mul_lo_u32 v3, v3, s62
	v_sub_u32_e32 v2, v2, v3
	v_mul_lo_u32 v175, v2, s10
	v_add_u32_e32 v2, 2, v1
	v_mul_hi_u32 v3, s60, v2
	v_add_u32_e32 v3, v2, v3
	v_lshrrev_b32_e32 v3, s61, v3
	v_mul_lo_u32 v3, v3, s62
	v_sub_u32_e32 v2, v2, v3
	v_add_u32_e32 v1, 3, v1
	v_mul_lo_u32 v176, v2, s10
	v_mul_hi_u32 v2, s60, v1
	v_add_u32_e32 v2, v1, v2
	v_lshrrev_b32_e32 v2, s61, v2
	v_mul_lo_u32 v2, v2, s62
	v_sub_u32_e32 v1, v1, v2
	v_lshrrev_b32_e32 v2, 1, v151
	v_lshl_add_u32 v2, v8, 4, v2
	v_lshrrev_b32_e32 v3, 3, v151
	v_and_b32_e32 v120, 4, v104
	v_mul_u32_u24_e32 v4, 0xa0, v2
	v_mul_lo_u32 v177, v1, s10
	v_mov_b32_e32 v1, 0x2800
	v_add_u32_e32 v3, v152, v3
	v_lshl_or_b32 v4, v120, 2, v4
	v_and_b32_e32 v124, 28, v104
	v_mul_u32_u24_e32 v171, 0x500, v8
	v_mov_b32_e32 v117, 0
	v_lshl_add_u32 v178, v8, 9, v1
	v_lshlrev_b32_e32 v1, 4, v151
	v_cmp_gt_u32_e64 s[6:7], 16, v2
	v_add_u32_e32 v180, 0x3880, v4
	v_mul_lo_u32 v122, s55, v2
	v_mul_u32_u24_e32 v2, 0xa0, v3
	v_lshlrev_b32_e32 v4, 2, v124
	v_mul_lo_u32 v126, s55, v3
	s_add_u32 s46, s0, 0xd0
	v_mov_b32_e32 v8, 0xfeffffff
	v_mul_u32_u24_e32 v170, 0x60, v151
	v_ashrrev_i32_e32 v115, 31, v114
	v_ashrrev_i32_e32 v119, 31, v118
	v_cmp_gt_u32_e64 s[8:9], 16, v3
	v_lshlrev_b32_e32 v179, 3, v151
	v_ashrrev_i32_e32 v123, 31, v122
	v_add3_u32 v181, v2, v4, s2
	v_ashrrev_i32_e32 v127, 31, v126
	s_addc_u32 s47, s1, 0
	v_mbcnt_hi_u32_b32 v167, -1, v10
	s_mov_b32 s2, 0x40051340
	s_mov_b32 s60, 0x3fb8aa3b
	;; [unrolled: 1-line block ×4, first 2 shown]
	v_add_u32_e32 v182, v178, v1
	v_lshlrev_b32_e32 v116, 2, v0
	v_mov_b32_e32 v183, 0x7f800000
	v_mov_b32_e32 v154, v117
	v_mov_b32_e32 v153, v117
	v_mov_b32_e32 v156, v117
	v_mov_b32_e32 v155, v117
	v_mov_b32_e32 v158, v117
	v_mov_b32_e32 v157, v117
	v_mov_b32_e32 v160, v117
	v_mov_b32_e32 v159, v117
	v_mov_b32_e32 v162, v117
	v_mov_b32_e32 v161, v117
	v_mov_b32_e32 v163, v117
	v_mov_b32_e32 v164, v117
	v_mov_b32_e32 v165, v117
	v_mov_b32_e32 v166, v117
	v_mov_b32_e32 v169, v117
	v_mov_b32_e32 v168, v117
	v_mov_b32_e32 v9, v8
	v_mov_b32_e32 v14, v8
	v_mov_b32_e32 v15, v8
	v_mov_b32_e32 v12, v8
	v_mov_b32_e32 v13, v8
	v_mov_b32_e32 v10, v8
	v_mov_b32_e32 v11, v8
	v_mov_b32_e32 v112, v117
	v_mov_b32_e32 v113, v117
	v_mov_b32_e32 v110, v117
	v_mov_b32_e32 v111, v117
	v_mov_b32_e32 v108, v117
	v_mov_b32_e32 v109, v117
	v_mov_b32_e32 v106, v117
	v_mov_b32_e32 v107, v117
.LBB33_23:                              ; =>This Inner Loop Header: Depth=1
	s_mul_hi_i32 s11, s54, s65
	s_mul_i32 s10, s54, s65
	s_lshl_b64 s[10:11], s[10:11], 2
	s_add_u32 s10, s67, s10
	s_addc_u32 s11, s71, s11
	v_lshl_add_u64 v[18:19], v[114:115], 2, s[10:11]
	s_and_saveexec_b64 s[12:13], vcc
	s_cbranch_execz .LBB33_25
; %bb.24:                               ;   in Loop: Header=BB33_23 Depth=1
	global_load_dwordx4 v[0:3], v[18:19], off offset:64
	s_waitcnt vmcnt(0)
	ds_write_b128 v172, v[0:3]
.LBB33_25:                              ;   in Loop: Header=BB33_23 Depth=1
	s_or_b64 exec, exec, s[12:13]
	v_lshl_add_u64 v[16:17], v[118:119], 2, s[10:11]
	s_and_saveexec_b64 s[10:11], s[4:5]
	s_cbranch_execz .LBB33_27
; %bb.26:                               ;   in Loop: Header=BB33_23 Depth=1
	v_lshl_add_u64 v[0:1], v[16:17], 0, v[116:117]
	global_load_dwordx4 v[0:3], v[0:1], off
	s_waitcnt vmcnt(0)
	ds_write_b128 v173, v[0:3]
.LBB33_27:                              ;   in Loop: Header=BB33_23 Depth=1
	s_or_b64 exec, exec, s[10:11]
	v_mov_b32_e32 v0, 0
	s_waitcnt lgkmcnt(0)
	s_barrier
	ds_read_b128 v[20:23], v170 offset:14336
	ds_read_b128 v[2:5], v171
	ds_read_b128 v[24:27], v171 offset:160
	ds_read_b128 v[28:31], v171 offset:320
	;; [unrolled: 1-line block ×7, first 2 shown]
	s_waitcnt lgkmcnt(7)
	;;#ASMSTART
	v_dot2_f32_f16 v0, v20, v2, v0
	;;#ASMEND
	v_mov_b32_e32 v1, 0
	;;#ASMSTART
	v_dot2_f32_f16 v0, v21, v3, v0
	;;#ASMEND
	v_mov_b32_e32 v2, 0
	;;#ASMSTART
	v_dot2_f32_f16 v0, v22, v4, v0
	;;#ASMEND
	v_mov_b32_e32 v3, 0
	;;#ASMSTART
	v_dot2_f32_f16 v0, v23, v5, v0
	;;#ASMEND
	s_waitcnt lgkmcnt(6)
	;;#ASMSTART
	v_dot2_f32_f16 v1, v20, v24, v1
	;;#ASMEND
	v_mov_b32_e32 v4, 0
	;;#ASMSTART
	v_dot2_f32_f16 v1, v21, v25, v1
	;;#ASMEND
	v_mov_b32_e32 v5, 0
	;; [unrolled: 4-line block ×3, first 2 shown]
	;;#ASMSTART
	v_dot2_f32_f16 v1, v23, v27, v1
	;;#ASMEND
	s_waitcnt lgkmcnt(5)
	;;#ASMSTART
	v_dot2_f32_f16 v2, v20, v28, v2
	;;#ASMEND
	v_mov_b32_e32 v7, 0
	;;#ASMSTART
	v_dot2_f32_f16 v2, v21, v29, v2
	;;#ASMEND
	s_nop 0
	;;#ASMSTART
	v_dot2_f32_f16 v2, v22, v30, v2
	;;#ASMEND
	s_nop 0
	;;#ASMSTART
	v_dot2_f32_f16 v2, v23, v31, v2
	;;#ASMEND
	s_waitcnt lgkmcnt(4)
	;;#ASMSTART
	v_dot2_f32_f16 v3, v20, v32, v3
	;;#ASMEND
	s_nop 0
	;;#ASMSTART
	v_dot2_f32_f16 v3, v21, v33, v3
	;;#ASMEND
	s_nop 0
	;;#ASMSTART
	v_dot2_f32_f16 v3, v22, v34, v3
	;;#ASMEND
	s_nop 0
	;;#ASMSTART
	v_dot2_f32_f16 v3, v23, v35, v3
	;;#ASMEND
	s_waitcnt lgkmcnt(3)
	;;#ASMSTART
	v_dot2_f32_f16 v4, v20, v36, v4
	;;#ASMEND
	s_nop 0
	;; [unrolled: 16-line block ×5, first 2 shown]
	;;#ASMSTART
	v_dot2_f32_f16 v7, v21, v49, v7
	;;#ASMEND
	s_nop 0
	;;#ASMSTART
	v_dot2_f32_f16 v7, v22, v50, v7
	;;#ASMEND
	s_nop 0
	;;#ASMSTART
	v_dot2_f32_f16 v7, v23, v51, v7
	;;#ASMEND
	ds_read_b128 v[20:23], v170 offset:14352
	ds_read_b128 v[24:27], v171 offset:16
	;; [unrolled: 1-line block ×9, first 2 shown]
	s_waitcnt lgkmcnt(7)
	;;#ASMSTART
	v_dot2_f32_f16 v0, v20, v24, v0
	;;#ASMEND
	s_nop 0
	;;#ASMSTART
	v_dot2_f32_f16 v0, v21, v25, v0
	;;#ASMEND
	s_nop 0
	;;#ASMSTART
	v_dot2_f32_f16 v0, v22, v26, v0
	;;#ASMEND
	s_nop 0
	;;#ASMSTART
	v_dot2_f32_f16 v0, v23, v27, v0
	;;#ASMEND
	s_waitcnt lgkmcnt(6)
	;;#ASMSTART
	v_dot2_f32_f16 v1, v20, v28, v1
	;;#ASMEND
	s_nop 0
	;;#ASMSTART
	v_dot2_f32_f16 v1, v21, v29, v1
	;;#ASMEND
	s_nop 0
	;;#ASMSTART
	v_dot2_f32_f16 v1, v22, v30, v1
	;;#ASMEND
	s_nop 0
	;;#ASMSTART
	v_dot2_f32_f16 v1, v23, v31, v1
	;;#ASMEND
	s_waitcnt lgkmcnt(5)
	;;#ASMSTART
	v_dot2_f32_f16 v2, v20, v32, v2
	;;#ASMEND
	s_nop 0
	;;#ASMSTART
	v_dot2_f32_f16 v2, v21, v33, v2
	;;#ASMEND
	s_nop 0
	;;#ASMSTART
	v_dot2_f32_f16 v2, v22, v34, v2
	;;#ASMEND
	s_nop 0
	;;#ASMSTART
	v_dot2_f32_f16 v2, v23, v35, v2
	;;#ASMEND
	s_waitcnt lgkmcnt(4)
	;;#ASMSTART
	v_dot2_f32_f16 v3, v20, v36, v3
	;;#ASMEND
	s_nop 0
	;;#ASMSTART
	v_dot2_f32_f16 v3, v21, v37, v3
	;;#ASMEND
	s_nop 0
	;;#ASMSTART
	v_dot2_f32_f16 v3, v22, v38, v3
	;;#ASMEND
	s_nop 0
	;;#ASMSTART
	v_dot2_f32_f16 v3, v23, v39, v3
	;;#ASMEND
	s_waitcnt lgkmcnt(3)
	;;#ASMSTART
	v_dot2_f32_f16 v4, v20, v40, v4
	;;#ASMEND
	s_nop 0
	;;#ASMSTART
	v_dot2_f32_f16 v4, v21, v41, v4
	;;#ASMEND
	s_nop 0
	;;#ASMSTART
	v_dot2_f32_f16 v4, v22, v42, v4
	;;#ASMEND
	s_nop 0
	;;#ASMSTART
	v_dot2_f32_f16 v4, v23, v43, v4
	;;#ASMEND
	s_waitcnt lgkmcnt(2)
	;;#ASMSTART
	v_dot2_f32_f16 v5, v20, v44, v5
	;;#ASMEND
	s_nop 0
	;;#ASMSTART
	v_dot2_f32_f16 v5, v21, v45, v5
	;;#ASMEND
	s_nop 0
	;;#ASMSTART
	v_dot2_f32_f16 v5, v22, v46, v5
	;;#ASMEND
	s_nop 0
	;;#ASMSTART
	v_dot2_f32_f16 v5, v23, v47, v5
	;;#ASMEND
	s_waitcnt lgkmcnt(1)
	;;#ASMSTART
	v_dot2_f32_f16 v6, v20, v48, v6
	;;#ASMEND
	s_nop 0
	;;#ASMSTART
	v_dot2_f32_f16 v6, v21, v49, v6
	;;#ASMEND
	s_nop 0
	;;#ASMSTART
	v_dot2_f32_f16 v6, v22, v50, v6
	;;#ASMEND
	s_nop 0
	;;#ASMSTART
	v_dot2_f32_f16 v6, v23, v51, v6
	;;#ASMEND
	s_waitcnt lgkmcnt(0)
	;;#ASMSTART
	v_dot2_f32_f16 v7, v20, v52, v7
	;;#ASMEND
	s_nop 0
	;;#ASMSTART
	v_dot2_f32_f16 v7, v21, v53, v7
	;;#ASMEND
	s_nop 0
	;;#ASMSTART
	v_dot2_f32_f16 v7, v22, v54, v7
	;;#ASMEND
	s_nop 0
	;;#ASMSTART
	v_dot2_f32_f16 v7, v23, v55, v7
	;;#ASMEND
	ds_read_b128 v[20:23], v170 offset:14368
	ds_read_b128 v[24:27], v171 offset:32
	;; [unrolled: 1-line block ×9, first 2 shown]
	s_waitcnt lgkmcnt(7)
	;;#ASMSTART
	v_dot2_f32_f16 v0, v20, v24, v0
	;;#ASMEND
	s_nop 0
	;;#ASMSTART
	v_dot2_f32_f16 v0, v21, v25, v0
	;;#ASMEND
	s_nop 0
	;;#ASMSTART
	v_dot2_f32_f16 v0, v22, v26, v0
	;;#ASMEND
	s_nop 0
	;;#ASMSTART
	v_dot2_f32_f16 v0, v23, v27, v0
	;;#ASMEND
	s_waitcnt lgkmcnt(6)
	;;#ASMSTART
	v_dot2_f32_f16 v1, v20, v28, v1
	;;#ASMEND
	s_nop 0
	;;#ASMSTART
	v_dot2_f32_f16 v1, v21, v29, v1
	;;#ASMEND
	s_nop 0
	;;#ASMSTART
	v_dot2_f32_f16 v1, v22, v30, v1
	;;#ASMEND
	s_nop 0
	;;#ASMSTART
	v_dot2_f32_f16 v1, v23, v31, v1
	;;#ASMEND
	;; [unrolled: 16-line block ×8, first 2 shown]
	ds_read_b128 v[20:23], v170 offset:14384
	ds_read_b128 v[24:27], v171 offset:48
	;; [unrolled: 1-line block ×9, first 2 shown]
	s_waitcnt lgkmcnt(7)
	;;#ASMSTART
	v_dot2_f32_f16 v0, v20, v24, v0
	;;#ASMEND
	s_nop 0
	;;#ASMSTART
	v_dot2_f32_f16 v0, v21, v25, v0
	;;#ASMEND
	s_nop 0
	;;#ASMSTART
	v_dot2_f32_f16 v0, v22, v26, v0
	;;#ASMEND
	s_nop 0
	;;#ASMSTART
	v_dot2_f32_f16 v0, v23, v27, v0
	;;#ASMEND
	s_waitcnt lgkmcnt(6)
	;;#ASMSTART
	v_dot2_f32_f16 v1, v20, v28, v1
	;;#ASMEND
	s_nop 0
	;;#ASMSTART
	v_dot2_f32_f16 v1, v21, v29, v1
	;;#ASMEND
	s_nop 0
	;;#ASMSTART
	v_dot2_f32_f16 v1, v22, v30, v1
	;;#ASMEND
	s_nop 0
	;;#ASMSTART
	v_dot2_f32_f16 v1, v23, v31, v1
	;;#ASMEND
	;; [unrolled: 16-line block ×8, first 2 shown]
	ds_read_b128 v[20:23], v170 offset:14400
	ds_read_b128 v[24:27], v171 offset:64
	;; [unrolled: 1-line block ×9, first 2 shown]
	s_waitcnt lgkmcnt(7)
	;;#ASMSTART
	v_dot2_f32_f16 v0, v20, v24, v0
	;;#ASMEND
	s_nop 0
	;;#ASMSTART
	v_dot2_f32_f16 v0, v21, v25, v0
	;;#ASMEND
	s_nop 0
	;;#ASMSTART
	v_dot2_f32_f16 v0, v22, v26, v0
	;;#ASMEND
	s_nop 0
	;;#ASMSTART
	v_dot2_f32_f16 v0, v23, v27, v0
	;;#ASMEND
	s_waitcnt lgkmcnt(6)
	;;#ASMSTART
	v_dot2_f32_f16 v1, v20, v28, v1
	;;#ASMEND
	s_nop 0
	;;#ASMSTART
	v_dot2_f32_f16 v1, v21, v29, v1
	;;#ASMEND
	s_nop 0
	;;#ASMSTART
	v_dot2_f32_f16 v1, v22, v30, v1
	;;#ASMEND
	s_nop 0
	;;#ASMSTART
	v_dot2_f32_f16 v1, v23, v31, v1
	;;#ASMEND
	;; [unrolled: 16-line block ×8, first 2 shown]
	s_barrier
	s_and_saveexec_b64 s[10:11], vcc
	s_cbranch_execz .LBB33_29
; %bb.28:                               ;   in Loop: Header=BB33_23 Depth=1
	global_load_dwordx4 v[18:21], v[18:19], off offset:144
	s_waitcnt vmcnt(0)
	ds_write_b128 v172, v[18:21]
.LBB33_29:                              ;   in Loop: Header=BB33_23 Depth=1
	s_or_b64 exec, exec, s[10:11]
	s_and_saveexec_b64 s[10:11], s[4:5]
	s_cbranch_execz .LBB33_31
; %bb.30:                               ;   in Loop: Header=BB33_23 Depth=1
	v_lshl_add_u64 v[16:17], v[16:17], 0, v[116:117]
	global_load_dwordx4 v[16:19], v[16:17], off offset:80
	s_waitcnt vmcnt(0)
	ds_write_b128 v173, v[16:19]
.LBB33_31:                              ;   in Loop: Header=BB33_23 Depth=1
	s_or_b64 exec, exec, s[10:11]
	s_waitcnt lgkmcnt(0)
	s_barrier
	ds_read_b128 v[16:19], v170 offset:14336
	ds_read_b128 v[20:23], v171 offset:80
	;; [unrolled: 1-line block ×9, first 2 shown]
	s_waitcnt lgkmcnt(7)
	;;#ASMSTART
	v_dot2_f32_f16 v0, v16, v20, v0
	;;#ASMEND
	v_xor_b32_e32 v188, 16, v167
	;;#ASMSTART
	v_dot2_f32_f16 v0, v17, v21, v0
	;;#ASMEND
	v_xor_b32_e32 v189, 8, v167
	;; [unrolled: 4-line block ×3, first 2 shown]
	;;#ASMSTART
	v_dot2_f32_f16 v0, v19, v23, v0
	;;#ASMEND
	s_waitcnt lgkmcnt(6)
	;;#ASMSTART
	v_dot2_f32_f16 v1, v16, v24, v1
	;;#ASMEND
	v_xor_b32_e32 v186, 2, v167
	;;#ASMSTART
	v_dot2_f32_f16 v1, v17, v25, v1
	;;#ASMEND
	v_xor_b32_e32 v185, 1, v167
	;;#ASMSTART
	v_dot2_f32_f16 v1, v18, v26, v1
	;;#ASMEND
	v_lshlrev_b32_e32 v144, 2, v120
	;;#ASMSTART
	v_dot2_f32_f16 v1, v19, v27, v1
	;;#ASMEND
	s_waitcnt lgkmcnt(5)
	;;#ASMSTART
	v_dot2_f32_f16 v2, v16, v28, v2
	;;#ASMEND
	s_nop 0
	;;#ASMSTART
	v_dot2_f32_f16 v2, v17, v29, v2
	;;#ASMEND
	s_nop 0
	;;#ASMSTART
	v_dot2_f32_f16 v2, v18, v30, v2
	;;#ASMEND
	s_nop 0
	;;#ASMSTART
	v_dot2_f32_f16 v2, v19, v31, v2
	;;#ASMEND
	s_waitcnt lgkmcnt(4)
	;;#ASMSTART
	v_dot2_f32_f16 v3, v16, v32, v3
	;;#ASMEND
	s_nop 0
	;;#ASMSTART
	v_dot2_f32_f16 v3, v17, v33, v3
	;;#ASMEND
	s_nop 0
	;;#ASMSTART
	v_dot2_f32_f16 v3, v18, v34, v3
	;;#ASMEND
	s_nop 0
	;; [unrolled: 16-line block ×6, first 2 shown]
	;;#ASMSTART
	v_dot2_f32_f16 v7, v19, v51, v7
	;;#ASMEND
	ds_read_b128 v[16:19], v170 offset:14352
	ds_read_b128 v[20:23], v171 offset:96
	;; [unrolled: 1-line block ×9, first 2 shown]
	s_waitcnt lgkmcnt(7)
	;;#ASMSTART
	v_dot2_f32_f16 v0, v16, v20, v0
	;;#ASMEND
	s_nop 0
	;;#ASMSTART
	v_dot2_f32_f16 v0, v17, v21, v0
	;;#ASMEND
	s_nop 0
	;;#ASMSTART
	v_dot2_f32_f16 v0, v18, v22, v0
	;;#ASMEND
	s_nop 0
	;;#ASMSTART
	v_dot2_f32_f16 v0, v19, v23, v0
	;;#ASMEND
	s_waitcnt lgkmcnt(6)
	;;#ASMSTART
	v_dot2_f32_f16 v1, v16, v24, v1
	;;#ASMEND
	s_nop 0
	;;#ASMSTART
	v_dot2_f32_f16 v1, v17, v25, v1
	;;#ASMEND
	s_nop 0
	;;#ASMSTART
	v_dot2_f32_f16 v1, v18, v26, v1
	;;#ASMEND
	s_nop 0
	;;#ASMSTART
	v_dot2_f32_f16 v1, v19, v27, v1
	;;#ASMEND
	;; [unrolled: 16-line block ×8, first 2 shown]
	ds_read_b128 v[16:19], v170 offset:14368
	ds_read_b128 v[20:23], v171 offset:112
	;; [unrolled: 1-line block ×9, first 2 shown]
	s_waitcnt lgkmcnt(7)
	;;#ASMSTART
	v_dot2_f32_f16 v0, v16, v20, v0
	;;#ASMEND
	s_nop 0
	;;#ASMSTART
	v_dot2_f32_f16 v0, v17, v21, v0
	;;#ASMEND
	s_nop 0
	;;#ASMSTART
	v_dot2_f32_f16 v0, v18, v22, v0
	;;#ASMEND
	s_nop 0
	;;#ASMSTART
	v_dot2_f32_f16 v0, v19, v23, v0
	;;#ASMEND
	s_waitcnt lgkmcnt(6)
	;;#ASMSTART
	v_dot2_f32_f16 v1, v16, v24, v1
	;;#ASMEND
	s_nop 0
	;;#ASMSTART
	v_dot2_f32_f16 v1, v17, v25, v1
	;;#ASMEND
	s_nop 0
	;;#ASMSTART
	v_dot2_f32_f16 v1, v18, v26, v1
	;;#ASMEND
	s_nop 0
	;;#ASMSTART
	v_dot2_f32_f16 v1, v19, v27, v1
	;;#ASMEND
	;; [unrolled: 16-line block ×8, first 2 shown]
	ds_read_b128 v[16:19], v170 offset:14384
	ds_read_b128 v[20:23], v171 offset:128
	;; [unrolled: 1-line block ×9, first 2 shown]
	s_waitcnt lgkmcnt(7)
	;;#ASMSTART
	v_dot2_f32_f16 v0, v16, v20, v0
	;;#ASMEND
	s_nop 0
	;;#ASMSTART
	v_dot2_f32_f16 v0, v17, v21, v0
	;;#ASMEND
	s_nop 0
	;;#ASMSTART
	v_dot2_f32_f16 v0, v18, v22, v0
	;;#ASMEND
	s_nop 0
	;;#ASMSTART
	v_dot2_f32_f16 v0, v19, v23, v0
	;;#ASMEND
	s_waitcnt lgkmcnt(6)
	;;#ASMSTART
	v_dot2_f32_f16 v1, v16, v24, v1
	;;#ASMEND
	s_nop 0
	;;#ASMSTART
	v_dot2_f32_f16 v1, v17, v25, v1
	;;#ASMEND
	s_nop 0
	;;#ASMSTART
	v_dot2_f32_f16 v1, v18, v26, v1
	;;#ASMEND
	s_nop 0
	;;#ASMSTART
	v_dot2_f32_f16 v1, v19, v27, v1
	;;#ASMEND
	;; [unrolled: 16-line block ×8, first 2 shown]
	ds_read_b128 v[16:19], v170 offset:14400
	ds_read_b128 v[20:23], v171 offset:144
	;; [unrolled: 1-line block ×9, first 2 shown]
	s_waitcnt lgkmcnt(7)
	;;#ASMSTART
	v_dot2_f32_f16 v0, v16, v20, v0
	;;#ASMEND
	v_add_u32_e32 v20, s54, v151
	;;#ASMSTART
	v_dot2_f32_f16 v0, v17, v21, v0
	;;#ASMEND
	s_nop 0
	;;#ASMSTART
	v_dot2_f32_f16 v0, v18, v22, v0
	;;#ASMEND
	s_nop 0
	;;#ASMSTART
	v_dot2_f32_f16 v0, v19, v23, v0
	;;#ASMEND
	s_waitcnt lgkmcnt(6)
	;;#ASMSTART
	v_dot2_f32_f16 v1, v16, v24, v1
	;;#ASMEND
	s_nop 0
	;;#ASMSTART
	v_dot2_f32_f16 v1, v17, v25, v1
	;;#ASMEND
	s_nop 0
	;;#ASMSTART
	v_dot2_f32_f16 v1, v18, v26, v1
	;;#ASMEND
	s_nop 0
	;;#ASMSTART
	v_dot2_f32_f16 v1, v19, v27, v1
	;;#ASMEND
	s_waitcnt lgkmcnt(5)
	;;#ASMSTART
	v_dot2_f32_f16 v2, v16, v28, v2
	;;#ASMEND
	s_nop 0
	;; [unrolled: 16-line block ×6, first 2 shown]
	;;#ASMSTART
	v_dot2_f32_f16 v6, v17, v45, v6
	;;#ASMEND
	s_nop 0
	;;#ASMSTART
	v_dot2_f32_f16 v6, v18, v46, v6
	;;#ASMEND
	s_nop 0
	;;#ASMSTART
	v_dot2_f32_f16 v6, v19, v47, v6
	;;#ASMEND
	s_waitcnt lgkmcnt(0)
	;;#ASMSTART
	v_dot2_f32_f16 v7, v16, v48, v7
	;;#ASMEND
	v_add_u32_e32 v16, v20, v174
	;;#ASMSTART
	v_dot2_f32_f16 v7, v17, v49, v7
	;;#ASMEND
	v_ashrrev_i32_e32 v17, 31, v16
	;;#ASMSTART
	v_dot2_f32_f16 v7, v18, v50, v7
	;;#ASMEND
	v_add_u32_e32 v18, v20, v175
	;;#ASMSTART
	v_dot2_f32_f16 v7, v19, v51, v7
	;;#ASMEND
	v_ashrrev_i32_e32 v19, 31, v18
	v_lshl_add_u64 v[18:19], v[18:19], 1, s[68:69]
	v_lshl_add_u64 v[16:17], v[16:17], 1, s[68:69]
	flat_load_ushort v21, v[18:19]
	flat_load_ushort v22, v[16:17]
	v_and_b32_e32 v16, 0x60, v167
	v_add_u32_e32 v184, 32, v16
	v_cmp_lt_i32_e64 s[10:11], v188, v184
	v_add_u32_e32 v18, v20, v177
	v_ashrrev_i32_e32 v19, 31, v18
	v_cndmask_b32_e64 v16, v167, v188, s[10:11]
	v_cmp_lt_i32_e64 s[10:11], v189, v184
	v_lshlrev_b32_e32 v23, 2, v16
	v_lshl_add_u64 v[18:19], v[18:19], 1, s[68:69]
	v_cndmask_b32_e64 v16, v167, v189, s[10:11]
	v_cmp_lt_i32_e64 s[10:11], v187, v184
	v_lshlrev_b32_e32 v24, 2, v16
	s_nop 0
	v_cndmask_b32_e64 v16, v167, v187, s[10:11]
	v_cmp_lt_i32_e64 s[10:11], v186, v184
	v_lshlrev_b32_e32 v25, 2, v16
	s_nop 0
	;; [unrolled: 4-line block ×3, first 2 shown]
	v_cndmask_b32_e64 v16, v167, v185, s[10:11]
	v_lshlrev_b32_e32 v27, 2, v16
	v_add_u32_e32 v16, v20, v176
	v_ashrrev_i32_e32 v17, 31, v16
	v_lshl_add_u64 v[16:17], v[16:17], 1, s[68:69]
	flat_load_ushort v20, v[16:17]
	flat_load_ushort v28, v[18:19]
	s_waitcnt lgkmcnt(0)
	s_barrier
	s_waitcnt vmcnt(0)
	v_cvt_f32_f16_e32 v16, v21
	v_cvt_f32_f16_e32 v18, v22
	v_max_f32_e32 v21, v15, v15
	v_pk_add_f32 v[16:17], v[2:3], v[16:17] op_sel_hi:[1,0]
	s_nop 0
	v_pk_add_f32 v[2:3], v[16:17], s[2:3] op_sel_hi:[1,0]
	v_pk_add_f32 v[18:19], v[0:1], v[18:19] op_sel_hi:[1,0]
	v_max_f32_e32 v3, v21, v3
	v_max_f32_e32 v21, v14, v14
	v_pk_add_f32 v[0:1], v[18:19], s[2:3] op_sel_hi:[1,0]
	v_max_f32_e32 v2, v21, v2
	v_max_f32_e32 v21, v9, v9
	;; [unrolled: 1-line block ×5, first 2 shown]
	ds_bpermute_b32 v21, v23, v2
	ds_bpermute_b32 v30, v23, v1
	;; [unrolled: 1-line block ×4, first 2 shown]
	s_waitcnt lgkmcnt(3)
	v_max_f32_e32 v21, v21, v21
	v_max_f32_e32 v2, v2, v21
	s_waitcnt lgkmcnt(2)
	v_max_f32_e32 v21, v30, v30
	v_max_f32_e32 v1, v1, v21
	;; [unrolled: 3-line block ×3, first 2 shown]
	ds_bpermute_b32 v21, v24, v2
	s_waitcnt lgkmcnt(1)
	v_max_f32_e32 v22, v22, v22
	ds_bpermute_b32 v30, v24, v1
	v_max_f32_e32 v3, v3, v22
	ds_bpermute_b32 v29, v24, v0
	ds_bpermute_b32 v22, v24, v3
	s_waitcnt lgkmcnt(3)
	v_max_f32_e32 v21, v21, v21
	v_max_f32_e32 v2, v2, v21
	s_waitcnt lgkmcnt(2)
	v_max_f32_e32 v21, v30, v30
	v_max_f32_e32 v1, v1, v21
	s_waitcnt lgkmcnt(1)
	v_max_f32_e32 v21, v29, v29
	s_waitcnt lgkmcnt(0)
	v_max_f32_e32 v22, v22, v22
	v_max_f32_e32 v0, v0, v21
	ds_bpermute_b32 v21, v25, v2
	v_max_f32_e32 v3, v3, v22
	ds_bpermute_b32 v30, v25, v1
	ds_bpermute_b32 v22, v25, v3
	;; [unrolled: 1-line block ×3, first 2 shown]
	s_waitcnt lgkmcnt(3)
	v_max_f32_e32 v21, v21, v21
	v_max_f32_e32 v2, v2, v21
	s_waitcnt lgkmcnt(2)
	v_max_f32_e32 v21, v30, v30
	s_waitcnt lgkmcnt(1)
	v_max_f32_e32 v22, v22, v22
	v_max_f32_e32 v1, v1, v21
	s_waitcnt lgkmcnt(0)
	v_max_f32_e32 v21, v29, v29
	v_max_f32_e32 v3, v3, v22
	;; [unrolled: 1-line block ×3, first 2 shown]
	ds_bpermute_b32 v21, v26, v2
	ds_bpermute_b32 v22, v26, v3
	;; [unrolled: 1-line block ×4, first 2 shown]
	s_waitcnt lgkmcnt(3)
	v_max_f32_e32 v21, v21, v21
	s_waitcnt lgkmcnt(2)
	v_max_f32_e32 v22, v22, v22
	v_max_f32_e32 v2, v2, v21
	s_waitcnt lgkmcnt(1)
	v_max_f32_e32 v21, v30, v30
	v_max_f32_e32 v3, v3, v22
	;; [unrolled: 1-line block ×3, first 2 shown]
	s_waitcnt lgkmcnt(0)
	v_max_f32_e32 v21, v29, v29
	ds_bpermute_b32 v22, v27, v3
	v_max_f32_e32 v0, v0, v21
	ds_bpermute_b32 v21, v27, v2
	ds_bpermute_b32 v30, v27, v1
	;; [unrolled: 1-line block ×3, first 2 shown]
	s_waitcnt lgkmcnt(3)
	v_max_f32_e32 v22, v22, v22
	v_max_f32_e32 v3, v3, v22
	s_waitcnt lgkmcnt(2)
	v_max_f32_e32 v21, v21, v21
	v_max_f32_e32 v2, v2, v21
	;; [unrolled: 3-line block ×3, first 2 shown]
	s_waitcnt lgkmcnt(0)
	v_max_f32_e32 v21, v29, v29
	v_sub_f32_e32 v17, v17, v3
	v_max_f32_e32 v0, v0, v21
	v_mul_f32_e32 v21, 0x3fb8aa3b, v17
	v_fma_f32 v22, v17, s60, -v21
	v_rndne_f32_e32 v29, v21
	v_fmac_f32_e32 v22, 0x32a5705f, v17
	v_sub_f32_e32 v21, v21, v29
	v_add_f32_e32 v21, v21, v22
	v_exp_f32_e32 v21, v21
	v_cvt_i32_f32_e32 v22, v29
	v_sub_f32_e32 v16, v16, v2
	v_cmp_ngt_f32_e64 s[10:11], s61, v17
	v_sub_f32_e32 v19, v19, v1
	v_ldexp_f32 v21, v21, v22
	v_mul_f32_e32 v22, 0x3fb8aa3b, v16
	v_fma_f32 v29, v16, s60, -v22
	v_rndne_f32_e32 v30, v22
	v_fmac_f32_e32 v29, 0x32a5705f, v16
	v_sub_f32_e32 v22, v22, v30
	v_add_f32_e32 v22, v22, v29
	v_exp_f32_e32 v22, v22
	v_cvt_i32_f32_e32 v29, v30
	v_cndmask_b32_e64 v21, 0, v21, s[10:11]
	v_cmp_nlt_f32_e64 s[10:11], s74, v17
	v_sub_f32_e32 v18, v18, v0
	v_ldexp_f32 v17, v22, v29
	v_cndmask_b32_e64 v129, v183, v21, s[10:11]
	v_mul_f32_e32 v21, 0x3fb8aa3b, v19
	v_fma_f32 v22, v19, s60, -v21
	v_rndne_f32_e32 v29, v21
	v_fmac_f32_e32 v22, 0x32a5705f, v19
	v_sub_f32_e32 v21, v21, v29
	v_add_f32_e32 v21, v21, v22
	v_exp_f32_e32 v21, v21
	v_cvt_i32_f32_e32 v22, v29
	v_cmp_ngt_f32_e64 s[10:11], s61, v16
	s_nop 1
	v_cndmask_b32_e64 v17, 0, v17, s[10:11]
	v_cmp_nlt_f32_e64 s[10:11], s74, v16
	v_ldexp_f32 v16, v21, v22
	s_nop 0
	v_cndmask_b32_e64 v128, v183, v17, s[10:11]
	v_mul_f32_e32 v17, 0x3fb8aa3b, v18
	v_fma_f32 v21, v18, s60, -v17
	v_rndne_f32_e32 v22, v17
	v_fmac_f32_e32 v21, 0x32a5705f, v18
	v_sub_f32_e32 v17, v17, v22
	v_add_f32_e32 v17, v17, v21
	v_exp_f32_e32 v17, v17
	v_cvt_i32_f32_e32 v21, v22
	v_cmp_ngt_f32_e64 s[10:11], s61, v19
	v_max_f32_e32 v22, v11, v11
	s_nop 0
	v_cndmask_b32_e64 v16, 0, v16, s[10:11]
	v_cmp_nlt_f32_e64 s[10:11], s74, v19
	s_nop 1
	v_cndmask_b32_e64 v131, v183, v16, s[10:11]
	v_ldexp_f32 v16, v17, v21
	v_cmp_ngt_f32_e64 s[10:11], s61, v18
	v_cvt_f16_f32_e32 v21, v129
	s_nop 0
	v_cndmask_b32_e64 v16, 0, v16, s[10:11]
	v_cmp_nlt_f32_e64 s[10:11], s74, v18
	v_cvt_f32_f16_e32 v18, v20
	v_cvt_f16_f32_e32 v20, v131
	v_cndmask_b32_e64 v130, v183, v16, s[10:11]
	v_cvt_f32_f16_e32 v16, v28
	v_pk_add_f32 v[18:19], v[4:5], v[18:19] op_sel_hi:[1,0]
	v_pk_add_f32 v[16:17], v[6:7], v[16:17] op_sel_hi:[1,0]
	s_nop 0
	v_pk_add_f32 v[6:7], v[16:17], s[2:3] op_sel_hi:[1,0]
	v_pk_add_f32 v[4:5], v[18:19], s[2:3] op_sel_hi:[1,0]
	v_max_f32_e32 v7, v22, v7
	v_max_f32_e32 v22, v10, v10
	;; [unrolled: 1-line block ×7, first 2 shown]
	ds_bpermute_b32 v22, v23, v6
	ds_bpermute_b32 v28, v23, v7
	ds_bpermute_b32 v29, v23, v4
	ds_bpermute_b32 v23, v23, v5
	s_waitcnt lgkmcnt(3)
	v_max_f32_e32 v22, v22, v22
	v_max_f32_e32 v6, v6, v22
	s_waitcnt lgkmcnt(2)
	v_max_f32_e32 v28, v28, v28
	s_waitcnt lgkmcnt(0)
	v_max_f32_e32 v22, v23, v23
	v_max_f32_e32 v5, v5, v22
	v_max_f32_e32 v22, v29, v29
	v_max_f32_e32 v7, v7, v28
	v_max_f32_e32 v4, v4, v22
	ds_bpermute_b32 v22, v24, v6
	ds_bpermute_b32 v23, v24, v7
	ds_bpermute_b32 v28, v24, v4
	ds_bpermute_b32 v24, v24, v5
	s_waitcnt lgkmcnt(3)
	v_max_f32_e32 v22, v22, v22
	v_max_f32_e32 v6, v6, v22
	s_waitcnt lgkmcnt(2)
	v_max_f32_e32 v23, v23, v23
	s_waitcnt lgkmcnt(0)
	v_max_f32_e32 v22, v24, v24
	v_max_f32_e32 v5, v5, v22
	v_max_f32_e32 v22, v28, v28
	v_max_f32_e32 v7, v7, v23
	v_max_f32_e32 v4, v4, v22
	;; [unrolled: 15-line block ×3, first 2 shown]
	ds_bpermute_b32 v22, v26, v6
	ds_bpermute_b32 v23, v26, v7
	;; [unrolled: 1-line block ×4, first 2 shown]
	s_waitcnt lgkmcnt(3)
	v_max_f32_e32 v22, v22, v22
	s_waitcnt lgkmcnt(2)
	v_max_f32_e32 v23, v23, v23
	v_max_f32_e32 v6, v6, v22
	s_waitcnt lgkmcnt(1)
	v_max_f32_e32 v22, v25, v25
	v_max_f32_e32 v7, v7, v23
	;; [unrolled: 1-line block ×3, first 2 shown]
	s_waitcnt lgkmcnt(0)
	v_max_f32_e32 v22, v24, v24
	ds_bpermute_b32 v23, v27, v7
	v_max_f32_e32 v4, v4, v22
	ds_bpermute_b32 v22, v27, v6
	ds_bpermute_b32 v25, v27, v5
	;; [unrolled: 1-line block ×3, first 2 shown]
	s_waitcnt lgkmcnt(3)
	v_max_f32_e32 v23, v23, v23
	v_max_f32_e32 v7, v7, v23
	s_waitcnt lgkmcnt(2)
	v_max_f32_e32 v22, v22, v22
	v_max_f32_e32 v6, v6, v22
	;; [unrolled: 3-line block ×3, first 2 shown]
	s_waitcnt lgkmcnt(0)
	v_max_f32_e32 v22, v24, v24
	v_sub_f32_e32 v17, v17, v7
	v_max_f32_e32 v4, v4, v22
	v_mul_f32_e32 v22, 0x3fb8aa3b, v17
	v_fma_f32 v23, v17, s60, -v22
	v_rndne_f32_e32 v24, v22
	v_fmac_f32_e32 v23, 0x32a5705f, v17
	v_sub_f32_e32 v22, v22, v24
	v_add_f32_e32 v22, v22, v23
	v_exp_f32_e32 v22, v22
	v_cvt_i32_f32_e32 v23, v24
	v_sub_f32_e32 v16, v16, v6
	v_cmp_ngt_f32_e64 s[10:11], s61, v17
	v_sub_f32_e32 v19, v19, v5
	v_ldexp_f32 v22, v22, v23
	v_mul_f32_e32 v23, 0x3fb8aa3b, v16
	v_fma_f32 v24, v16, s60, -v23
	v_rndne_f32_e32 v25, v23
	v_fmac_f32_e32 v24, 0x32a5705f, v16
	v_sub_f32_e32 v23, v23, v25
	v_add_f32_e32 v23, v23, v24
	v_exp_f32_e32 v23, v23
	v_cvt_i32_f32_e32 v24, v25
	v_cndmask_b32_e64 v22, 0, v22, s[10:11]
	v_cmp_nlt_f32_e64 s[10:11], s74, v17
	v_sub_f32_e32 v18, v18, v4
	v_ldexp_f32 v17, v23, v24
	v_cndmask_b32_e64 v133, v183, v22, s[10:11]
	v_mul_f32_e32 v22, 0x3fb8aa3b, v19
	v_fma_f32 v23, v19, s60, -v22
	v_rndne_f32_e32 v24, v22
	v_fmac_f32_e32 v23, 0x32a5705f, v19
	v_sub_f32_e32 v22, v22, v24
	v_add_f32_e32 v22, v22, v23
	v_exp_f32_e32 v22, v22
	v_cvt_i32_f32_e32 v23, v24
	v_cmp_ngt_f32_e64 s[10:11], s61, v16
	v_cvt_f16_f32_e32 v24, v130
	s_nop 0
	v_cndmask_b32_e64 v17, 0, v17, s[10:11]
	v_cmp_nlt_f32_e64 s[10:11], s74, v16
	v_ldexp_f32 v16, v22, v23
	s_nop 0
	v_cndmask_b32_e64 v132, v183, v17, s[10:11]
	v_mul_f32_e32 v17, 0x3fb8aa3b, v18
	v_fma_f32 v22, v18, s60, -v17
	v_rndne_f32_e32 v23, v17
	v_fmac_f32_e32 v22, 0x32a5705f, v18
	v_sub_f32_e32 v17, v17, v23
	v_add_f32_e32 v17, v17, v22
	v_exp_f32_e32 v17, v17
	v_cvt_i32_f32_e32 v22, v23
	v_cmp_ngt_f32_e64 s[10:11], s61, v19
	v_cvt_f16_f32_e32 v23, v128
	s_nop 0
	v_cndmask_b32_e64 v16, 0, v16, s[10:11]
	v_cmp_nlt_f32_e64 s[10:11], s74, v19
	s_nop 1
	v_cndmask_b32_e64 v135, v183, v16, s[10:11]
	v_ldexp_f32 v16, v17, v22
	v_cmp_ngt_f32_e64 s[10:11], s61, v18
	v_cvt_f16_f32_e32 v17, v133
	s_nop 0
	v_cndmask_b32_e64 v16, 0, v16, s[10:11]
	v_cmp_nlt_f32_e64 s[10:11], s74, v18
	v_cvt_f16_f32_e32 v18, v132
	v_pack_b32_f16 v19, v18, v17
	v_cndmask_b32_e64 v134, v183, v16, s[10:11]
	v_cvt_f16_f32_e32 v16, v135
	v_cvt_f16_f32_e32 v22, v134
	s_mul_hi_i32 s11, s54, s55
	s_mul_i32 s10, s54, s55
	s_lshl_b64 s[10:11], s[10:11], 2
	s_add_u32 s10, s72, s10
	v_pack_b32_f16 v18, v22, v16
	v_pack_b32_f16 v17, v23, v21
	;; [unrolled: 1-line block ×3, first 2 shown]
	s_addc_u32 s11, s73, s11
	ds_write_b128 v182, v[16:19]
	s_and_saveexec_b64 s[12:13], s[6:7]
	s_cbranch_execz .LBB33_33
; %bb.32:                               ;   in Loop: Header=BB33_23 Depth=1
	v_lshl_add_u64 v[16:17], v[122:123], 2, s[10:11]
	v_mov_b32_e32 v145, v117
	v_lshl_add_u64 v[16:17], v[16:17], 0, v[144:145]
	global_load_dwordx4 v[16:19], v[16:17], off offset:128
	s_waitcnt vmcnt(0)
	ds_write_b128 v180, v[16:19]
.LBB33_33:                              ;   in Loop: Header=BB33_23 Depth=1
	s_or_b64 exec, exec, s[12:13]
	v_lshlrev_b32_e32 v146, 2, v124
	s_and_saveexec_b64 s[12:13], s[8:9]
	s_cbranch_execz .LBB33_35
; %bb.34:                               ;   in Loop: Header=BB33_23 Depth=1
	v_lshl_add_u64 v[16:17], v[126:127], 2, s[10:11]
	v_mov_b32_e32 v147, v117
	v_lshl_add_u64 v[16:17], v[16:17], 0, v[146:147]
	global_load_dwordx4 v[16:19], v[16:17], off
	s_waitcnt vmcnt(0)
	ds_write_b128 v181, v[16:19]
.LBB33_35:                              ;   in Loop: Header=BB33_23 Depth=1
	s_or_b64 exec, exec, s[12:13]
	v_add_u32_e32 v192, 0x3800, v179
	s_waitcnt lgkmcnt(0)
	s_barrier
	ds_read2_b64 v[92:95], v192 offset1:20
	ds_read_b128 v[100:103], v178
	ds_read_b128 v[96:99], v178 offset:16
	ds_read_b128 v[88:91], v178 offset:32
	;; [unrolled: 1-line block ×3, first 2 shown]
	ds_read2_b64 v[84:87], v192 offset0:40 offset1:60
	ds_read2_b64 v[68:71], v192 offset0:80 offset1:100
	ds_read_b128 v[76:79], v178 offset:64
	ds_read_b128 v[72:75], v178 offset:80
	ds_read2_b64 v[56:59], v192 offset0:120 offset1:140
	ds_read_b128 v[64:67], v178 offset:96
	ds_read_b128 v[60:63], v178 offset:112
	;; [unrolled: 3-line block ×4, first 2 shown]
	v_add_u32_e32 v191, 0x3c00, v179
	v_add_u32_e32 v190, 0x4000, v179
	v_pk_add_f32 v[136:137], v[8:9], v[0:1] neg_lo:[0,1] neg_hi:[0,1]
	v_pk_add_f32 v[138:139], v[14:15], v[2:3] neg_lo:[0,1] neg_hi:[0,1]
	v_pk_add_f32 v[140:141], v[12:13], v[4:5] neg_lo:[0,1] neg_hi:[0,1]
	v_pk_add_f32 v[142:143], v[10:11], v[6:7] neg_lo:[0,1] neg_hi:[0,1]
	ds_read2_b64 v[20:23], v191 offset0:112 offset1:132
	ds_read_b128 v[28:31], v178 offset:192
	ds_read_b128 v[24:27], v178 offset:208
	ds_read2_b64 v[8:11], v190 offset0:24 offset1:44
	ds_read_b128 v[16:19], v178 offset:224
	ds_read_b128 v[12:15], v178 offset:240
	s_or_b32 s48, s54, 16
	s_mul_hi_i32 s49, s48, s55
	s_mul_i32 s48, s48, s55
	s_lshl_b64 s[48:49], s[48:49], 2
	s_add_u32 s48, s72, s48
	v_cmp_ngt_f32_e64 s[40:41], s61, v137
	v_cmp_nlt_f32_e64 s[42:43], s74, v137
	v_cmp_ngt_f32_e64 s[36:37], s61, v136
	v_cmp_nlt_f32_e64 s[38:39], s74, v136
	;; [unrolled: 2-line block ×8, first 2 shown]
	s_addc_u32 s49, s73, s49
	s_waitcnt lgkmcnt(0)
	s_barrier
	s_and_saveexec_b64 s[50:51], s[6:7]
	s_cbranch_execz .LBB33_37
; %bb.36:                               ;   in Loop: Header=BB33_23 Depth=1
	v_lshl_add_u64 v[194:195], v[122:123], 2, s[48:49]
	v_mov_b32_e32 v145, v117
	v_lshl_add_u64 v[144:145], v[194:195], 0, v[144:145]
	global_load_dwordx4 v[194:197], v[144:145], off offset:128
	s_waitcnt vmcnt(0)
	ds_write_b128 v180, v[194:197]
.LBB33_37:                              ;   in Loop: Header=BB33_23 Depth=1
	s_or_b64 exec, exec, s[50:51]
	s_and_saveexec_b64 s[50:51], s[8:9]
	s_cbranch_execz .LBB33_39
; %bb.38:                               ;   in Loop: Header=BB33_23 Depth=1
	v_lshl_add_u64 v[144:145], v[126:127], 2, s[48:49]
	v_mov_b32_e32 v147, v117
	v_lshl_add_u64 v[144:145], v[144:145], 0, v[146:147]
	global_load_dwordx4 v[144:147], v[144:145], off
	s_waitcnt vmcnt(0)
	ds_write_b128 v181, v[144:147]
.LBB33_39:                              ;   in Loop: Header=BB33_23 Depth=1
	s_or_b64 exec, exec, s[50:51]
	v_mul_f32_e32 v144, 0x3fb8aa3b, v137
	v_fma_f32 v145, v137, s60, -v144
	v_fmac_f32_e32 v145, 0x32a5705f, v137
	v_rndne_f32_e32 v137, v144
	v_sub_f32_e32 v144, v144, v137
	v_add_f32_e32 v144, v144, v145
	v_mul_f32_e32 v145, 0x3fb8aa3b, v136
	v_fma_f32 v146, v136, s60, -v145
	v_fmac_f32_e32 v146, 0x32a5705f, v136
	v_rndne_f32_e32 v136, v145
	v_sub_f32_e32 v145, v145, v136
	v_exp_f32_e32 v144, v144
	v_cvt_i32_f32_e32 v137, v137
	v_add_f32_e32 v145, v145, v146
	v_exp_f32_e32 v145, v145
	v_cvt_i32_f32_e32 v136, v136
	v_ldexp_f32 v137, v144, v137
	v_mul_f32_e32 v144, 0x3fb8aa3b, v139
	v_cndmask_b32_e64 v137, 0, v137, s[40:41]
	v_ldexp_f32 v136, v145, v136
	v_fma_f32 v145, v139, s60, -v144
	v_fmac_f32_e32 v145, 0x32a5705f, v139
	v_rndne_f32_e32 v139, v144
	v_sub_f32_e32 v144, v144, v139
	v_add_f32_e32 v144, v144, v145
	v_mul_f32_e32 v145, 0x3fb8aa3b, v138
	v_fma_f32 v146, v138, s60, -v145
	v_fmac_f32_e32 v146, 0x32a5705f, v138
	v_rndne_f32_e32 v138, v145
	v_sub_f32_e32 v145, v145, v138
	v_exp_f32_e32 v144, v144
	v_cvt_i32_f32_e32 v139, v139
	v_add_f32_e32 v145, v145, v146
	v_exp_f32_e32 v145, v145
	v_cvt_i32_f32_e32 v138, v138
	v_ldexp_f32 v139, v144, v139
	v_mul_f32_e32 v144, 0x3fb8aa3b, v141
	v_cndmask_b32_e64 v137, v183, v137, s[42:43]
	v_ldexp_f32 v138, v145, v138
	v_fma_f32 v145, v141, s60, -v144
	v_fmac_f32_e32 v145, 0x32a5705f, v141
	v_rndne_f32_e32 v141, v144
	v_sub_f32_e32 v144, v144, v141
	v_add_f32_e32 v144, v144, v145
	v_mul_f32_e32 v145, 0x3fb8aa3b, v140
	v_fma_f32 v146, v140, s60, -v145
	v_fmac_f32_e32 v146, 0x32a5705f, v140
	v_rndne_f32_e32 v140, v145
	v_sub_f32_e32 v145, v145, v140
	v_exp_f32_e32 v144, v144
	v_cvt_i32_f32_e32 v141, v141
	v_add_f32_e32 v145, v145, v146
	v_exp_f32_e32 v145, v145
	v_cvt_i32_f32_e32 v140, v140
	v_ldexp_f32 v141, v144, v141
	v_mul_f32_e32 v144, 0x3fb8aa3b, v143
	v_cndmask_b32_e64 v138, 0, v138, s[26:27]
	v_ldexp_f32 v140, v145, v140
	v_fma_f32 v145, v143, s60, -v144
	v_fmac_f32_e32 v145, 0x32a5705f, v143
	v_rndne_f32_e32 v143, v144
	v_sub_f32_e32 v144, v144, v143
	v_add_f32_e32 v144, v144, v145
	v_mul_f32_e32 v145, 0x3fb8aa3b, v142
	v_fma_f32 v146, v142, s60, -v145
	v_fmac_f32_e32 v146, 0x32a5705f, v142
	v_rndne_f32_e32 v142, v145
	v_sub_f32_e32 v145, v145, v142
	v_add_f32_e32 v145, v145, v146
	v_exp_f32_e32 v145, v145
	v_cvt_i32_f32_e32 v142, v142
	v_cndmask_b32_e64 v138, v183, v138, s[28:29]
	v_exp_f32_e32 v144, v144
	v_cvt_i32_f32_e32 v143, v143
	v_ldexp_f32 v142, v145, v142
	v_cvt_f16_f32_e32 v145, v137
	v_cvt_f16_f32_e32 v147, v138
	v_cndmask_b32_e64 v136, 0, v136, s[36:37]
	v_cndmask_b32_e64 v139, 0, v139, s[30:31]
	;; [unrolled: 1-line block ×6, first 2 shown]
	v_ldexp_f32 v143, v144, v143
	v_cvt_f16_f32_e32 v144, v136
	v_pk_mul_f16 v166, v145, v166 op_sel_hi:[0,1]
	v_pk_mul_f16 v145, v145, v165 op_sel_hi:[0,1]
	v_cvt_f16_f32_e32 v165, v139
	v_pk_mul_f16 v164, v147, v164 op_sel_hi:[0,1]
	v_pk_mul_f16 v147, v147, v163 op_sel_hi:[0,1]
	v_cvt_f16_f32_e32 v163, v140
	v_cndmask_b32_e64 v141, 0, v141, s[22:23]
	v_cndmask_b32_e64 v143, 0, v143, s[14:15]
	;; [unrolled: 1-line block ×6, first 2 shown]
	v_pk_mul_f16 v146, v144, v168 op_sel_hi:[0,1]
	v_pk_mul_f16 v161, v165, v161 op_sel_hi:[0,1]
	;; [unrolled: 1-line block ×3, first 2 shown]
	v_cvt_f16_f32_e32 v165, v141
	v_pk_mul_f16 v159, v163, v159 op_sel_hi:[0,1]
	v_pk_mul_f16 v160, v163, v160 op_sel_hi:[0,1]
	v_cvt_f16_f32_e32 v163, v142
	v_cvt_f16_f32_e32 v168, v143
	v_pk_mul_f16 v144, v144, v169 op_sel_hi:[0,1]
	v_pk_mul_f16 v157, v165, v157 op_sel_hi:[0,1]
	;; [unrolled: 1-line block ×7, first 2 shown]
	v_pk_fma_f16 v146, v92, v100, v146 op_sel_hi:[1,0,1]
	v_pk_fma_f16 v163, v92, v100, v166 op_sel:[0,1,0]
	v_pk_fma_f16 v164, v92, v101, v164 op_sel_hi:[1,0,1]
	v_pk_fma_f16 v161, v92, v101, v161 op_sel:[0,1,0]
	;; [unrolled: 2-line block ×128, first 2 shown]
	s_waitcnt lgkmcnt(0)
	s_barrier
	ds_read2_b64 v[8:11], v192 offset1:20
	ds_read_b128 v[12:15], v178 offset:256
	ds_read_b128 v[16:19], v178 offset:272
	;; [unrolled: 1-line block ×4, first 2 shown]
	v_pk_fma_f32 v[112:113], v[112:113], v[136:137], v[130:131]
	v_pk_fma_f32 v[110:111], v[110:111], v[138:139], v[128:129]
	;; [unrolled: 1-line block ×3, first 2 shown]
	s_waitcnt lgkmcnt(3)
	v_pk_fma_f16 v28, v8, v12, v28 op_sel_hi:[1,0,1]
	v_pk_fma_f16 v29, v8, v12, v29 op_sel:[0,1,0]
	v_pk_fma_f16 v30, v8, v13, v30 op_sel_hi:[1,0,1]
	v_pk_fma_f16 v31, v8, v13, v31 op_sel:[0,1,0]
	;; [unrolled: 2-line block ×8, first 2 shown]
	s_waitcnt lgkmcnt(2)
	v_pk_fma_f16 v28, v10, v16, v28 op_sel_hi:[1,0,1]
	v_pk_fma_f16 v29, v10, v16, v29 op_sel:[0,1,0]
	v_pk_fma_f16 v30, v10, v17, v30 op_sel_hi:[1,0,1]
	v_pk_fma_f16 v31, v10, v17, v31 op_sel:[0,1,0]
	;; [unrolled: 2-line block ×6, first 2 shown]
	ds_read2_b64 v[12:15], v192 offset0:40 offset1:60
	v_pk_fma_f16 v36, v11, v18, v37 op_sel_hi:[1,0,1]
	v_pk_fma_f16 v18, v11, v18, v38 op_sel:[0,1,0]
	v_pk_fma_f16 v37, v11, v19, v39 op_sel_hi:[1,0,1]
	v_pk_fma_f16 v9, v11, v19, v9 op_sel:[0,1,0]
	s_waitcnt lgkmcnt(0)
	v_pk_fma_f16 v11, v12, v20, v28 op_sel_hi:[1,0,1]
	v_pk_fma_f16 v19, v12, v20, v29 op_sel:[0,1,0]
	v_pk_fma_f16 v28, v12, v21, v30 op_sel_hi:[1,0,1]
	v_pk_fma_f16 v29, v12, v21, v31 op_sel:[0,1,0]
	;; [unrolled: 2-line block ×10, first 2 shown]
	v_pk_fma_f16 v34, v14, v27, v8 op_sel:[0,1,0]
	v_pk_fma_f16 v35, v15, v24, v10 op_sel_hi:[1,0,1]
	v_pk_fma_f16 v36, v15, v25, v16 op_sel_hi:[1,0,1]
	v_pk_fma_f16 v25, v15, v25, v17 op_sel:[0,1,0]
	ds_read2_b64 v[8:11], v192 offset0:80 offset1:100
	ds_read_b128 v[16:19], v178 offset:320
	v_pk_fma_f16 v30, v14, v26, v30 op_sel_hi:[1,0,1]
	v_pk_fma_f16 v31, v14, v26, v31 op_sel:[0,1,0]
	v_pk_fma_f16 v32, v14, v27, v32 op_sel_hi:[1,0,1]
	v_pk_fma_f16 v24, v15, v24, v12 op_sel:[0,1,0]
	;; [unrolled: 2-line block ×4, first 2 shown]
	ds_read_b128 v[12:15], v178 offset:336
	s_waitcnt lgkmcnt(1)
	v_pk_fma_f16 v23, v8, v16, v23 op_sel_hi:[1,0,1]
	v_pk_fma_f16 v27, v8, v16, v33 op_sel:[0,1,0]
	v_pk_fma_f16 v28, v8, v17, v28 op_sel_hi:[1,0,1]
	v_pk_fma_f16 v29, v8, v17, v29 op_sel:[0,1,0]
	v_pk_fma_f16 v33, v9, v16, v35 op_sel_hi:[1,0,1]
	v_pk_fma_f16 v16, v9, v16, v24 op_sel:[0,1,0]
	v_pk_fma_f16 v24, v9, v17, v36 op_sel_hi:[1,0,1]
	v_pk_fma_f16 v17, v9, v17, v25 op_sel:[0,1,0]
	v_pk_fma_f16 v20, v9, v18, v20 op_sel_hi:[1,0,1]
	v_pk_fma_f16 v30, v8, v18, v30 op_sel_hi:[1,0,1]
	v_pk_fma_f16 v31, v8, v18, v31 op_sel:[0,1,0]
	v_pk_fma_f16 v32, v8, v19, v32 op_sel_hi:[1,0,1]
	v_pk_fma_f16 v8, v8, v19, v34 op_sel:[0,1,0]
	v_pk_fma_f16 v25, v9, v18, v21 op_sel:[0,1,0]
	v_pk_fma_f16 v34, v9, v19, v22 op_sel_hi:[1,0,1]
	v_pk_fma_f16 v9, v9, v19, v26 op_sel:[0,1,0]
	s_waitcnt lgkmcnt(0)
	v_pk_fma_f16 v26, v10, v12, v23 op_sel_hi:[1,0,1]
	v_pk_fma_f16 v27, v10, v12, v27 op_sel:[0,1,0]
	v_pk_fma_f16 v28, v10, v13, v28 op_sel_hi:[1,0,1]
	v_pk_fma_f16 v29, v10, v13, v29 op_sel:[0,1,0]
	;; [unrolled: 2-line block ×4, first 2 shown]
	v_pk_fma_f16 v36, v11, v14, v20 op_sel_hi:[1,0,1]
	ds_read2_b64 v[16:19], v192 offset0:120 offset1:140
	ds_read_b128 v[20:23], v178 offset:352
	v_pk_fma_f16 v30, v10, v14, v30 op_sel_hi:[1,0,1]
	v_pk_fma_f16 v31, v10, v14, v31 op_sel:[0,1,0]
	v_pk_fma_f16 v32, v10, v15, v32 op_sel_hi:[1,0,1]
	v_pk_fma_f16 v35, v10, v15, v8 op_sel:[0,1,0]
	v_pk_fma_f16 v14, v11, v14, v25 op_sel:[0,1,0]
	v_pk_fma_f16 v25, v11, v15, v34 op_sel_hi:[1,0,1]
	v_pk_fma_f16 v15, v11, v15, v9 op_sel:[0,1,0]
	ds_read_b128 v[8:11], v178 offset:368
	s_waitcnt lgkmcnt(1)
	v_pk_fma_f16 v26, v16, v20, v26 op_sel_hi:[1,0,1]
	v_pk_fma_f16 v27, v16, v20, v27 op_sel:[0,1,0]
	v_pk_fma_f16 v28, v16, v21, v28 op_sel_hi:[1,0,1]
	v_pk_fma_f16 v29, v16, v21, v29 op_sel:[0,1,0]
	;; [unrolled: 2-line block ×8, first 2 shown]
	s_waitcnt lgkmcnt(0)
	v_pk_fma_f16 v26, v18, v8, v26 op_sel_hi:[1,0,1]
	v_pk_fma_f16 v27, v18, v8, v27 op_sel:[0,1,0]
	v_pk_fma_f16 v28, v18, v9, v28 op_sel_hi:[1,0,1]
	v_pk_fma_f16 v29, v18, v9, v29 op_sel:[0,1,0]
	;; [unrolled: 2-line block ×6, first 2 shown]
	v_pk_fma_f16 v36, v19, v10, v21 op_sel_hi:[1,0,1]
	ds_read2_b64 v[12:15], v192 offset0:160 offset1:180
	ds_read_b128 v[20:23], v178 offset:384
	v_pk_fma_f16 v24, v19, v10, v24 op_sel:[0,1,0]
	v_pk_fma_f16 v25, v19, v11, v25 op_sel_hi:[1,0,1]
	v_pk_fma_f16 v17, v19, v11, v17 op_sel:[0,1,0]
	ds_read_b128 v[8:11], v178 offset:400
	s_waitcnt lgkmcnt(1)
	v_pk_fma_f16 v19, v12, v20, v26 op_sel_hi:[1,0,1]
	v_pk_fma_f16 v26, v12, v20, v27 op_sel:[0,1,0]
	v_pk_fma_f16 v27, v12, v21, v28 op_sel_hi:[1,0,1]
	v_pk_fma_f16 v28, v12, v21, v29 op_sel:[0,1,0]
	;; [unrolled: 2-line block ×8, first 2 shown]
	s_waitcnt lgkmcnt(0)
	v_pk_fma_f16 v33, v14, v8, v19 op_sel_hi:[1,0,1]
	v_pk_fma_f16 v26, v14, v8, v26 op_sel:[0,1,0]
	v_pk_fma_f16 v27, v14, v9, v27 op_sel_hi:[1,0,1]
	v_pk_fma_f16 v28, v14, v9, v28 op_sel:[0,1,0]
	;; [unrolled: 2-line block ×6, first 2 shown]
	ds_read2_b64 v[16:19], v192 offset0:200 offset1:220
	ds_read_b128 v[20:23], v178 offset:416
	v_pk_fma_f16 v32, v15, v10, v32 op_sel_hi:[1,0,1]
	v_pk_fma_f16 v24, v15, v10, v24 op_sel:[0,1,0]
	v_pk_fma_f16 v25, v15, v11, v25 op_sel_hi:[1,0,1]
	v_pk_fma_f16 v13, v15, v11, v13 op_sel:[0,1,0]
	ds_read_b128 v[8:11], v178 offset:432
	s_waitcnt lgkmcnt(1)
	v_pk_fma_f16 v15, v16, v20, v33 op_sel_hi:[1,0,1]
	v_pk_fma_f16 v26, v16, v20, v26 op_sel:[0,1,0]
	v_pk_fma_f16 v27, v16, v21, v27 op_sel_hi:[1,0,1]
	v_pk_fma_f16 v28, v16, v21, v28 op_sel:[0,1,0]
	;; [unrolled: 2-line block ×8, first 2 shown]
	s_waitcnt lgkmcnt(0)
	v_pk_fma_f16 v33, v18, v8, v15 op_sel_hi:[1,0,1]
	v_pk_fma_f16 v26, v18, v8, v26 op_sel:[0,1,0]
	v_pk_fma_f16 v27, v18, v9, v27 op_sel_hi:[1,0,1]
	v_pk_fma_f16 v28, v18, v9, v28 op_sel:[0,1,0]
	v_pk_fma_f16 v29, v18, v10, v29 op_sel_hi:[1,0,1]
	v_pk_fma_f16 v30, v18, v10, v30 op_sel:[0,1,0]
	v_pk_fma_f16 v31, v18, v11, v31 op_sel_hi:[1,0,1]
	v_pk_fma_f16 v18, v18, v11, v12 op_sel:[0,1,0]
	v_pk_fma_f16 v34, v19, v8, v14 op_sel_hi:[1,0,1]
	v_pk_fma_f16 v35, v19, v9, v20 op_sel_hi:[1,0,1]
	v_pk_fma_f16 v36, v19, v9, v21 op_sel:[0,1,0]
	ds_read2_b64 v[12:15], v191 offset0:112 offset1:132
	ds_read_b128 v[20:23], v178 offset:448
	v_pk_fma_f16 v16, v19, v8, v16 op_sel:[0,1,0]
	v_pk_fma_f16 v32, v19, v10, v32 op_sel_hi:[1,0,1]
	v_pk_fma_f16 v24, v19, v10, v24 op_sel:[0,1,0]
	v_pk_fma_f16 v25, v19, v11, v25 op_sel_hi:[1,0,1]
	v_pk_fma_f16 v17, v19, v11, v17 op_sel:[0,1,0]
	ds_read_b128 v[8:11], v178 offset:464
	s_waitcnt lgkmcnt(1)
	v_pk_fma_f16 v19, v12, v20, v33 op_sel_hi:[1,0,1]
	v_pk_fma_f16 v26, v12, v20, v26 op_sel:[0,1,0]
	v_pk_fma_f16 v27, v12, v21, v27 op_sel_hi:[1,0,1]
	v_pk_fma_f16 v28, v12, v21, v28 op_sel:[0,1,0]
	;; [unrolled: 2-line block ×8, first 2 shown]
	s_waitcnt lgkmcnt(0)
	v_pk_fma_f16 v33, v14, v8, v19 op_sel_hi:[1,0,1]
	v_pk_fma_f16 v26, v14, v8, v26 op_sel:[0,1,0]
	v_pk_fma_f16 v27, v14, v9, v27 op_sel_hi:[1,0,1]
	v_pk_fma_f16 v28, v14, v9, v28 op_sel:[0,1,0]
	;; [unrolled: 2-line block ×6, first 2 shown]
	v_pk_fma_f16 v32, v15, v10, v32 op_sel_hi:[1,0,1]
	ds_read2_b64 v[16:19], v190 offset0:24 offset1:44
	ds_read_b128 v[20:23], v178 offset:480
	v_pk_fma_f16 v24, v15, v10, v24 op_sel:[0,1,0]
	v_pk_fma_f16 v25, v15, v11, v25 op_sel_hi:[1,0,1]
	v_pk_fma_f16 v13, v15, v11, v13 op_sel:[0,1,0]
	ds_read_b128 v[8:11], v178 offset:496
	s_waitcnt lgkmcnt(0)
	s_barrier
	s_load_dword s10, s[46:47], 0x4
	v_pk_fma_f16 v15, v16, v20, v33 op_sel_hi:[1,0,1]
	v_pk_fma_f16 v26, v16, v20, v26 op_sel:[0,1,0]
	v_pk_fma_f16 v27, v16, v21, v27 op_sel_hi:[1,0,1]
	v_pk_fma_f16 v28, v16, v21, v28 op_sel:[0,1,0]
	s_waitcnt lgkmcnt(0)
	s_lshl_b32 s10, s10, 5
	v_pk_fma_f16 v29, v16, v22, v29 op_sel_hi:[1,0,1]
	v_pk_fma_f16 v30, v16, v22, v30 op_sel:[0,1,0]
	v_pk_fma_f16 v31, v16, v23, v31 op_sel_hi:[1,0,1]
	v_pk_fma_f16 v12, v16, v23, v12 op_sel:[0,1,0]
	;; [unrolled: 2-line block ×6, first 2 shown]
	s_add_i32 s54, s10, s54
	v_pk_fma_f32 v[106:107], v[106:107], v[142:143], v[132:133]
	v_pk_fma_f16 v168, v18, v8, v15 op_sel_hi:[1,0,1]
	v_pk_fma_f16 v166, v18, v8, v26 op_sel:[0,1,0]
	v_pk_fma_f16 v164, v18, v9, v27 op_sel_hi:[1,0,1]
	v_pk_fma_f16 v161, v18, v9, v28 op_sel:[0,1,0]
	;; [unrolled: 2-line block ×7, first 2 shown]
	v_pk_fma_f16 v156, v19, v11, v24 op_sel_hi:[1,0,1]
	s_cmp_ge_i32 s54, s66
	v_pk_fma_f16 v154, v19, v11, v13 op_sel:[0,1,0]
	s_cbranch_scc1 .LBB33_41
; %bb.40:                               ;   in Loop: Header=BB33_23 Depth=1
	v_mov_b32_e32 v8, v0
	v_mov_b32_e32 v9, v1
	;; [unrolled: 1-line block ×8, first 2 shown]
	s_branch .LBB33_23
.LBB33_41:
	v_cmp_lt_i32_e32 vcc, v188, v184
	s_cmp_lg_u64 s[52:53], 0
	s_cselect_b64 s[4:5], -1, 0
	v_cndmask_b32_e32 v8, v167, v188, vcc
	v_lshlrev_b32_e32 v17, 2, v8
	ds_bpermute_b32 v12, v17, v110
	ds_bpermute_b32 v13, v17, v111
	v_cmp_lt_i32_e32 vcc, v189, v184
	ds_bpermute_b32 v8, v17, v112
	ds_bpermute_b32 v9, v17, v113
	v_cndmask_b32_e32 v10, v167, v189, vcc
	v_cmp_lt_i32_e32 vcc, v187, v184
	v_lshlrev_b32_e32 v23, 2, v10
	s_waitcnt lgkmcnt(2)
	v_pk_add_f32 v[12:13], v[110:111], v[12:13]
	v_cndmask_b32_e32 v10, v167, v187, vcc
	v_cmp_lt_i32_e32 vcc, v186, v184
	ds_bpermute_b32 v15, v23, v13
	v_lshlrev_b32_e32 v24, 2, v10
	v_cndmask_b32_e32 v14, v167, v186, vcc
	v_lshlrev_b32_e32 v25, 2, v14
	ds_bpermute_b32 v14, v23, v12
	ds_bpermute_b32 v18, v17, v106
	;; [unrolled: 1-line block ×3, first 2 shown]
	s_waitcnt lgkmcnt(4)
	v_pk_add_f32 v[8:9], v[112:113], v[8:9]
	v_cmp_lt_i32_e32 vcc, v185, v184
	s_waitcnt lgkmcnt(2)
	v_pk_add_f32 v[12:13], v[12:13], v[14:15]
	ds_bpermute_b32 v14, v24, v12
	ds_bpermute_b32 v15, v24, v13
	s_waitcnt lgkmcnt(2)
	v_pk_add_f32 v[18:19], v[106:107], v[18:19]
	ds_bpermute_b32 v10, v23, v8
	ds_bpermute_b32 v11, v23, v9
	v_cndmask_b32_e32 v16, v167, v185, vcc
	s_waitcnt lgkmcnt(2)
	v_pk_add_f32 v[12:13], v[12:13], v[14:15]
	ds_bpermute_b32 v14, v17, v108
	ds_bpermute_b32 v15, v17, v109
	;; [unrolled: 1-line block ×3, first 2 shown]
	v_lshlrev_b32_e32 v29, 2, v16
	ds_bpermute_b32 v16, v25, v12
	ds_bpermute_b32 v17, v25, v13
	s_waitcnt lgkmcnt(3)
	v_pk_add_f32 v[14:15], v[108:109], v[14:15]
	ds_bpermute_b32 v20, v23, v14
	ds_bpermute_b32 v21, v23, v15
	;; [unrolled: 1-line block ×3, first 2 shown]
	v_pk_add_f32 v[8:9], v[8:9], v[10:11]
	ds_bpermute_b32 v10, v24, v8
	ds_bpermute_b32 v11, v24, v9
	s_waitcnt lgkmcnt(3)
	v_pk_add_f32 v[14:15], v[14:15], v[20:21]
	s_waitcnt lgkmcnt(2)
	v_pk_add_f32 v[18:19], v[18:19], v[22:23]
	v_pk_add_f32 v[12:13], v[12:13], v[16:17]
	ds_bpermute_b32 v16, v24, v14
	ds_bpermute_b32 v17, v24, v15
	;; [unrolled: 1-line block ×4, first 2 shown]
	s_waitcnt lgkmcnt(4)
	v_pk_add_f32 v[8:9], v[8:9], v[10:11]
	ds_bpermute_b32 v10, v25, v8
	s_waitcnt lgkmcnt(3)
	v_pk_add_f32 v[14:15], v[14:15], v[16:17]
	ds_bpermute_b32 v11, v25, v9
	;; [unrolled: 3-line block ×3, first 2 shown]
	ds_bpermute_b32 v17, v25, v15
	ds_bpermute_b32 v20, v25, v18
	;; [unrolled: 1-line block ×3, first 2 shown]
	s_waitcnt lgkmcnt(4)
	v_pk_add_f32 v[8:9], v[8:9], v[10:11]
	ds_bpermute_b32 v10, v29, v8
	s_waitcnt lgkmcnt(3)
	v_pk_add_f32 v[14:15], v[14:15], v[16:17]
	ds_bpermute_b32 v11, v29, v9
	s_waitcnt lgkmcnt(2)
	v_pk_add_f32 v[26:27], v[18:19], v[20:21]
	ds_bpermute_b32 v24, v29, v12
	ds_bpermute_b32 v25, v29, v13
	ds_bpermute_b32 v16, v29, v14
	;; [unrolled: 1-line block ×5, first 2 shown]
	s_cmp_eq_u32 s3, 0
	s_cselect_b64 s[6:7], -1, 0
	s_and_b64 s[4:5], s[6:7], s[4:5]
	s_waitcnt lgkmcnt(6)
	v_pk_add_f32 v[22:23], v[8:9], v[10:11]
	s_waitcnt lgkmcnt(4)
	v_pk_add_f32 v[20:21], v[12:13], v[24:25]
	;; [unrolled: 2-line block ×4, first 2 shown]
	s_and_b64 vcc, exec, s[4:5]
	s_cbranch_vccz .LBB33_43
; %bb.42:
	s_ashr_i32 s65, s64, 31
	s_lshl_b64 s[4:5], s[64:65], 2
	s_add_u32 s4, s52, s4
	s_addc_u32 s5, s53, s5
	v_mov_b32_e32 v8, 0
	global_load_dwordx2 v[24:25], v8, s[4:5]
	v_max_f32_e32 v8, v1, v1
	v_max_f32_e32 v10, v0, v0
	s_mov_b32 s5, 0x3fb8aa3b
	v_max_f32_e32 v12, v2, v2
	v_max_f32_e32 v11, v3, v3
	s_mov_b32 s4, 0xc2ce8ed0
	s_mov_b32 s2, 0x42b17218
	v_mov_b32_e32 v26, 0x7f800000
	s_waitcnt vmcnt(0)
	v_max_f32_e32 v14, v25, v25
	v_max_f32_e32 v27, v24, v24
	;; [unrolled: 1-line block ×4, first 2 shown]
	v_pk_add_f32 v[0:1], v[0:1], v[8:9] neg_lo:[0,1] neg_hi:[0,1]
	v_max_f32_e32 v10, v12, v27
	v_mul_f32_e32 v15, 0x3fb8aa3b, v1
	v_pk_add_f32 v[12:13], v[24:25], v[8:9] neg_lo:[0,1] neg_hi:[0,1]
	v_mul_f32_e32 v28, 0x3fb8aa3b, v0
	v_fma_f32 v33, v1, s5, -v15
	v_rndne_f32_e32 v34, v15
	v_max_f32_e32 v11, v11, v14
	v_mul_f32_e32 v29, 0x3fb8aa3b, v13
	v_fma_f32 v35, v0, s5, -v28
	v_rndne_f32_e32 v36, v28
	v_fmac_f32_e32 v33, 0x32a5705f, v1
	v_sub_f32_e32 v15, v15, v34
	v_pk_add_f32 v[2:3], v[2:3], v[10:11] neg_lo:[0,1] neg_hi:[0,1]
	v_mul_f32_e32 v30, 0x3fb8aa3b, v12
	v_fma_f32 v37, v13, s5, -v29
	v_rndne_f32_e32 v38, v29
	v_fmac_f32_e32 v35, 0x32a5705f, v0
	v_sub_f32_e32 v28, v28, v36
	v_add_f32_e32 v15, v15, v33
	v_mul_f32_e32 v31, 0x3fb8aa3b, v3
	v_fma_f32 v39, v12, s5, -v30
	v_rndne_f32_e32 v40, v30
	v_cvt_i32_f32_e32 v34, v34
	v_fmac_f32_e32 v37, 0x32a5705f, v13
	v_sub_f32_e32 v29, v29, v38
	v_add_f32_e32 v28, v28, v35
	v_exp_f32_e32 v15, v15
	v_fma_f32 v41, v3, s5, -v31
	v_rndne_f32_e32 v42, v31
	v_cvt_i32_f32_e32 v36, v36
	v_fmac_f32_e32 v39, 0x32a5705f, v12
	v_sub_f32_e32 v30, v30, v40
	v_add_f32_e32 v29, v29, v37
	v_exp_f32_e32 v28, v28
	v_cvt_i32_f32_e32 v38, v38
	v_fmac_f32_e32 v41, 0x32a5705f, v3
	v_sub_f32_e32 v31, v31, v42
	v_add_f32_e32 v30, v30, v39
	v_exp_f32_e32 v29, v29
	v_cvt_i32_f32_e32 v40, v40
	v_add_f32_e32 v31, v31, v41
	v_exp_f32_e32 v30, v30
	v_cvt_i32_f32_e32 v42, v42
	v_exp_f32_e32 v31, v31
	v_ldexp_f32 v15, v15, v34
	v_cmp_ngt_f32_e32 vcc, s4, v1
	v_ldexp_f32 v28, v28, v36
	v_ldexp_f32 v29, v29, v38
	v_cndmask_b32_e32 v15, 0, v15, vcc
	v_cmp_ngt_f32_e32 vcc, s4, v0
	v_ldexp_f32 v30, v30, v40
	v_mul_f32_e32 v32, 0x3fb8aa3b, v2
	v_cndmask_b32_e32 v28, 0, v28, vcc
	v_cmp_ngt_f32_e32 vcc, s4, v13
	v_ldexp_f32 v31, v31, v42
	v_fma_f32 v43, v2, s5, -v32
	v_cndmask_b32_e32 v29, 0, v29, vcc
	v_cmp_ngt_f32_e32 vcc, s4, v12
	v_rndne_f32_e32 v44, v32
	v_fmac_f32_e32 v43, 0x32a5705f, v2
	v_cndmask_b32_e32 v30, 0, v30, vcc
	v_cmp_ngt_f32_e32 vcc, s4, v3
	v_sub_f32_e32 v32, v32, v44
	v_add_f32_e32 v32, v32, v43
	v_cndmask_b32_e32 v31, 0, v31, vcc
	v_cmp_nlt_f32_e32 vcc, s2, v1
	v_cvt_i32_f32_e32 v44, v44
	v_exp_f32_e32 v32, v32
	v_cndmask_b32_e32 v1, v26, v15, vcc
	v_cmp_nlt_f32_e32 vcc, s2, v0
	v_ldexp_f32 v32, v32, v44
	s_nop 0
	v_cndmask_b32_e32 v0, v26, v28, vcc
	v_cmp_nlt_f32_e32 vcc, s2, v13
	v_cvt_f16_f32_e32 v15, v0
	v_cvt_f16_f32_e32 v28, v1
	v_cndmask_b32_e32 v13, v26, v29, vcc
	v_cmp_nlt_f32_e32 vcc, s2, v12
	v_pk_mul_f16 v168, v15, v168 op_sel_hi:[0,1]
	v_pk_mul_f16 v169, v15, v169 op_sel_hi:[0,1]
	v_cndmask_b32_e32 v12, v26, v30, vcc
	v_pk_fma_f32 v[22:23], v[22:23], v[0:1], v[12:13]
	v_pk_add_f32 v[12:13], v[24:25], v[10:11] neg_lo:[0,1] neg_hi:[0,1]
	v_pk_mul_f16 v166, v28, v166 op_sel_hi:[0,1]
	v_mul_f32_e32 v1, 0x3fb8aa3b, v13
	v_pk_mul_f16 v165, v28, v165 op_sel_hi:[0,1]
	v_cmp_ngt_f32_e32 vcc, s4, v2
	v_fma_f32 v15, v13, s5, -v1
	v_rndne_f32_e32 v28, v1
	v_cndmask_b32_e32 v0, 0, v32, vcc
	v_cmp_nlt_f32_e32 vcc, s2, v2
	v_fmac_f32_e32 v15, 0x32a5705f, v13
	v_sub_f32_e32 v1, v1, v28
	v_cndmask_b32_e32 v0, v26, v0, vcc
	v_add_f32_e32 v1, v1, v15
	v_cvt_f16_f32_e32 v2, v0
	v_exp_f32_e32 v15, v1
	v_cvt_i32_f32_e32 v28, v28
	v_cmp_nlt_f32_e32 vcc, s2, v3
	v_mul_f32_e32 v3, 0x3fb8aa3b, v12
	v_pk_mul_f16 v164, v2, v164 op_sel_hi:[0,1]
	v_pk_mul_f16 v163, v2, v163 op_sel_hi:[0,1]
	v_ldexp_f32 v2, v15, v28
	v_fma_f32 v15, v12, s5, -v3
	v_rndne_f32_e32 v28, v3
	v_fmac_f32_e32 v15, 0x32a5705f, v12
	v_sub_f32_e32 v3, v3, v28
	v_add_f32_e32 v3, v3, v15
	v_exp_f32_e32 v15, v3
	v_cvt_i32_f32_e32 v28, v28
	v_cndmask_b32_e32 v1, v26, v31, vcc
	v_cmp_ngt_f32_e32 vcc, s4, v13
	s_nop 1
	v_cndmask_b32_e32 v2, 0, v2, vcc
	v_cmp_nlt_f32_e32 vcc, s2, v13
	v_cvt_f16_f32_e32 v13, v1
	v_pk_mul_f16 v161, v13, v161 op_sel_hi:[0,1]
	v_cndmask_b32_e32 v3, v26, v2, vcc
	v_ldexp_f32 v2, v15, v28
	v_cmp_ngt_f32_e32 vcc, s4, v12
	v_pk_mul_f16 v162, v13, v162 op_sel_hi:[0,1]
	s_nop 0
	v_cndmask_b32_e32 v2, 0, v2, vcc
	v_cmp_nlt_f32_e32 vcc, s2, v12
	s_nop 1
	v_cndmask_b32_e32 v2, v26, v2, vcc
	v_pk_fma_f32 v[20:21], v[20:21], v[0:1], v[2:3]
	v_max_f32_e32 v0, v5, v5
	v_max_f32_e32 v13, v0, v14
	v_max_f32_e32 v0, v4, v4
	v_max_f32_e32 v12, v0, v27
	v_pk_add_f32 v[0:1], v[4:5], v[12:13] neg_lo:[0,1] neg_hi:[0,1]
	s_nop 0
	v_mul_f32_e32 v2, 0x3fb8aa3b, v1
	v_fma_f32 v3, v1, s5, -v2
	v_rndne_f32_e32 v4, v2
	v_fmac_f32_e32 v3, 0x32a5705f, v1
	v_sub_f32_e32 v2, v2, v4
	v_add_f32_e32 v2, v2, v3
	v_cvt_i32_f32_e32 v3, v4
	v_mul_f32_e32 v4, 0x3fb8aa3b, v0
	v_fma_f32 v5, v0, s5, -v4
	v_rndne_f32_e32 v15, v4
	v_fmac_f32_e32 v5, 0x32a5705f, v0
	v_sub_f32_e32 v4, v4, v15
	v_exp_f32_e32 v2, v2
	v_add_f32_e32 v4, v4, v5
	v_exp_f32_e32 v4, v4
	v_cvt_i32_f32_e32 v5, v15
	v_ldexp_f32 v2, v2, v3
	v_cmp_ngt_f32_e32 vcc, s4, v1
	s_nop 1
	v_cndmask_b32_e32 v15, 0, v2, vcc
	v_ldexp_f32 v2, v4, v5
	v_cmp_ngt_f32_e32 vcc, s4, v0
	s_nop 1
	v_cndmask_b32_e32 v2, 0, v2, vcc
	v_cmp_nlt_f32_e32 vcc, s2, v0
	s_nop 1
	v_cndmask_b32_e32 v0, v26, v2, vcc
	v_pk_add_f32 v[2:3], v[24:25], v[12:13] neg_lo:[0,1] neg_hi:[0,1]
	v_cvt_f16_f32_e32 v4, v0
	v_mul_f32_e32 v5, 0x3fb8aa3b, v3
	v_fma_f32 v28, v3, s5, -v5
	v_rndne_f32_e32 v29, v5
	v_fmac_f32_e32 v28, 0x32a5705f, v3
	v_sub_f32_e32 v5, v5, v29
	v_add_f32_e32 v5, v5, v28
	v_exp_f32_e32 v5, v5
	v_cvt_i32_f32_e32 v28, v29
	v_cmp_nlt_f32_e32 vcc, s2, v1
	v_pk_mul_f16 v159, v4, v159 op_sel_hi:[0,1]
	v_pk_mul_f16 v160, v4, v160 op_sel_hi:[0,1]
	v_ldexp_f32 v4, v5, v28
	v_mul_f32_e32 v5, 0x3fb8aa3b, v2
	v_cndmask_b32_e32 v1, v26, v15, vcc
	v_fma_f32 v15, v2, s5, -v5
	v_rndne_f32_e32 v28, v5
	v_fmac_f32_e32 v15, 0x32a5705f, v2
	v_sub_f32_e32 v5, v5, v28
	v_add_f32_e32 v5, v5, v15
	v_exp_f32_e32 v5, v5
	v_cvt_i32_f32_e32 v15, v28
	v_cmp_ngt_f32_e32 vcc, s4, v3
	s_nop 1
	v_cndmask_b32_e32 v4, 0, v4, vcc
	v_cmp_nlt_f32_e32 vcc, s2, v3
	s_nop 1
	v_cndmask_b32_e32 v3, v26, v4, vcc
	v_ldexp_f32 v4, v5, v15
	v_cmp_ngt_f32_e32 vcc, s4, v2
	v_cvt_f16_f32_e32 v5, v1
	v_pk_mul_f16 v157, v5, v157 op_sel_hi:[0,1]
	v_cndmask_b32_e32 v4, 0, v4, vcc
	v_cmp_nlt_f32_e32 vcc, s2, v2
	v_pk_mul_f16 v158, v5, v158 op_sel_hi:[0,1]
	s_nop 0
	v_cndmask_b32_e32 v2, v26, v4, vcc
	v_pk_fma_f32 v[18:19], v[18:19], v[0:1], v[2:3]
	v_max_f32_e32 v0, v7, v7
	v_max_f32_e32 v15, v0, v14
	;; [unrolled: 1-line block ×4, first 2 shown]
	v_pk_add_f32 v[0:1], v[6:7], v[14:15] neg_lo:[0,1] neg_hi:[0,1]
	s_nop 0
	v_mul_f32_e32 v2, 0x3fb8aa3b, v1
	v_fma_f32 v3, v1, s5, -v2
	v_rndne_f32_e32 v4, v2
	v_fmac_f32_e32 v3, 0x32a5705f, v1
	v_sub_f32_e32 v2, v2, v4
	v_add_f32_e32 v2, v2, v3
	v_cvt_i32_f32_e32 v3, v4
	v_mul_f32_e32 v4, 0x3fb8aa3b, v0
	v_fma_f32 v5, v0, s5, -v4
	v_rndne_f32_e32 v6, v4
	v_fmac_f32_e32 v5, 0x32a5705f, v0
	v_sub_f32_e32 v4, v4, v6
	v_exp_f32_e32 v2, v2
	v_add_f32_e32 v4, v4, v5
	v_exp_f32_e32 v4, v4
	v_cvt_i32_f32_e32 v5, v6
	v_ldexp_f32 v2, v2, v3
	v_cmp_ngt_f32_e32 vcc, s4, v1
	s_nop 1
	v_cndmask_b32_e32 v6, 0, v2, vcc
	v_ldexp_f32 v2, v4, v5
	v_cmp_ngt_f32_e32 vcc, s4, v0
	s_nop 1
	v_cndmask_b32_e32 v2, 0, v2, vcc
	v_cmp_nlt_f32_e32 vcc, s2, v0
	s_nop 1
	v_cndmask_b32_e32 v0, v26, v2, vcc
	v_pk_add_f32 v[2:3], v[24:25], v[14:15] neg_lo:[0,1] neg_hi:[0,1]
	v_cvt_f16_f32_e32 v4, v0
	v_mul_f32_e32 v5, 0x3fb8aa3b, v3
	v_fma_f32 v7, v3, s5, -v5
	v_rndne_f32_e32 v24, v5
	v_fmac_f32_e32 v7, 0x32a5705f, v3
	v_sub_f32_e32 v5, v5, v24
	v_add_f32_e32 v5, v5, v7
	v_exp_f32_e32 v5, v5
	v_cvt_i32_f32_e32 v7, v24
	v_cmp_nlt_f32_e32 vcc, s2, v1
	v_pk_mul_f16 v155, v4, v155 op_sel_hi:[0,1]
	v_pk_mul_f16 v156, v4, v156 op_sel_hi:[0,1]
	v_ldexp_f32 v4, v5, v7
	v_mul_f32_e32 v5, 0x3fb8aa3b, v2
	v_cndmask_b32_e32 v1, v26, v6, vcc
	v_fma_f32 v6, v2, s5, -v5
	v_rndne_f32_e32 v7, v5
	v_fmac_f32_e32 v6, 0x32a5705f, v2
	v_sub_f32_e32 v5, v5, v7
	v_add_f32_e32 v5, v5, v6
	v_exp_f32_e32 v5, v5
	v_cvt_i32_f32_e32 v6, v7
	v_cmp_ngt_f32_e32 vcc, s4, v3
	s_nop 1
	v_cndmask_b32_e32 v4, 0, v4, vcc
	v_cmp_nlt_f32_e32 vcc, s2, v3
	s_nop 1
	v_cndmask_b32_e32 v3, v26, v4, vcc
	v_ldexp_f32 v4, v5, v6
	v_cvt_f16_f32_e32 v5, v1
	v_cmp_ngt_f32_e32 vcc, s4, v2
	v_pk_mul_f16 v153, v5, v153 op_sel_hi:[0,1]
	s_nop 0
	v_cndmask_b32_e32 v4, 0, v4, vcc
	v_cmp_nlt_f32_e32 vcc, s2, v2
	v_pk_mul_f16 v154, v5, v154 op_sel_hi:[0,1]
	s_nop 0
	v_cndmask_b32_e32 v2, v26, v4, vcc
	v_pk_fma_f32 v[16:17], v[16:17], v[0:1], v[2:3]
	v_mov_b64_e32 v[0:1], v[8:9]
	v_mov_b64_e32 v[2:3], v[10:11]
	;; [unrolled: 1-line block ×4, first 2 shown]
.LBB33_43:
	v_add_u32_e32 v8, s33, v152
	v_cmp_gt_i32_e32 vcc, s62, v8
	s_and_saveexec_b64 s[4:5], vcc
	s_cbranch_execz .LBB33_98
; %bb.44:
	s_load_dword s2, s[0:1], 0xd4
	v_mov_b32_e32 v10, 1.0
	s_waitcnt lgkmcnt(0)
	s_cmp_lg_u32 s2, 1
	s_cselect_b64 s[0:1], -1, 0
	s_cmp_eq_u32 s2, 1
	s_cselect_b64 s[6:7], -1, 0
	s_and_b64 vcc, exec, s[0:1]
	s_cbranch_vccnz .LBB33_46
; %bb.45:
	v_div_scale_f32 v8, s[4:5], v22, v22, 1.0
	v_rcp_f32_e32 v9, v8
	v_div_scale_f32 v10, vcc, 1.0, v22, 1.0
	v_fma_f32 v11, -v8, v9, 1.0
	v_fmac_f32_e32 v9, v11, v9
	v_mul_f32_e32 v11, v10, v9
	v_fma_f32 v12, -v8, v11, v10
	v_fmac_f32_e32 v11, v12, v9
	v_fma_f32 v8, -v8, v11, v10
	v_div_fmas_f32 v8, v8, v9, v11
	v_div_fixup_f32 v10, v8, v22, 1.0
.LBB33_46:
	s_mul_i32 s8, s70, s62
	s_add_i32 s8, s8, s33
	v_add_u32_e32 v8, s8, v152
	v_mul_lo_u32 v11, v8, s63
	v_add_u32_e32 v8, s64, v11
	v_mul_lo_u32 v8, s2, v8
	v_add_u32_e32 v8, s3, v8
	s_and_saveexec_b64 s[4:5], s[44:45]
	s_cbranch_execz .LBB33_48
; %bb.47:
	v_cvt_f32_f16_sdwa v15, v168 dst_sel:DWORD dst_unused:UNUSED_PAD src0_sel:WORD_1
	v_cvt_f32_f16_e32 v14, v168
	v_cvt_f32_f16_sdwa v25, v169 dst_sel:DWORD dst_unused:UNUSED_PAD src0_sel:WORD_1
	v_cvt_f32_f16_e32 v24, v169
	s_movk_i32 s9, 0x50
	v_mad_u64_u32 v[12:13], s[10:11], v8, s9, v[104:105]
	v_mov_b32_e32 v13, 0
	v_lshl_add_u64 v[26:27], v[12:13], 2, s[56:57]
	v_pk_mul_f32 v[12:13], v[10:11], v[14:15] op_sel_hi:[0,1]
	v_pk_mul_f32 v[14:15], v[10:11], v[24:25] op_sel_hi:[0,1]
	global_store_dwordx4 v[26:27], v[12:15], off
.LBB33_48:
	s_or_b64 exec, exec, s[4:5]
	v_cmp_eq_u32_e32 vcc, 0, v151
	s_and_b64 s[4:5], vcc, s[0:1]
	s_and_saveexec_b64 s[0:1], s[4:5]
	s_cbranch_execz .LBB33_50
; %bb.49:
	v_ashrrev_i32_e32 v9, 31, v8
	v_lshl_add_u64 v[8:9], v[8:9], 3, s[58:59]
	v_mov_b32_e32 v12, v0
	v_mov_b32_e32 v13, v22
	global_store_dwordx2 v[8:9], v[12:13], off
.LBB33_50:
	s_or_b64 exec, exec, s[0:1]
	v_cndmask_b32_e64 v0, 0, 1, s[6:7]
	v_cmp_ne_u32_e64 s[0:1], 1, v0
	s_andn2_b64 vcc, exec, s[6:7]
	v_mov_b32_e32 v0, 1.0
	s_cbranch_vccnz .LBB33_52
; %bb.51:
	v_div_scale_f32 v0, s[6:7], v23, v23, 1.0
	v_rcp_f32_e32 v8, v0
	v_div_scale_f32 v9, vcc, 1.0, v23, 1.0
	v_fma_f32 v10, -v0, v8, 1.0
	v_fmac_f32_e32 v8, v10, v8
	v_mul_f32_e32 v10, v9, v8
	v_fma_f32 v12, -v0, v10, v9
	v_fmac_f32_e32 v10, v12, v8
	v_fma_f32 v0, -v0, v10, v9
	v_div_fmas_f32 v0, v0, v8, v10
	v_div_fixup_f32 v0, v0, v23, 1.0
.LBB33_52:
	s_add_i32 s9, s64, 1
	v_add_u32_e32 v8, s9, v11
	v_mul_lo_u32 v8, s2, v8
	v_add_u32_e32 v8, s3, v8
	s_and_saveexec_b64 s[6:7], s[44:45]
	s_cbranch_execz .LBB33_54
; %bb.53:
	v_cvt_f32_f16_sdwa v13, v166 dst_sel:DWORD dst_unused:UNUSED_PAD src0_sel:WORD_1
	v_cvt_f32_f16_e32 v12, v166
	v_cvt_f32_f16_sdwa v15, v165 dst_sel:DWORD dst_unused:UNUSED_PAD src0_sel:WORD_1
	v_cvt_f32_f16_e32 v14, v165
	s_movk_i32 s10, 0x50
	v_mad_u64_u32 v[10:11], s[10:11], v8, s10, v[104:105]
	v_mov_b32_e32 v11, 0
	v_lshl_add_u64 v[24:25], v[10:11], 2, s[56:57]
	v_pk_mul_f32 v[10:11], v[0:1], v[12:13] op_sel_hi:[0,1]
	v_pk_mul_f32 v[12:13], v[0:1], v[14:15] op_sel_hi:[0,1]
	global_store_dwordx4 v[24:25], v[10:13], off
.LBB33_54:
	s_or_b64 exec, exec, s[6:7]
	s_and_saveexec_b64 s[6:7], s[4:5]
	s_cbranch_execz .LBB33_56
; %bb.55:
	v_ashrrev_i32_e32 v9, 31, v8
	v_lshl_add_u64 v[8:9], v[8:9], 3, s[58:59]
	v_mov_b32_e32 v22, v1
	global_store_dwordx2 v[8:9], v[22:23], off
.LBB33_56:
	s_or_b64 exec, exec, s[6:7]
	v_add_u32_e32 v0, s33, v150
	v_cmp_gt_i32_e32 vcc, s62, v0
	s_and_b64 exec, exec, vcc
	s_cbranch_execz .LBB33_98
; %bb.57:
	s_and_b64 vcc, exec, s[0:1]
	v_mov_b32_e32 v8, 1.0
	s_cbranch_vccnz .LBB33_59
; %bb.58:
	v_div_scale_f32 v0, s[6:7], v20, v20, 1.0
	v_rcp_f32_e32 v1, v0
	v_div_scale_f32 v8, vcc, 1.0, v20, 1.0
	v_fma_f32 v9, -v0, v1, 1.0
	v_fmac_f32_e32 v1, v9, v1
	v_mul_f32_e32 v9, v8, v1
	v_fma_f32 v10, -v0, v9, v8
	v_fmac_f32_e32 v9, v10, v1
	v_fma_f32 v0, -v0, v9, v8
	v_div_fmas_f32 v0, v0, v1, v9
	v_div_fixup_f32 v8, v0, v20, 1.0
.LBB33_59:
	v_add_u32_e32 v0, s8, v150
	v_mul_lo_u32 v0, v0, s63
	v_add_u32_e32 v0, s64, v0
	v_mul_lo_u32 v0, s2, v0
	v_add_u32_e32 v0, s3, v0
	s_and_saveexec_b64 s[6:7], s[44:45]
	s_cbranch_execz .LBB33_61
; %bb.60:
	v_cvt_f32_f16_sdwa v13, v164 dst_sel:DWORD dst_unused:UNUSED_PAD src0_sel:WORD_1
	v_cvt_f32_f16_e32 v12, v164
	v_cvt_f32_f16_sdwa v15, v163 dst_sel:DWORD dst_unused:UNUSED_PAD src0_sel:WORD_1
	v_cvt_f32_f16_e32 v14, v163
	s_movk_i32 s10, 0x50
	v_mad_u64_u32 v[10:11], s[10:11], v0, s10, v[104:105]
	v_mov_b32_e32 v11, 0
	v_lshl_add_u64 v[22:23], v[10:11], 2, s[56:57]
	v_pk_mul_f32 v[10:11], v[8:9], v[12:13] op_sel_hi:[0,1]
	v_pk_mul_f32 v[12:13], v[8:9], v[14:15] op_sel_hi:[0,1]
	global_store_dwordx4 v[22:23], v[10:13], off
.LBB33_61:
	s_or_b64 exec, exec, s[6:7]
	s_and_saveexec_b64 s[6:7], s[4:5]
	s_cbranch_execz .LBB33_63
; %bb.62:
	v_ashrrev_i32_e32 v1, 31, v0
	v_lshl_add_u64 v[0:1], v[0:1], 3, s[58:59]
	v_mov_b32_e32 v8, v2
	v_mov_b32_e32 v9, v20
	global_store_dwordx2 v[0:1], v[8:9], off
.LBB33_63:
	s_or_b64 exec, exec, s[6:7]
	v_lshrrev_b32_e32 v0, 1, v149
	v_add_u32_e32 v1, s33, v0
	v_cmp_gt_i32_e32 vcc, s62, v1
	s_and_b64 exec, exec, vcc
	s_cbranch_execz .LBB33_98
; %bb.64:
	s_and_b64 vcc, exec, s[0:1]
	v_mov_b32_e32 v2, 1.0
	s_cbranch_vccnz .LBB33_66
; %bb.65:
	v_div_scale_f32 v1, s[6:7], v21, v21, 1.0
	v_rcp_f32_e32 v2, v1
	v_div_scale_f32 v8, vcc, 1.0, v21, 1.0
	v_fma_f32 v9, -v1, v2, 1.0
	v_fmac_f32_e32 v2, v9, v2
	v_mul_f32_e32 v9, v8, v2
	v_fma_f32 v10, -v1, v9, v8
	v_fmac_f32_e32 v9, v10, v2
	v_fma_f32 v1, -v1, v9, v8
	v_div_fmas_f32 v1, v1, v2, v9
	v_div_fixup_f32 v2, v1, v21, 1.0
.LBB33_66:
	v_add_u32_e32 v0, s8, v0
	v_mul_lo_u32 v0, v0, s63
	v_add_u32_e32 v0, s9, v0
	v_mul_lo_u32 v0, s2, v0
	v_add_u32_e32 v0, s3, v0
	s_and_saveexec_b64 s[6:7], s[44:45]
	s_cbranch_execz .LBB33_68
; %bb.67:
	v_cvt_f32_f16_sdwa v11, v161 dst_sel:DWORD dst_unused:UNUSED_PAD src0_sel:WORD_1
	v_cvt_f32_f16_e32 v10, v161
	v_cvt_f32_f16_sdwa v13, v162 dst_sel:DWORD dst_unused:UNUSED_PAD src0_sel:WORD_1
	v_cvt_f32_f16_e32 v12, v162
	s_movk_i32 s10, 0x50
	v_mad_u64_u32 v[8:9], s[10:11], v0, s10, v[104:105]
	v_mov_b32_e32 v9, 0
	v_lshl_add_u64 v[14:15], v[8:9], 2, s[56:57]
	v_pk_mul_f32 v[8:9], v[2:3], v[10:11] op_sel_hi:[0,1]
	v_pk_mul_f32 v[10:11], v[2:3], v[12:13] op_sel_hi:[0,1]
	global_store_dwordx4 v[14:15], v[8:11], off
.LBB33_68:
	s_or_b64 exec, exec, s[6:7]
	s_and_saveexec_b64 s[6:7], s[4:5]
	s_cbranch_execz .LBB33_70
; %bb.69:
	v_ashrrev_i32_e32 v1, 31, v0
	v_lshl_add_u64 v[0:1], v[0:1], 3, s[58:59]
	v_mov_b32_e32 v20, v3
	global_store_dwordx2 v[0:1], v[20:21], off
.LBB33_70:
	s_or_b64 exec, exec, s[6:7]
	v_lshrrev_b32_e32 v0, 1, v148
	v_add_u32_e32 v1, s33, v0
	v_cmp_gt_i32_e32 vcc, s62, v1
	s_and_b64 exec, exec, vcc
	s_cbranch_execz .LBB33_98
; %bb.71:
	s_and_b64 vcc, exec, s[0:1]
	v_mov_b32_e32 v2, 1.0
	s_cbranch_vccnz .LBB33_73
; %bb.72:
	v_div_scale_f32 v1, s[6:7], v18, v18, 1.0
	v_rcp_f32_e32 v2, v1
	v_div_scale_f32 v3, vcc, 1.0, v18, 1.0
	v_fma_f32 v8, -v1, v2, 1.0
	v_fmac_f32_e32 v2, v8, v2
	v_mul_f32_e32 v8, v3, v2
	v_fma_f32 v9, -v1, v8, v3
	v_fmac_f32_e32 v8, v9, v2
	v_fma_f32 v1, -v1, v8, v3
	v_div_fmas_f32 v1, v1, v2, v8
	v_div_fixup_f32 v2, v1, v18, 1.0
.LBB33_73:
	v_add_u32_e32 v0, s8, v0
	v_mul_lo_u32 v0, v0, s63
	v_add_u32_e32 v0, s64, v0
	v_mul_lo_u32 v0, s2, v0
	v_add_u32_e32 v0, s3, v0
	s_and_saveexec_b64 s[6:7], s[44:45]
	s_cbranch_execz .LBB33_75
; %bb.74:
	v_cvt_f32_f16_sdwa v11, v159 dst_sel:DWORD dst_unused:UNUSED_PAD src0_sel:WORD_1
	v_cvt_f32_f16_e32 v10, v159
	v_cvt_f32_f16_sdwa v13, v160 dst_sel:DWORD dst_unused:UNUSED_PAD src0_sel:WORD_1
	v_cvt_f32_f16_e32 v12, v160
	s_movk_i32 s10, 0x50
	v_mad_u64_u32 v[8:9], s[10:11], v0, s10, v[104:105]
	v_mov_b32_e32 v9, 0
	v_lshl_add_u64 v[14:15], v[8:9], 2, s[56:57]
	v_pk_mul_f32 v[8:9], v[2:3], v[10:11] op_sel_hi:[0,1]
	v_pk_mul_f32 v[10:11], v[2:3], v[12:13] op_sel_hi:[0,1]
	global_store_dwordx4 v[14:15], v[8:11], off
.LBB33_75:
	s_or_b64 exec, exec, s[6:7]
	s_and_saveexec_b64 s[6:7], s[4:5]
	s_cbranch_execz .LBB33_77
; %bb.76:
	v_ashrrev_i32_e32 v1, 31, v0
	v_lshl_add_u64 v[0:1], v[0:1], 3, s[58:59]
	v_mov_b32_e32 v2, v4
	v_mov_b32_e32 v3, v18
	global_store_dwordx2 v[0:1], v[2:3], off
.LBB33_77:
	s_or_b64 exec, exec, s[6:7]
	v_lshrrev_b32_e32 v0, 1, v125
	v_add_u32_e32 v1, s33, v0
	v_cmp_gt_i32_e32 vcc, s62, v1
	s_and_b64 exec, exec, vcc
	s_cbranch_execz .LBB33_98
; %bb.78:
	s_and_b64 vcc, exec, s[0:1]
	v_mov_b32_e32 v2, 1.0
	s_cbranch_vccnz .LBB33_80
; %bb.79:
	v_div_scale_f32 v1, s[6:7], v19, v19, 1.0
	v_rcp_f32_e32 v2, v1
	v_div_scale_f32 v3, vcc, 1.0, v19, 1.0
	v_fma_f32 v4, -v1, v2, 1.0
	v_fmac_f32_e32 v2, v4, v2
	v_mul_f32_e32 v4, v3, v2
	v_fma_f32 v8, -v1, v4, v3
	v_fmac_f32_e32 v4, v8, v2
	v_fma_f32 v1, -v1, v4, v3
	v_div_fmas_f32 v1, v1, v2, v4
	v_div_fixup_f32 v2, v1, v19, 1.0
.LBB33_80:
	v_add_u32_e32 v0, s8, v0
	v_mul_lo_u32 v0, v0, s63
	v_add_u32_e32 v0, s9, v0
	v_mul_lo_u32 v0, s2, v0
	v_add_u32_e32 v0, s3, v0
	s_and_saveexec_b64 s[6:7], s[44:45]
	s_cbranch_execz .LBB33_82
; %bb.81:
	v_cvt_f32_f16_sdwa v11, v157 dst_sel:DWORD dst_unused:UNUSED_PAD src0_sel:WORD_1
	v_cvt_f32_f16_e32 v10, v157
	v_cvt_f32_f16_sdwa v13, v158 dst_sel:DWORD dst_unused:UNUSED_PAD src0_sel:WORD_1
	v_cvt_f32_f16_e32 v12, v158
	s_movk_i32 s10, 0x50
	v_mad_u64_u32 v[8:9], s[10:11], v0, s10, v[104:105]
	v_mov_b32_e32 v9, 0
	v_lshl_add_u64 v[14:15], v[8:9], 2, s[56:57]
	v_pk_mul_f32 v[8:9], v[2:3], v[10:11] op_sel_hi:[0,1]
	v_pk_mul_f32 v[10:11], v[2:3], v[12:13] op_sel_hi:[0,1]
	global_store_dwordx4 v[14:15], v[8:11], off
.LBB33_82:
	s_or_b64 exec, exec, s[6:7]
	s_and_saveexec_b64 s[6:7], s[4:5]
	s_cbranch_execz .LBB33_84
; %bb.83:
	v_ashrrev_i32_e32 v1, 31, v0
	v_lshl_add_u64 v[0:1], v[0:1], 3, s[58:59]
	v_mov_b32_e32 v18, v5
	global_store_dwordx2 v[0:1], v[18:19], off
.LBB33_84:
	s_or_b64 exec, exec, s[6:7]
	v_lshrrev_b32_e32 v0, 1, v121
	v_add_u32_e32 v1, s33, v0
	v_cmp_gt_i32_e32 vcc, s62, v1
	s_and_b64 exec, exec, vcc
	s_cbranch_execz .LBB33_98
; %bb.85:
	s_and_b64 vcc, exec, s[0:1]
	v_mov_b32_e32 v2, 1.0
	s_cbranch_vccnz .LBB33_87
; %bb.86:
	v_div_scale_f32 v1, s[6:7], v16, v16, 1.0
	v_rcp_f32_e32 v2, v1
	v_div_scale_f32 v3, vcc, 1.0, v16, 1.0
	v_fma_f32 v4, -v1, v2, 1.0
	v_fmac_f32_e32 v2, v4, v2
	v_mul_f32_e32 v4, v3, v2
	v_fma_f32 v5, -v1, v4, v3
	v_fmac_f32_e32 v4, v5, v2
	v_fma_f32 v1, -v1, v4, v3
	v_div_fmas_f32 v1, v1, v2, v4
	v_div_fixup_f32 v2, v1, v16, 1.0
.LBB33_87:
	v_add_u32_e32 v0, s8, v0
	v_mul_lo_u32 v0, v0, s63
	v_add_u32_e32 v0, s64, v0
	v_mul_lo_u32 v0, s2, v0
	v_add_u32_e32 v0, s3, v0
	s_and_saveexec_b64 s[6:7], s[44:45]
	s_cbranch_execz .LBB33_89
; %bb.88:
	v_cvt_f32_f16_sdwa v9, v155 dst_sel:DWORD dst_unused:UNUSED_PAD src0_sel:WORD_1
	v_cvt_f32_f16_e32 v8, v155
	v_cvt_f32_f16_sdwa v11, v156 dst_sel:DWORD dst_unused:UNUSED_PAD src0_sel:WORD_1
	v_cvt_f32_f16_e32 v10, v156
	s_movk_i32 s10, 0x50
	v_mad_u64_u32 v[4:5], s[10:11], v0, s10, v[104:105]
	v_mov_b32_e32 v5, 0
	v_lshl_add_u64 v[4:5], v[4:5], 2, s[56:57]
	v_pk_mul_f32 v[8:9], v[2:3], v[8:9] op_sel_hi:[0,1]
	v_pk_mul_f32 v[10:11], v[2:3], v[10:11] op_sel_hi:[0,1]
	global_store_dwordx4 v[4:5], v[8:11], off
.LBB33_89:
	s_or_b64 exec, exec, s[6:7]
	s_and_saveexec_b64 s[6:7], s[4:5]
	s_cbranch_execz .LBB33_91
; %bb.90:
	v_ashrrev_i32_e32 v1, 31, v0
	v_lshl_add_u64 v[0:1], v[0:1], 3, s[58:59]
	v_mov_b32_e32 v2, v6
	v_mov_b32_e32 v3, v16
	global_store_dwordx2 v[0:1], v[2:3], off
.LBB33_91:
	s_or_b64 exec, exec, s[6:7]
	v_lshrrev_b32_e32 v0, 1, v105
	v_add_u32_e32 v1, s33, v0
	v_cmp_gt_i32_e32 vcc, s62, v1
	s_and_b64 exec, exec, vcc
	s_cbranch_execz .LBB33_98
; %bb.92:
	s_and_b64 vcc, exec, s[0:1]
	v_mov_b32_e32 v2, 1.0
	s_cbranch_vccnz .LBB33_94
; %bb.93:
	v_div_scale_f32 v1, s[0:1], v17, v17, 1.0
	v_rcp_f32_e32 v2, v1
	v_div_scale_f32 v3, vcc, 1.0, v17, 1.0
	v_fma_f32 v4, -v1, v2, 1.0
	v_fmac_f32_e32 v2, v4, v2
	v_mul_f32_e32 v4, v3, v2
	v_fma_f32 v5, -v1, v4, v3
	v_fmac_f32_e32 v4, v5, v2
	v_fma_f32 v1, -v1, v4, v3
	v_div_fmas_f32 v1, v1, v2, v4
	v_div_fixup_f32 v2, v1, v17, 1.0
.LBB33_94:
	v_add_u32_e32 v0, s8, v0
	v_mul_lo_u32 v0, v0, s63
	v_add_u32_e32 v0, s9, v0
	v_mul_lo_u32 v0, s2, v0
	v_add_u32_e32 v0, s3, v0
	s_and_saveexec_b64 s[0:1], s[44:45]
	s_cbranch_execz .LBB33_96
; %bb.95:
	v_cvt_f32_f16_sdwa v9, v153 dst_sel:DWORD dst_unused:UNUSED_PAD src0_sel:WORD_1
	v_cvt_f32_f16_e32 v8, v153
	v_cvt_f32_f16_sdwa v11, v154 dst_sel:DWORD dst_unused:UNUSED_PAD src0_sel:WORD_1
	v_cvt_f32_f16_e32 v10, v154
	s_movk_i32 s2, 0x50
	v_mad_u64_u32 v[4:5], s[2:3], v0, s2, v[104:105]
	v_mov_b32_e32 v5, 0
	v_lshl_add_u64 v[4:5], v[4:5], 2, s[56:57]
	v_pk_mul_f32 v[8:9], v[2:3], v[8:9] op_sel_hi:[0,1]
	v_pk_mul_f32 v[10:11], v[2:3], v[10:11] op_sel_hi:[0,1]
	global_store_dwordx4 v[4:5], v[8:11], off
.LBB33_96:
	s_or_b64 exec, exec, s[0:1]
	s_and_b64 exec, exec, s[4:5]
	s_cbranch_execz .LBB33_98
; %bb.97:
	v_ashrrev_i32_e32 v1, 31, v0
	v_lshl_add_u64 v[0:1], v[0:1], 3, s[58:59]
	v_mov_b32_e32 v16, v7
	global_store_dwordx2 v[0:1], v[16:17], off
.LBB33_98:
	s_endpgm
	.section	.rodata,"a",@progbits
	.p2align	6, 0x0
	.amdhsa_kernel _ZL15flash_attn_tileILi80ELi80ELi32ELi2ELb0EEvPKcS1_S1_S1_S1_PKiPfP15HIP_vector_typeIfLj2EEffffjfiS5_IjLj3EEiiiiiiiiiiiliiliiiiil
		.amdhsa_group_segment_fixed_size 17600
		.amdhsa_private_segment_fixed_size 0
		.amdhsa_kernarg_size 464
		.amdhsa_user_sgpr_count 2
		.amdhsa_user_sgpr_dispatch_ptr 0
		.amdhsa_user_sgpr_queue_ptr 0
		.amdhsa_user_sgpr_kernarg_segment_ptr 1
		.amdhsa_user_sgpr_dispatch_id 0
		.amdhsa_user_sgpr_kernarg_preload_length 0
		.amdhsa_user_sgpr_kernarg_preload_offset 0
		.amdhsa_user_sgpr_private_segment_size 0
		.amdhsa_uses_dynamic_stack 0
		.amdhsa_enable_private_segment 0
		.amdhsa_system_sgpr_workgroup_id_x 1
		.amdhsa_system_sgpr_workgroup_id_y 1
		.amdhsa_system_sgpr_workgroup_id_z 1
		.amdhsa_system_sgpr_workgroup_info 0
		.amdhsa_system_vgpr_workitem_id 1
		.amdhsa_next_free_vgpr 198
		.amdhsa_next_free_sgpr 75
		.amdhsa_accum_offset 200
		.amdhsa_reserve_vcc 1
		.amdhsa_float_round_mode_32 0
		.amdhsa_float_round_mode_16_64 0
		.amdhsa_float_denorm_mode_32 3
		.amdhsa_float_denorm_mode_16_64 3
		.amdhsa_dx10_clamp 1
		.amdhsa_ieee_mode 1
		.amdhsa_fp16_overflow 0
		.amdhsa_tg_split 0
		.amdhsa_exception_fp_ieee_invalid_op 0
		.amdhsa_exception_fp_denorm_src 0
		.amdhsa_exception_fp_ieee_div_zero 0
		.amdhsa_exception_fp_ieee_overflow 0
		.amdhsa_exception_fp_ieee_underflow 0
		.amdhsa_exception_fp_ieee_inexact 0
		.amdhsa_exception_int_div_zero 0
	.end_amdhsa_kernel
	.section	.text._ZL15flash_attn_tileILi80ELi80ELi32ELi2ELb0EEvPKcS1_S1_S1_S1_PKiPfP15HIP_vector_typeIfLj2EEffffjfiS5_IjLj3EEiiiiiiiiiiiliiliiiiil,"axG",@progbits,_ZL15flash_attn_tileILi80ELi80ELi32ELi2ELb0EEvPKcS1_S1_S1_S1_PKiPfP15HIP_vector_typeIfLj2EEffffjfiS5_IjLj3EEiiiiiiiiiiiliiliiiiil,comdat
.Lfunc_end33:
	.size	_ZL15flash_attn_tileILi80ELi80ELi32ELi2ELb0EEvPKcS1_S1_S1_S1_PKiPfP15HIP_vector_typeIfLj2EEffffjfiS5_IjLj3EEiiiiiiiiiiiliiliiiiil, .Lfunc_end33-_ZL15flash_attn_tileILi80ELi80ELi32ELi2ELb0EEvPKcS1_S1_S1_S1_PKiPfP15HIP_vector_typeIfLj2EEffffjfiS5_IjLj3EEiiiiiiiiiiiliiliiiiil
                                        ; -- End function
	.section	.AMDGPU.csdata,"",@progbits
; Kernel info:
; codeLenInByte = 19968
; NumSgprs: 81
; NumVgprs: 198
; NumAgprs: 0
; TotalNumVgprs: 198
; ScratchSize: 0
; MemoryBound: 0
; FloatMode: 240
; IeeeMode: 1
; LDSByteSize: 17600 bytes/workgroup (compile time only)
; SGPRBlocks: 10
; VGPRBlocks: 24
; NumSGPRsForWavesPerEU: 81
; NumVGPRsForWavesPerEU: 198
; AccumOffset: 200
; Occupancy: 2
; WaveLimiterHint : 1
; COMPUTE_PGM_RSRC2:SCRATCH_EN: 0
; COMPUTE_PGM_RSRC2:USER_SGPR: 2
; COMPUTE_PGM_RSRC2:TRAP_HANDLER: 0
; COMPUTE_PGM_RSRC2:TGID_X_EN: 1
; COMPUTE_PGM_RSRC2:TGID_Y_EN: 1
; COMPUTE_PGM_RSRC2:TGID_Z_EN: 1
; COMPUTE_PGM_RSRC2:TIDIG_COMP_CNT: 1
; COMPUTE_PGM_RSRC3_GFX90A:ACCUM_OFFSET: 49
; COMPUTE_PGM_RSRC3_GFX90A:TG_SPLIT: 0
	.section	.text._ZL25flash_attn_mask_to_KV_maxILi32EEvPK7__half2Piiii,"axG",@progbits,_ZL25flash_attn_mask_to_KV_maxILi32EEvPK7__half2Piiii,comdat
	.globl	_ZL25flash_attn_mask_to_KV_maxILi32EEvPK7__half2Piiii ; -- Begin function _ZL25flash_attn_mask_to_KV_maxILi32EEvPK7__half2Piiii
	.p2align	8
	.type	_ZL25flash_attn_mask_to_KV_maxILi32EEvPK7__half2Piiii,@function
_ZL25flash_attn_mask_to_KV_maxILi32EEvPK7__half2Piiii: ; @_ZL25flash_attn_mask_to_KV_maxILi32EEvPK7__half2Piiii
; %bb.0:
	s_load_dwordx4 s[4:7], s[0:1], 0x0
	v_cmp_gt_u32_e32 vcc, 32, v0
	s_and_saveexec_b64 s[8:9], vcc
	s_cbranch_execz .LBB34_2
; %bb.1:
	v_lshlrev_b32_e32 v1, 2, v0
	v_mov_b32_e32 v2, 1
	ds_write_b32 v1, v2
.LBB34_2:
	s_or_b64 exec, exec, s[8:9]
	s_load_dwordx4 s[8:11], s[0:1], 0x10
	s_load_dword s33, s[0:1], 0x20
	v_and_b32_e32 v2, 31, v0
	v_lshlrev_b32_e32 v6, 2, v2
	v_lshrrev_b32_e32 v1, 3, v0
	s_waitcnt lgkmcnt(0)
	s_mul_i32 s1, s2, s9
	s_mul_i32 s0, s3, s10
	s_lshl_b32 s1, s1, 5
	s_add_i32 s0, s0, s1
	s_ashr_i32 s1, s0, 31
	s_lshl_b64 s[0:1], s[0:1], 2
	s_add_u32 s10, s4, s0
	s_addc_u32 s11, s5, s1
	v_cmp_eq_u32_e64 s[0:1], 0, v2
	v_mbcnt_lo_u32_b32 v2, -1, 0
	s_lshl_b32 s8, s8, 8
	s_mov_b64 s[12:13], 0
	v_mov_b32_e32 v3, 0
	s_movk_i32 s98, 0x204
	s_movk_i32 s99, 0x7fff
	;; [unrolled: 1-line block ×3, first 2 shown]
	v_mbcnt_hi_u32_b32 v7, -1, v2
	s_barrier
	s_waitcnt lgkmcnt(0)
                                        ; implicit-def: $sgpr4_sgpr5
	s_branch .LBB34_5
.LBB34_3:                               ;   in Loop: Header=BB34_5 Depth=1
	s_or_b64 exec, exec, s[14:15]
	s_waitcnt lgkmcnt(0)
	s_barrier
	ds_read_b32 v10, v6
	s_waitcnt lgkmcnt(0)
	s_barrier
	ds_bpermute_b32 v2, v2, v10
	v_cmp_ne_u32_e32 vcc, 0, v10
	s_waitcnt lgkmcnt(0)
	v_cmp_ne_u32_e64 s[4:5], 0, v2
	s_and_b64 s[4:5], vcc, s[4:5]
	s_nop 0
	v_cndmask_b32_e64 v2, 0, 1, s[4:5]
	ds_bpermute_b32 v2, v4, v2
	s_waitcnt lgkmcnt(0)
	v_cmp_ne_u32_e32 vcc, 0, v2
	s_and_b64 s[4:5], vcc, s[4:5]
	v_cndmask_b32_e64 v2, 0, 1, s[4:5]
	ds_bpermute_b32 v2, v5, v2
	s_waitcnt lgkmcnt(0)
	v_cmp_ne_u32_e32 vcc, 0, v2
	s_and_b64 s[4:5], vcc, s[4:5]
	;; [unrolled: 5-line block ×3, first 2 shown]
	v_cndmask_b32_e64 v2, 0, 1, s[4:5]
	ds_bpermute_b32 v2, v9, v2
	s_xor_b64 s[4:5], s[4:5], -1
	s_waitcnt lgkmcnt(0)
	v_cmp_eq_u32_e32 vcc, 0, v2
	s_or_b64 s[4:5], vcc, s[4:5]
.LBB34_4:                               ;   in Loop: Header=BB34_5 Depth=1
	s_and_b64 s[14:15], exec, s[4:5]
	s_or_b64 s[12:13], s[14:15], s[12:13]
	v_mov_b32_e32 v2, s8
	s_mov_b32 s8, s97
	s_andn2_b64 exec, exec, s[12:13]
	s_cbranch_execz .LBB34_132
.LBB34_5:                               ; =>This Inner Loop Header: Depth=1
	s_add_i32 s97, s8, 0xffffff00
	s_or_b64 s[4:5], s[4:5], exec
	s_cmp_lt_i32 s97, 0
	s_cbranch_scc1 .LBB34_4
; %bb.6:                                ;   in Loop: Header=BB34_5 Depth=1
	s_lshr_b32 s4, s97, 1
	v_add_u32_e32 v2, s4, v0
	v_lshl_add_u64 v[4:5], v[2:3], 2, s[10:11]
	global_load_dword v4, v[4:5], off
	s_mov_b64 s[14:15], 0
	s_waitcnt vmcnt(0)
	v_cmp_class_f16_e64 s[4:5], v4, s98
	v_and_b32_sdwa v4, s99, v4 dst_sel:DWORD dst_unused:UNUSED_PAD src0_sel:DWORD src1_sel:WORD_1
	v_cmp_eq_f16_e32 vcc, s96, v4
	s_and_b64 s[16:17], s[4:5], vcc
	s_and_saveexec_b64 s[4:5], s[16:17]
	s_cbranch_execz .LBB34_130
; %bb.7:                                ;   in Loop: Header=BB34_5 Depth=1
	v_add_u32_e32 v4, s9, v2
	v_ashrrev_i32_e32 v5, 31, v4
	v_lshl_add_u64 v[8:9], v[4:5], 2, s[10:11]
	global_load_dword v2, v[8:9], off
	s_mov_b64 s[16:17], 0
	s_waitcnt vmcnt(0)
	v_cmp_class_f16_e64 s[18:19], v2, s98
	s_and_saveexec_b64 s[14:15], s[18:19]
	s_cbranch_execz .LBB34_129
; %bb.8:                                ;   in Loop: Header=BB34_5 Depth=1
	v_cmp_class_f16_sdwa s[20:21], v2, s98 src0_sel:WORD_1 src1_sel:DWORD
	s_mov_b64 s[18:19], 0
	s_and_saveexec_b64 s[16:17], s[20:21]
	s_cbranch_execz .LBB34_128
; %bb.9:                                ;   in Loop: Header=BB34_5 Depth=1
	v_add_u32_e32 v4, s9, v4
	v_ashrrev_i32_e32 v5, 31, v4
	v_lshl_add_u64 v[8:9], v[4:5], 2, s[10:11]
	global_load_dword v2, v[8:9], off
	s_mov_b64 s[20:21], 0
	s_waitcnt vmcnt(0)
	v_cmp_class_f16_e64 s[22:23], v2, s98
	s_and_saveexec_b64 s[18:19], s[22:23]
	s_cbranch_execz .LBB34_127
; %bb.10:                               ;   in Loop: Header=BB34_5 Depth=1
	v_cmp_class_f16_sdwa s[24:25], v2, s98 src0_sel:WORD_1 src1_sel:DWORD
	s_mov_b64 s[22:23], 0
	s_and_saveexec_b64 s[20:21], s[24:25]
	s_cbranch_execz .LBB34_126
; %bb.11:                               ;   in Loop: Header=BB34_5 Depth=1
	v_add_u32_e32 v4, s9, v4
	v_ashrrev_i32_e32 v5, 31, v4
	v_lshl_add_u64 v[8:9], v[4:5], 2, s[10:11]
	global_load_dword v2, v[8:9], off
	s_mov_b64 s[24:25], 0
	s_waitcnt vmcnt(0)
	v_cmp_class_f16_e64 s[26:27], v2, s98
	s_and_saveexec_b64 s[22:23], s[26:27]
	s_cbranch_execz .LBB34_125
; %bb.12:                               ;   in Loop: Header=BB34_5 Depth=1
	v_cmp_class_f16_sdwa s[28:29], v2, s98 src0_sel:WORD_1 src1_sel:DWORD
	s_mov_b64 s[26:27], 0
	s_and_saveexec_b64 s[24:25], s[28:29]
	s_cbranch_execz .LBB34_124
; %bb.13:                               ;   in Loop: Header=BB34_5 Depth=1
	;; [unrolled: 15-line block ×18, first 2 shown]
	v_add_u32_e32 v4, s9, v4
	v_ashrrev_i32_e32 v5, 31, v4
	v_lshl_add_u64 v[8:9], v[4:5], 2, s[10:11]
	global_load_dword v2, v[8:9], off
	s_mov_b64 s[94:95], 0
	s_waitcnt vmcnt(0)
	v_cmp_class_f16_e64 vcc, v2, s98
	s_mov_b64 s[92:93], exec
                                        ; implicit-def: $vgpr12 : SGPR spill to VGPR lane
	v_writelane_b32 v12, s92, 0
	s_and_b64 vcc, s[92:93], vcc
	s_nop 0
	v_writelane_b32 v12, s93, 1
	s_mov_b64 exec, vcc
	s_cbranch_execz .LBB34_91
; %bb.46:                               ;   in Loop: Header=BB34_5 Depth=1
	v_cmp_class_f16_sdwa s[94:95], v2, s98 src0_sel:WORD_1 src1_sel:DWORD
	s_mov_b64 vcc, 0
	s_mov_b64 s[92:93], exec
	v_writelane_b32 v12, s92, 2
	s_and_b64 s[94:95], s[92:93], s[94:95]
	s_nop 0
	v_writelane_b32 v12, s93, 3
	s_mov_b64 exec, s[94:95]
	s_cbranch_execz .LBB34_90
; %bb.47:                               ;   in Loop: Header=BB34_5 Depth=1
	v_add_u32_e32 v4, s9, v4
	v_ashrrev_i32_e32 v5, 31, v4
	v_lshl_add_u64 v[8:9], v[4:5], 2, s[10:11]
	global_load_dword v2, v[8:9], off
	s_waitcnt vmcnt(0)
	v_cmp_class_f16_e64 s[94:95], v2, s98
	s_mov_b64 s[92:93], exec
	v_writelane_b32 v12, s92, 4
	s_and_b64 s[94:95], s[92:93], s[94:95]
	s_nop 0
	v_writelane_b32 v12, s93, 5
	s_mov_b64 exec, s[94:95]
	s_cbranch_execz .LBB34_89
; %bb.48:                               ;   in Loop: Header=BB34_5 Depth=1
	v_cmp_class_f16_sdwa s[94:95], v2, s98 src0_sel:WORD_1 src1_sel:DWORD
	s_mov_b64 vcc, 0
	s_mov_b64 s[92:93], exec
	v_writelane_b32 v12, s92, 6
	s_and_b64 s[94:95], s[92:93], s[94:95]
	s_nop 0
	v_writelane_b32 v12, s93, 7
	s_mov_b64 exec, s[94:95]
	s_cbranch_execz .LBB34_88
; %bb.49:                               ;   in Loop: Header=BB34_5 Depth=1
	v_add_u32_e32 v4, s9, v4
	v_ashrrev_i32_e32 v5, 31, v4
	v_lshl_add_u64 v[8:9], v[4:5], 2, s[10:11]
	global_load_dword v2, v[8:9], off
	s_waitcnt vmcnt(0)
	v_cmp_class_f16_e64 s[94:95], v2, s98
	s_mov_b64 s[92:93], exec
	v_writelane_b32 v12, s92, 8
	s_and_b64 s[94:95], s[92:93], s[94:95]
	s_nop 0
	v_writelane_b32 v12, s93, 9
	s_mov_b64 exec, s[94:95]
	;; [unrolled: 24-line block ×10, first 2 shown]
	s_cbranch_execz .LBB34_71
; %bb.66:                               ;   in Loop: Header=BB34_5 Depth=1
	v_cmp_class_f16_sdwa s[94:95], v2, s98 src0_sel:WORD_1 src1_sel:DWORD
	s_mov_b64 vcc, 0
	s_mov_b64 s[92:93], exec
	v_writelane_b32 v12, s92, 42
	s_and_b64 s[94:95], s[92:93], s[94:95]
	s_nop 0
	v_writelane_b32 v12, s93, 43
	s_mov_b64 exec, s[94:95]
	s_cbranch_execz .LBB34_70
; %bb.67:                               ;   in Loop: Header=BB34_5 Depth=1
	v_add_u32_e32 v4, s9, v4
	v_ashrrev_i32_e32 v5, 31, v4
	v_lshl_add_u64 v[4:5], v[4:5], 2, s[10:11]
	global_load_dword v2, v[4:5], off
	s_waitcnt vmcnt(0)
	v_cmp_class_f16_e64 s[94:95], v2, s98
	s_and_saveexec_b64 s[92:93], s[94:95]
; %bb.68:                               ;   in Loop: Header=BB34_5 Depth=1
	v_cmp_class_f16_sdwa s[94:95], v2, s98 src0_sel:WORD_1 src1_sel:DWORD
	s_and_b64 vcc, s[94:95], exec
; %bb.69:                               ;   in Loop: Header=BB34_5 Depth=1
	s_or_b64 exec, exec, s[92:93]
	s_and_b64 vcc, vcc, exec
.LBB34_70:                              ;   in Loop: Header=BB34_5 Depth=1
	v_readlane_b32 s94, v12, 42
	v_readlane_b32 s95, v12, 43
	s_or_b64 exec, exec, s[94:95]
	s_and_b64 vcc, vcc, exec
.LBB34_71:                              ;   in Loop: Header=BB34_5 Depth=1
	v_readlane_b32 s92, v12, 40
	v_readlane_b32 s93, v12, 41
	s_or_b64 exec, exec, s[92:93]
	s_and_b64 vcc, vcc, exec
.LBB34_72:                              ;   in Loop: Header=BB34_5 Depth=1
	v_readlane_b32 s94, v12, 38
	v_readlane_b32 s95, v12, 39
	s_or_b64 exec, exec, s[94:95]
	s_and_b64 vcc, vcc, exec
.LBB34_73:                              ;   in Loop: Header=BB34_5 Depth=1
	v_readlane_b32 s92, v12, 36
	v_readlane_b32 s93, v12, 37
	s_or_b64 exec, exec, s[92:93]
	s_and_b64 vcc, vcc, exec
.LBB34_74:                              ;   in Loop: Header=BB34_5 Depth=1
	v_readlane_b32 s94, v12, 34
	v_readlane_b32 s95, v12, 35
	s_or_b64 exec, exec, s[94:95]
	s_and_b64 vcc, vcc, exec
.LBB34_75:                              ;   in Loop: Header=BB34_5 Depth=1
	v_readlane_b32 s92, v12, 32
	v_readlane_b32 s93, v12, 33
	s_or_b64 exec, exec, s[92:93]
	s_and_b64 vcc, vcc, exec
.LBB34_76:                              ;   in Loop: Header=BB34_5 Depth=1
	v_readlane_b32 s94, v12, 30
	v_readlane_b32 s95, v12, 31
	s_or_b64 exec, exec, s[94:95]
	s_and_b64 vcc, vcc, exec
.LBB34_77:                              ;   in Loop: Header=BB34_5 Depth=1
	v_readlane_b32 s92, v12, 28
	v_readlane_b32 s93, v12, 29
	s_or_b64 exec, exec, s[92:93]
	s_and_b64 vcc, vcc, exec
.LBB34_78:                              ;   in Loop: Header=BB34_5 Depth=1
	v_readlane_b32 s94, v12, 26
	v_readlane_b32 s95, v12, 27
	s_or_b64 exec, exec, s[94:95]
	s_and_b64 vcc, vcc, exec
.LBB34_79:                              ;   in Loop: Header=BB34_5 Depth=1
	v_readlane_b32 s92, v12, 24
	v_readlane_b32 s93, v12, 25
	s_or_b64 exec, exec, s[92:93]
	s_and_b64 vcc, vcc, exec
.LBB34_80:                              ;   in Loop: Header=BB34_5 Depth=1
	v_readlane_b32 s94, v12, 22
	v_readlane_b32 s95, v12, 23
	s_or_b64 exec, exec, s[94:95]
	s_and_b64 vcc, vcc, exec
.LBB34_81:                              ;   in Loop: Header=BB34_5 Depth=1
	v_readlane_b32 s92, v12, 20
	v_readlane_b32 s93, v12, 21
	s_or_b64 exec, exec, s[92:93]
	s_and_b64 vcc, vcc, exec
.LBB34_82:                              ;   in Loop: Header=BB34_5 Depth=1
	v_readlane_b32 s94, v12, 18
	v_readlane_b32 s95, v12, 19
	s_or_b64 exec, exec, s[94:95]
	s_and_b64 vcc, vcc, exec
.LBB34_83:                              ;   in Loop: Header=BB34_5 Depth=1
	v_readlane_b32 s92, v12, 16
	v_readlane_b32 s93, v12, 17
	s_or_b64 exec, exec, s[92:93]
	s_and_b64 vcc, vcc, exec
.LBB34_84:                              ;   in Loop: Header=BB34_5 Depth=1
	v_readlane_b32 s94, v12, 14
	v_readlane_b32 s95, v12, 15
	s_or_b64 exec, exec, s[94:95]
	s_and_b64 vcc, vcc, exec
.LBB34_85:                              ;   in Loop: Header=BB34_5 Depth=1
	v_readlane_b32 s92, v12, 12
	v_readlane_b32 s93, v12, 13
	s_or_b64 exec, exec, s[92:93]
	s_and_b64 vcc, vcc, exec
.LBB34_86:                              ;   in Loop: Header=BB34_5 Depth=1
	v_readlane_b32 s94, v12, 10
	v_readlane_b32 s95, v12, 11
	s_or_b64 exec, exec, s[94:95]
	s_and_b64 vcc, vcc, exec
.LBB34_87:                              ;   in Loop: Header=BB34_5 Depth=1
	v_readlane_b32 s92, v12, 8
	v_readlane_b32 s93, v12, 9
	s_or_b64 exec, exec, s[92:93]
	s_and_b64 vcc, vcc, exec
.LBB34_88:                              ;   in Loop: Header=BB34_5 Depth=1
	v_readlane_b32 s94, v12, 6
	v_readlane_b32 s95, v12, 7
	s_or_b64 exec, exec, s[94:95]
	s_and_b64 vcc, vcc, exec
.LBB34_89:                              ;   in Loop: Header=BB34_5 Depth=1
	v_readlane_b32 s92, v12, 4
	v_readlane_b32 s93, v12, 5
	s_or_b64 exec, exec, s[92:93]
	s_and_b64 vcc, vcc, exec
.LBB34_90:                              ;   in Loop: Header=BB34_5 Depth=1
	v_readlane_b32 s94, v12, 2
	v_readlane_b32 s95, v12, 3
	s_or_b64 exec, exec, s[94:95]
	s_and_b64 s[94:95], vcc, exec
.LBB34_91:                              ;   in Loop: Header=BB34_5 Depth=1
	v_readlane_b32 s92, v12, 0
	v_readlane_b32 s93, v12, 1
	s_or_b64 exec, exec, s[92:93]
	s_and_b64 s[92:93], s[94:95], exec
.LBB34_92:                              ;   in Loop: Header=BB34_5 Depth=1
	s_or_b64 exec, exec, s[90:91]
	s_and_b64 s[90:91], s[92:93], exec
.LBB34_93:                              ;   in Loop: Header=BB34_5 Depth=1
	s_or_b64 exec, exec, s[88:89]
	s_and_b64 s[88:89], s[90:91], exec
.LBB34_94:                              ;   in Loop: Header=BB34_5 Depth=1
	s_or_b64 exec, exec, s[86:87]
	s_and_b64 s[86:87], s[88:89], exec
.LBB34_95:                              ;   in Loop: Header=BB34_5 Depth=1
	s_or_b64 exec, exec, s[84:85]
	s_and_b64 s[84:85], s[86:87], exec
.LBB34_96:                              ;   in Loop: Header=BB34_5 Depth=1
	s_or_b64 exec, exec, s[82:83]
	s_and_b64 s[82:83], s[84:85], exec
.LBB34_97:                              ;   in Loop: Header=BB34_5 Depth=1
	s_or_b64 exec, exec, s[80:81]
	s_and_b64 s[80:81], s[82:83], exec
.LBB34_98:                              ;   in Loop: Header=BB34_5 Depth=1
	s_or_b64 exec, exec, s[78:79]
	s_and_b64 s[78:79], s[80:81], exec
.LBB34_99:                              ;   in Loop: Header=BB34_5 Depth=1
	s_or_b64 exec, exec, s[76:77]
	s_and_b64 s[76:77], s[78:79], exec
.LBB34_100:                             ;   in Loop: Header=BB34_5 Depth=1
	s_or_b64 exec, exec, s[74:75]
	s_and_b64 s[74:75], s[76:77], exec
.LBB34_101:                             ;   in Loop: Header=BB34_5 Depth=1
	s_or_b64 exec, exec, s[72:73]
	s_and_b64 s[72:73], s[74:75], exec
.LBB34_102:                             ;   in Loop: Header=BB34_5 Depth=1
	s_or_b64 exec, exec, s[70:71]
	s_and_b64 s[70:71], s[72:73], exec
.LBB34_103:                             ;   in Loop: Header=BB34_5 Depth=1
	s_or_b64 exec, exec, s[68:69]
	s_and_b64 s[68:69], s[70:71], exec
.LBB34_104:                             ;   in Loop: Header=BB34_5 Depth=1
	s_or_b64 exec, exec, s[66:67]
	s_and_b64 s[66:67], s[68:69], exec
.LBB34_105:                             ;   in Loop: Header=BB34_5 Depth=1
	s_or_b64 exec, exec, s[64:65]
	s_and_b64 s[64:65], s[66:67], exec
.LBB34_106:                             ;   in Loop: Header=BB34_5 Depth=1
	s_or_b64 exec, exec, s[62:63]
	s_and_b64 s[62:63], s[64:65], exec
.LBB34_107:                             ;   in Loop: Header=BB34_5 Depth=1
	s_or_b64 exec, exec, s[60:61]
	s_and_b64 s[60:61], s[62:63], exec
.LBB34_108:                             ;   in Loop: Header=BB34_5 Depth=1
	s_or_b64 exec, exec, s[58:59]
	s_and_b64 s[58:59], s[60:61], exec
.LBB34_109:                             ;   in Loop: Header=BB34_5 Depth=1
	s_or_b64 exec, exec, s[56:57]
	s_and_b64 s[56:57], s[58:59], exec
.LBB34_110:                             ;   in Loop: Header=BB34_5 Depth=1
	s_or_b64 exec, exec, s[54:55]
	s_and_b64 s[54:55], s[56:57], exec
.LBB34_111:                             ;   in Loop: Header=BB34_5 Depth=1
	s_or_b64 exec, exec, s[52:53]
	s_and_b64 s[52:53], s[54:55], exec
.LBB34_112:                             ;   in Loop: Header=BB34_5 Depth=1
	s_or_b64 exec, exec, s[50:51]
	s_and_b64 s[50:51], s[52:53], exec
.LBB34_113:                             ;   in Loop: Header=BB34_5 Depth=1
	s_or_b64 exec, exec, s[48:49]
	s_and_b64 s[48:49], s[50:51], exec
.LBB34_114:                             ;   in Loop: Header=BB34_5 Depth=1
	s_or_b64 exec, exec, s[46:47]
	s_and_b64 s[46:47], s[48:49], exec
.LBB34_115:                             ;   in Loop: Header=BB34_5 Depth=1
	s_or_b64 exec, exec, s[44:45]
	s_and_b64 s[44:45], s[46:47], exec
.LBB34_116:                             ;   in Loop: Header=BB34_5 Depth=1
	s_or_b64 exec, exec, s[42:43]
	s_and_b64 s[42:43], s[44:45], exec
.LBB34_117:                             ;   in Loop: Header=BB34_5 Depth=1
	s_or_b64 exec, exec, s[40:41]
	s_and_b64 s[40:41], s[42:43], exec
.LBB34_118:                             ;   in Loop: Header=BB34_5 Depth=1
	s_or_b64 exec, exec, s[38:39]
	s_and_b64 s[38:39], s[40:41], exec
.LBB34_119:                             ;   in Loop: Header=BB34_5 Depth=1
	s_or_b64 exec, exec, s[36:37]
	s_and_b64 s[36:37], s[38:39], exec
.LBB34_120:                             ;   in Loop: Header=BB34_5 Depth=1
	s_or_b64 exec, exec, s[34:35]
	s_and_b64 s[34:35], s[36:37], exec
.LBB34_121:                             ;   in Loop: Header=BB34_5 Depth=1
	s_or_b64 exec, exec, s[30:31]
	s_and_b64 s[30:31], s[34:35], exec
.LBB34_122:                             ;   in Loop: Header=BB34_5 Depth=1
	s_or_b64 exec, exec, s[28:29]
	s_and_b64 s[28:29], s[30:31], exec
.LBB34_123:                             ;   in Loop: Header=BB34_5 Depth=1
	s_or_b64 exec, exec, s[26:27]
	s_and_b64 s[26:27], s[28:29], exec
.LBB34_124:                             ;   in Loop: Header=BB34_5 Depth=1
	s_or_b64 exec, exec, s[24:25]
	s_and_b64 s[24:25], s[26:27], exec
.LBB34_125:                             ;   in Loop: Header=BB34_5 Depth=1
	s_or_b64 exec, exec, s[22:23]
	s_and_b64 s[22:23], s[24:25], exec
.LBB34_126:                             ;   in Loop: Header=BB34_5 Depth=1
	s_or_b64 exec, exec, s[20:21]
	s_and_b64 s[20:21], s[22:23], exec
.LBB34_127:                             ;   in Loop: Header=BB34_5 Depth=1
	s_or_b64 exec, exec, s[18:19]
	s_and_b64 s[18:19], s[20:21], exec
.LBB34_128:                             ;   in Loop: Header=BB34_5 Depth=1
	s_or_b64 exec, exec, s[16:17]
	s_and_b64 s[16:17], s[18:19], exec
.LBB34_129:                             ;   in Loop: Header=BB34_5 Depth=1
	s_or_b64 exec, exec, s[14:15]
	s_and_b64 s[14:15], s[16:17], exec
.LBB34_130:                             ;   in Loop: Header=BB34_5 Depth=1
	s_or_b64 exec, exec, s[4:5]
	v_and_b32_e32 v2, 0x60, v7
	v_add_u32_e32 v9, 32, v2
	v_xor_b32_e32 v2, 16, v7
	v_cmp_lt_i32_e32 vcc, v2, v9
	v_cndmask_b32_e64 v4, 0, 1, s[14:15]
	v_xor_b32_e32 v11, 1, v7
	v_cndmask_b32_e32 v2, v7, v2, vcc
	v_lshlrev_b32_e32 v2, 2, v2
	ds_bpermute_b32 v4, v2, v4
	s_waitcnt lgkmcnt(0)
	v_cmp_ne_u32_e32 vcc, 0, v4
	v_xor_b32_e32 v4, 8, v7
	s_and_b64 s[4:5], s[14:15], vcc
	v_cmp_lt_i32_e32 vcc, v4, v9
	v_cndmask_b32_e64 v5, 0, 1, s[4:5]
	s_nop 0
	v_cndmask_b32_e32 v4, v7, v4, vcc
	v_lshlrev_b32_e32 v4, 2, v4
	ds_bpermute_b32 v5, v4, v5
	s_waitcnt lgkmcnt(0)
	v_cmp_ne_u32_e32 vcc, 0, v5
	v_xor_b32_e32 v5, 4, v7
	s_and_b64 s[4:5], vcc, s[4:5]
	v_cmp_lt_i32_e32 vcc, v5, v9
	v_cndmask_b32_e64 v8, 0, 1, s[4:5]
	s_nop 0
	v_cndmask_b32_e32 v5, v7, v5, vcc
	v_lshlrev_b32_e32 v5, 2, v5
	ds_bpermute_b32 v8, v5, v8
	s_waitcnt lgkmcnt(0)
	v_cmp_ne_u32_e32 vcc, 0, v8
	v_xor_b32_e32 v8, 2, v7
	s_and_b64 s[4:5], vcc, s[4:5]
	v_cmp_lt_i32_e32 vcc, v8, v9
	v_cndmask_b32_e64 v10, 0, 1, s[4:5]
	s_nop 0
	v_cndmask_b32_e32 v8, v7, v8, vcc
	v_lshlrev_b32_e32 v8, 2, v8
	ds_bpermute_b32 v10, v8, v10
	s_waitcnt lgkmcnt(0)
	v_cmp_ne_u32_e32 vcc, 0, v10
	s_and_b64 s[4:5], vcc, s[4:5]
	v_cmp_lt_i32_e32 vcc, v11, v9
	v_cndmask_b32_e64 v10, 0, 1, s[4:5]
	s_nop 0
	v_cndmask_b32_e32 v9, v7, v11, vcc
	v_lshlrev_b32_e32 v9, 2, v9
	ds_bpermute_b32 v10, v9, v10
	s_and_saveexec_b64 s[14:15], s[0:1]
	s_cbranch_execz .LBB34_3
; %bb.131:                              ;   in Loop: Header=BB34_5 Depth=1
	s_waitcnt lgkmcnt(0)
	v_cmp_ne_u32_e32 vcc, 0, v10
	s_and_b64 s[4:5], vcc, s[4:5]
	v_cndmask_b32_e64 v10, 0, 1, s[4:5]
	ds_write_b32 v1, v10
	s_branch .LBB34_3
.LBB34_132:
	s_or_b64 exec, exec, s[12:13]
	v_cmp_eq_u32_e32 vcc, 0, v0
	s_and_saveexec_b64 s[0:1], vcc
	s_cbranch_execz .LBB34_134
; %bb.133:
	s_mul_i32 s0, s33, s3
	s_add_i32 s0, s0, s2
	s_ashr_i32 s1, s0, 31
	s_lshl_b64 s[0:1], s[0:1], 2
	s_add_u32 s0, s6, s0
	s_addc_u32 s1, s7, s1
	v_mov_b32_e32 v0, 0
	global_store_dword v0, v2, s[0:1]
.LBB34_134:
	s_endpgm
	.section	.rodata,"a",@progbits
	.p2align	6, 0x0
	.amdhsa_kernel _ZL25flash_attn_mask_to_KV_maxILi32EEvPK7__half2Piiii
		.amdhsa_group_segment_fixed_size 128
		.amdhsa_private_segment_fixed_size 0
		.amdhsa_kernarg_size 288
		.amdhsa_user_sgpr_count 2
		.amdhsa_user_sgpr_dispatch_ptr 0
		.amdhsa_user_sgpr_queue_ptr 0
		.amdhsa_user_sgpr_kernarg_segment_ptr 1
		.amdhsa_user_sgpr_dispatch_id 0
		.amdhsa_user_sgpr_kernarg_preload_length 0
		.amdhsa_user_sgpr_kernarg_preload_offset 0
		.amdhsa_user_sgpr_private_segment_size 0
		.amdhsa_uses_dynamic_stack 0
		.amdhsa_enable_private_segment 0
		.amdhsa_system_sgpr_workgroup_id_x 1
		.amdhsa_system_sgpr_workgroup_id_y 1
		.amdhsa_system_sgpr_workgroup_id_z 0
		.amdhsa_system_sgpr_workgroup_info 0
		.amdhsa_system_vgpr_workitem_id 0
		.amdhsa_next_free_vgpr 13
		.amdhsa_next_free_sgpr 100
		.amdhsa_accum_offset 16
		.amdhsa_reserve_vcc 1
		.amdhsa_float_round_mode_32 0
		.amdhsa_float_round_mode_16_64 0
		.amdhsa_float_denorm_mode_32 3
		.amdhsa_float_denorm_mode_16_64 3
		.amdhsa_dx10_clamp 1
		.amdhsa_ieee_mode 1
		.amdhsa_fp16_overflow 0
		.amdhsa_tg_split 0
		.amdhsa_exception_fp_ieee_invalid_op 0
		.amdhsa_exception_fp_denorm_src 0
		.amdhsa_exception_fp_ieee_div_zero 0
		.amdhsa_exception_fp_ieee_overflow 0
		.amdhsa_exception_fp_ieee_underflow 0
		.amdhsa_exception_fp_ieee_inexact 0
		.amdhsa_exception_int_div_zero 0
	.end_amdhsa_kernel
	.section	.text._ZL25flash_attn_mask_to_KV_maxILi32EEvPK7__half2Piiii,"axG",@progbits,_ZL25flash_attn_mask_to_KV_maxILi32EEvPK7__half2Piiii,comdat
.Lfunc_end34:
	.size	_ZL25flash_attn_mask_to_KV_maxILi32EEvPK7__half2Piiii, .Lfunc_end34-_ZL25flash_attn_mask_to_KV_maxILi32EEvPK7__half2Piiii
                                        ; -- End function
	.section	.AMDGPU.csdata,"",@progbits
; Kernel info:
; codeLenInByte = 4292
; NumSgprs: 106
; NumVgprs: 13
; NumAgprs: 0
; TotalNumVgprs: 13
; ScratchSize: 0
; MemoryBound: 0
; FloatMode: 240
; IeeeMode: 1
; LDSByteSize: 128 bytes/workgroup (compile time only)
; SGPRBlocks: 13
; VGPRBlocks: 1
; NumSGPRsForWavesPerEU: 106
; NumVGPRsForWavesPerEU: 13
; AccumOffset: 16
; Occupancy: 7
; WaveLimiterHint : 0
; COMPUTE_PGM_RSRC2:SCRATCH_EN: 0
; COMPUTE_PGM_RSRC2:USER_SGPR: 2
; COMPUTE_PGM_RSRC2:TRAP_HANDLER: 0
; COMPUTE_PGM_RSRC2:TGID_X_EN: 1
; COMPUTE_PGM_RSRC2:TGID_Y_EN: 1
; COMPUTE_PGM_RSRC2:TGID_Z_EN: 0
; COMPUTE_PGM_RSRC2:TIDIG_COMP_CNT: 0
; COMPUTE_PGM_RSRC3_GFX90A:ACCUM_OFFSET: 3
; COMPUTE_PGM_RSRC3_GFX90A:TG_SPLIT: 0
	.section	.text._ZL33flash_attn_stream_k_fixup_uniformILi80ELi32ELi2EEvPfPK15HIP_vector_typeIfLj2EEiiiiiiS1_IjLj3EES5_S5_,"axG",@progbits,_ZL33flash_attn_stream_k_fixup_uniformILi80ELi32ELi2EEvPfPK15HIP_vector_typeIfLj2EEiiiiiiS1_IjLj3EES5_S5_,comdat
	.globl	_ZL33flash_attn_stream_k_fixup_uniformILi80ELi32ELi2EEvPfPK15HIP_vector_typeIfLj2EEiiiiiiS1_IjLj3EES5_S5_ ; -- Begin function _ZL33flash_attn_stream_k_fixup_uniformILi80ELi32ELi2EEvPfPK15HIP_vector_typeIfLj2EEiiiiiiS1_IjLj3EES5_S5_
	.p2align	8
	.type	_ZL33flash_attn_stream_k_fixup_uniformILi80ELi32ELi2EEvPfPK15HIP_vector_typeIfLj2EEiiiiiiS1_IjLj3EES5_S5_,@function
_ZL33flash_attn_stream_k_fixup_uniformILi80ELi32ELi2EEvPfPK15HIP_vector_typeIfLj2EEiiiiiiS1_IjLj3EES5_S5_: ; @_ZL33flash_attn_stream_k_fixup_uniformILi80ELi32ELi2EEvPfPK15HIP_vector_typeIfLj2EEiiiiiiS1_IjLj3EES5_S5_
; %bb.0:
	s_load_dwordx8 s[8:15], s[0:1], 0x1c
	s_load_dwordx2 s[6:7], s[0:1], 0x10
	s_load_dwordx4 s[16:19], s[0:1], 0x3c
	s_waitcnt lgkmcnt(0)
	s_mul_hi_u32 s5, s11, s2
	s_add_i32 s5, s2, s5
	s_lshr_b32 s5, s5, s12
	s_mul_i32 s11, s5, s13
	s_sub_i32 s12, s2, s11
	s_mul_hi_u32 s11, s12, s14
	s_add_i32 s11, s12, s11
	s_lshr_b32 s11, s11, s15
	s_mul_i32 s13, s11, s16
	s_sub_i32 s12, s12, s13
	;; [unrolled: 5-line block ×3, first 2 shown]
	s_lshl_b32 s12, s16, 5
	s_lshl_b32 s17, s13, 1
	s_add_i32 s12, s12, s3
	s_cmp_lt_i32 s12, s6
	s_cselect_b64 s[12:13], -1, 0
	s_add_i32 s17, s17, s4
	s_cmp_lt_i32 s17, s9
	s_cselect_b64 s[14:15], -1, 0
	s_and_b64 s[12:13], s[12:13], s[14:15]
	s_andn2_b64 vcc, exec, s[12:13]
	s_cbranch_vccnz .LBB35_6
; %bb.1:
	s_load_dwordx4 s[12:15], s[0:1], 0x0
	s_mul_i32 s0, s5, s6
	s_mul_i32 s11, s11, s9
	s_add_i32 s0, s0, s3
	s_mul_i32 s0, s0, s7
	s_add_i32 s5, s17, s11
	;; [unrolled: 2-line block ×3, first 2 shown]
	s_mulk_i32 s1, 0xa00
	s_mulk_i32 s0, 0x50
	s_add_i32 s0, s0, s1
	v_add_u32_e32 v4, s0, v0
	s_waitcnt lgkmcnt(0)
	v_mov_b32_e32 v2, s12
	v_mov_b32_e32 v3, s13
	v_ashrrev_i32_e32 v5, 31, v4
	v_lshl_add_u64 v[2:3], v[4:5], 2, v[2:3]
	global_load_dword v7, v[2:3], off
	s_mul_i32 s5, s2, s10
	s_lshl_b32 s11, s3, 1
	s_add_i32 s9, s5, s10
	s_add_i32 s0, s11, s4
	s_lshl_b32 s1, s9, 6
	s_add_i32 s0, s0, s1
	s_sub_i32 s0, s0, 64
	s_ashr_i32 s1, s0, 31
	s_lshl_b64 s[0:1], s[0:1], 3
	s_add_u32 s0, s14, s0
	s_addc_u32 s1, s15, s1
	s_load_dword s12, s[0:1], 0x4
	s_add_i32 s6, s9, -2
	s_cmp_lt_i32 s6, s5
	s_cbranch_scc1 .LBB35_4
; %bb.2:
	s_lshl_b32 s6, s8, 8
	s_ashr_i32 s7, s6, 31
	s_lshl_b64 s[6:7], s[6:7], 2
	s_add_u32 s6, s14, s6
	s_addc_u32 s7, s15, s7
	s_add_i32 s2, s2, 1
	s_load_dword s0, s[0:1], 0x0
	s_mul_i32 s1, s10, s2
	s_lshl_b32 s2, s1, 6
	s_add_i32 s2, s4, s2
	s_mulk_i32 s3, 0xa0
	s_mulk_i32 s4, 0x50
	s_lshl_b32 s8, s8, 6
	s_mulk_i32 s1, 0x1400
	s_add_i32 s3, s4, s3
	s_add_i32 s2, s2, s8
	;; [unrolled: 1-line block ×4, first 2 shown]
	v_add_u32_e32 v0, s3, v0
	s_add_i32 s9, s9, -1
	s_addk_i32 s2, 0xff80
	v_add_u32_e32 v0, 0xffffd800, v0
	s_waitcnt lgkmcnt(0)
	v_mov_b32_e32 v6, s12
	v_mov_b32_e32 v5, s0
	s_mov_b32 s4, 0x3fb8aa3b
	s_mov_b32 s8, 0xc2ce8ed0
	;; [unrolled: 1-line block ×3, first 2 shown]
	v_mov_b32_e32 v4, 0x7f800000
	s_mov_b32 s11, 0xc1a00000
.LBB35_3:                               ; =>This Inner Loop Header: Depth=1
	v_ashrrev_i32_e32 v1, 31, v0
	v_lshl_add_u64 v[8:9], v[0:1], 2, s[6:7]
	global_load_dword v1, v[8:9], off
	s_ashr_i32 s3, s2, 31
	s_lshl_b64 s[0:1], s[2:3], 3
	s_add_u32 s0, s14, s0
	s_addc_u32 s1, s15, s1
	s_load_dwordx2 s[12:13], s[0:1], 0x0
	s_waitcnt vmcnt(1)
	v_mov_b32_e32 v8, v7
	v_max_f32_e32 v7, v5, v5
	v_mov_b32_e32 v9, v6
	s_add_i32 s9, s9, -1
	s_waitcnt lgkmcnt(0)
	v_max_f32_e64 v6, s12, s12
	v_max_f32_e32 v6, v7, v6
	v_sub_f32_e32 v10, s12, v6
	v_sub_f32_e32 v7, v5, v6
	v_mul_f32_e32 v11, 0x3fb8aa3b, v10
	v_mov_b32_e32 v5, v6
	v_mul_f32_e32 v6, 0x3fb8aa3b, v7
	v_fma_f32 v14, v10, s4, -v11
	v_rndne_f32_e32 v15, v11
	v_fma_f32 v12, v7, s4, -v6
	v_rndne_f32_e32 v13, v6
	v_fmac_f32_e32 v14, 0x32a5705f, v10
	v_sub_f32_e32 v11, v11, v15
	v_fmac_f32_e32 v12, 0x32a5705f, v7
	v_sub_f32_e32 v6, v6, v13
	v_add_f32_e32 v11, v11, v14
	v_cvt_i32_f32_e32 v15, v15
	v_add_f32_e32 v6, v6, v12
	v_exp_f32_e32 v11, v11
	v_cvt_i32_f32_e32 v13, v13
	v_exp_f32_e32 v6, v6
	v_cmp_ngt_f32_e32 vcc, s8, v10
	v_ldexp_f32 v11, v11, v15
	v_cmp_ngt_f32_e64 s[0:1], s8, v7
	v_ldexp_f32 v6, v6, v13
	v_cndmask_b32_e32 v11, 0, v11, vcc
	v_cmp_nlt_f32_e32 vcc, s10, v10
	v_cndmask_b32_e64 v6, 0, v6, s[0:1]
	v_cmp_nlt_f32_e64 s[0:1], s10, v7
	v_cndmask_b32_e32 v11, v4, v11, vcc
	v_cmp_le_f32_e32 vcc, s11, v10
	v_cndmask_b32_e64 v6, v4, v6, s[0:1]
	v_cmp_le_f32_e64 s[0:1], s11, v7
	v_cndmask_b32_e32 v7, 0, v11, vcc
	s_sub_i32 s2, s2, 64
	v_cndmask_b32_e64 v10, 0, v6, s[0:1]
	v_mul_f32_e32 v6, s13, v7
	v_add_u32_e32 v0, 0xffffec00, v0
	s_cmp_le_i32 s9, s5
	v_fmac_f32_e32 v6, v9, v10
	s_waitcnt vmcnt(0)
	v_mul_f32_e32 v7, v1, v7
	v_fmac_f32_e32 v7, v8, v10
	s_cbranch_scc0 .LBB35_3
	s_branch .LBB35_5
.LBB35_4:
	s_waitcnt lgkmcnt(0)
	v_mov_b32_e32 v6, s12
.LBB35_5:
	s_waitcnt vmcnt(0)
	v_div_scale_f32 v0, s[0:1], v6, v6, v7
	v_rcp_f32_e32 v1, v0
	v_div_scale_f32 v4, vcc, v7, v6, v7
	v_fma_f32 v5, -v0, v1, 1.0
	v_fmac_f32_e32 v1, v5, v1
	v_mul_f32_e32 v5, v4, v1
	v_fma_f32 v8, -v0, v5, v4
	v_fmac_f32_e32 v5, v8, v1
	v_fma_f32 v0, -v0, v5, v4
	v_div_fmas_f32 v0, v0, v1, v5
	v_div_fixup_f32 v0, v0, v6, v7
	global_store_dword v[2:3], v0, off
.LBB35_6:
	s_endpgm
	.section	.rodata,"a",@progbits
	.p2align	6, 0x0
	.amdhsa_kernel _ZL33flash_attn_stream_k_fixup_uniformILi80ELi32ELi2EEvPfPK15HIP_vector_typeIfLj2EEiiiiiiS1_IjLj3EES5_S5_
		.amdhsa_group_segment_fixed_size 0
		.amdhsa_private_segment_fixed_size 0
		.amdhsa_kernarg_size 76
		.amdhsa_user_sgpr_count 2
		.amdhsa_user_sgpr_dispatch_ptr 0
		.amdhsa_user_sgpr_queue_ptr 0
		.amdhsa_user_sgpr_kernarg_segment_ptr 1
		.amdhsa_user_sgpr_dispatch_id 0
		.amdhsa_user_sgpr_kernarg_preload_length 0
		.amdhsa_user_sgpr_kernarg_preload_offset 0
		.amdhsa_user_sgpr_private_segment_size 0
		.amdhsa_uses_dynamic_stack 0
		.amdhsa_enable_private_segment 0
		.amdhsa_system_sgpr_workgroup_id_x 1
		.amdhsa_system_sgpr_workgroup_id_y 1
		.amdhsa_system_sgpr_workgroup_id_z 1
		.amdhsa_system_sgpr_workgroup_info 0
		.amdhsa_system_vgpr_workitem_id 0
		.amdhsa_next_free_vgpr 16
		.amdhsa_next_free_sgpr 20
		.amdhsa_accum_offset 16
		.amdhsa_reserve_vcc 1
		.amdhsa_float_round_mode_32 0
		.amdhsa_float_round_mode_16_64 0
		.amdhsa_float_denorm_mode_32 3
		.amdhsa_float_denorm_mode_16_64 3
		.amdhsa_dx10_clamp 1
		.amdhsa_ieee_mode 1
		.amdhsa_fp16_overflow 0
		.amdhsa_tg_split 0
		.amdhsa_exception_fp_ieee_invalid_op 0
		.amdhsa_exception_fp_denorm_src 0
		.amdhsa_exception_fp_ieee_div_zero 0
		.amdhsa_exception_fp_ieee_overflow 0
		.amdhsa_exception_fp_ieee_underflow 0
		.amdhsa_exception_fp_ieee_inexact 0
		.amdhsa_exception_int_div_zero 0
	.end_amdhsa_kernel
	.section	.text._ZL33flash_attn_stream_k_fixup_uniformILi80ELi32ELi2EEvPfPK15HIP_vector_typeIfLj2EEiiiiiiS1_IjLj3EES5_S5_,"axG",@progbits,_ZL33flash_attn_stream_k_fixup_uniformILi80ELi32ELi2EEvPfPK15HIP_vector_typeIfLj2EEiiiiiiS1_IjLj3EES5_S5_,comdat
.Lfunc_end35:
	.size	_ZL33flash_attn_stream_k_fixup_uniformILi80ELi32ELi2EEvPfPK15HIP_vector_typeIfLj2EEiiiiiiS1_IjLj3EES5_S5_, .Lfunc_end35-_ZL33flash_attn_stream_k_fixup_uniformILi80ELi32ELi2EEvPfPK15HIP_vector_typeIfLj2EEiiiiiiS1_IjLj3EES5_S5_
                                        ; -- End function
	.section	.AMDGPU.csdata,"",@progbits
; Kernel info:
; codeLenInByte = 836
; NumSgprs: 26
; NumVgprs: 16
; NumAgprs: 0
; TotalNumVgprs: 16
; ScratchSize: 0
; MemoryBound: 0
; FloatMode: 240
; IeeeMode: 1
; LDSByteSize: 0 bytes/workgroup (compile time only)
; SGPRBlocks: 3
; VGPRBlocks: 1
; NumSGPRsForWavesPerEU: 26
; NumVGPRsForWavesPerEU: 16
; AccumOffset: 16
; Occupancy: 8
; WaveLimiterHint : 0
; COMPUTE_PGM_RSRC2:SCRATCH_EN: 0
; COMPUTE_PGM_RSRC2:USER_SGPR: 2
; COMPUTE_PGM_RSRC2:TRAP_HANDLER: 0
; COMPUTE_PGM_RSRC2:TGID_X_EN: 1
; COMPUTE_PGM_RSRC2:TGID_Y_EN: 1
; COMPUTE_PGM_RSRC2:TGID_Z_EN: 1
; COMPUTE_PGM_RSRC2:TIDIG_COMP_CNT: 0
; COMPUTE_PGM_RSRC3_GFX90A:ACCUM_OFFSET: 3
; COMPUTE_PGM_RSRC3_GFX90A:TG_SPLIT: 0
	.section	.text._ZL33flash_attn_stream_k_fixup_generalILi80ELi32ELi2EEvPfPK15HIP_vector_typeIfLj2EEiiiiS1_IjLj3EES5_S5_S5_,"axG",@progbits,_ZL33flash_attn_stream_k_fixup_generalILi80ELi32ELi2EEvPfPK15HIP_vector_typeIfLj2EEiiiiS1_IjLj3EES5_S5_S5_,comdat
	.globl	_ZL33flash_attn_stream_k_fixup_generalILi80ELi32ELi2EEvPfPK15HIP_vector_typeIfLj2EEiiiiS1_IjLj3EES5_S5_S5_ ; -- Begin function _ZL33flash_attn_stream_k_fixup_generalILi80ELi32ELi2EEvPfPK15HIP_vector_typeIfLj2EEiiiiS1_IjLj3EES5_S5_S5_
	.p2align	8
	.type	_ZL33flash_attn_stream_k_fixup_generalILi80ELi32ELi2EEvPfPK15HIP_vector_typeIfLj2EEiiiiS1_IjLj3EES5_S5_S5_,@function
_ZL33flash_attn_stream_k_fixup_generalILi80ELi32ELi2EEvPfPK15HIP_vector_typeIfLj2EEiiiiS1_IjLj3EES5_S5_S5_: ; @_ZL33flash_attn_stream_k_fixup_generalILi80ELi32ELi2EEvPfPK15HIP_vector_typeIfLj2EEiiiiS1_IjLj3EES5_S5_S5_
; %bb.0:
	s_load_dwordx4 s[12:15], s[0:1], 0x10
	s_load_dword s22, s[0:1], 0x50
	s_mov_b32 s8, 0
	s_waitcnt lgkmcnt(0)
	s_mul_hi_i32 s9, s15, s2
	s_cmp_lg_u64 s[8:9], 0
	s_mul_i32 s5, s15, s2
	s_cbranch_scc0 .LBB36_21
; %bb.1:
	v_cvt_f32_u32_e32 v1, s22
	v_cvt_f32_ubyte0_e32 v2, 0
	s_sub_u32 s8, 0, s22
	s_subb_u32 s10, 0, 0
	v_fmamk_f32 v1, v2, 0x4f800000, v1
	v_rcp_f32_e32 v1, v1
	s_nop 0
	v_mul_f32_e32 v1, 0x5f7ffffc, v1
	v_mul_f32_e32 v2, 0x2f800000, v1
	v_trunc_f32_e32 v2, v2
	v_fmamk_f32 v1, v2, 0xcf800000, v1
	v_cvt_u32_f32_e32 v2, v2
	v_cvt_u32_f32_e32 v1, v1
	v_readfirstlane_b32 s11, v2
	v_readfirstlane_b32 s16, v1
	s_mul_i32 s17, s8, s11
	s_mul_hi_u32 s19, s8, s16
	s_mul_i32 s18, s10, s16
	s_add_i32 s17, s19, s17
	s_add_i32 s17, s17, s18
	s_mul_i32 s20, s8, s16
	s_mul_hi_u32 s18, s16, s17
	s_mul_i32 s19, s16, s17
	s_mul_hi_u32 s16, s16, s20
	s_add_u32 s16, s16, s19
	s_addc_u32 s18, 0, s18
	s_mul_hi_u32 s21, s11, s20
	s_mul_i32 s20, s11, s20
	s_add_u32 s16, s16, s20
	s_mul_hi_u32 s19, s11, s17
	s_addc_u32 s16, s18, s21
	s_addc_u32 s18, s19, 0
	s_mul_i32 s17, s11, s17
	s_add_u32 s16, s16, s17
	s_addc_u32 s17, 0, s18
	v_add_co_u32_e32 v1, vcc, s16, v1
	s_cmp_lg_u64 vcc, 0
	s_addc_u32 s11, s11, s17
	v_readfirstlane_b32 s17, v1
	s_mul_i32 s16, s8, s11
	s_mul_hi_u32 s18, s8, s17
	s_add_i32 s16, s18, s16
	s_mul_i32 s10, s10, s17
	s_add_i32 s16, s16, s10
	s_mul_i32 s8, s8, s17
	s_mul_hi_u32 s18, s11, s8
	s_mul_i32 s19, s11, s8
	s_mul_i32 s21, s17, s16
	s_mul_hi_u32 s8, s17, s8
	s_mul_hi_u32 s20, s17, s16
	s_add_u32 s8, s8, s21
	s_addc_u32 s17, 0, s20
	s_add_u32 s8, s8, s19
	s_mul_hi_u32 s10, s11, s16
	s_addc_u32 s8, s17, s18
	s_addc_u32 s10, s10, 0
	s_mul_i32 s16, s11, s16
	s_add_u32 s8, s8, s16
	s_addc_u32 s10, 0, s10
	v_add_co_u32_e32 v1, vcc, s8, v1
	s_cmp_lg_u64 vcc, 0
	s_addc_u32 s16, s11, s10
	s_ashr_i32 s10, s9, 31
	s_add_u32 s8, s5, s10
	s_mov_b32 s11, s10
	s_addc_u32 s9, s9, s10
	s_xor_b64 s[8:9], s[8:9], s[10:11]
	v_readfirstlane_b32 s19, v1
	s_mul_i32 s18, s8, s16
	s_mul_hi_u32 s20, s8, s19
	s_mul_hi_u32 s17, s8, s16
	s_add_u32 s18, s20, s18
	s_addc_u32 s17, 0, s17
	s_mul_hi_u32 s21, s9, s19
	s_mul_i32 s19, s9, s19
	s_add_u32 s18, s18, s19
	s_mul_hi_u32 s20, s9, s16
	s_addc_u32 s17, s17, s21
	s_addc_u32 s18, s20, 0
	s_mul_i32 s16, s9, s16
	s_add_u32 s16, s17, s16
	s_addc_u32 s17, 0, s18
	s_add_u32 s18, s16, 1
	s_addc_u32 s19, s17, 0
	s_add_u32 s20, s16, 2
	s_mul_i32 s23, s22, s17
	s_mul_hi_u32 s24, s22, s16
	s_addc_u32 s21, s17, 0
	s_add_i32 s24, s24, s23
	s_mul_i32 s23, s22, s16
	v_mov_b32_e32 v1, s23
	v_sub_co_u32_e32 v1, vcc, s8, v1
	s_cmp_lg_u64 vcc, 0
	s_subb_u32 s8, s9, s24
	v_subrev_co_u32_e32 v2, vcc, s22, v1
	s_cmp_lg_u64 vcc, 0
	s_subb_u32 s9, s8, 0
	v_readfirstlane_b32 s23, v2
	s_cmp_ge_u32 s23, s22
	s_cselect_b32 s23, -1, 0
	s_cmp_eq_u32 s9, 0
	s_cselect_b32 s9, s23, -1
	s_cmp_lg_u32 s9, 0
	s_cselect_b32 s9, s21, s19
	v_readfirstlane_b32 s19, v1
	s_cselect_b32 s18, s20, s18
	s_cmp_ge_u32 s19, s22
	s_cselect_b32 s19, -1, 0
	s_cmp_eq_u32 s8, 0
	s_cselect_b32 s8, s19, -1
	s_cmp_lg_u32 s8, 0
	s_cselect_b32 s9, s9, s17
	s_cselect_b32 s8, s18, s16
	s_xor_b64 s[8:9], s[8:9], s[10:11]
	s_sub_u32 s20, s8, s10
	s_load_dwordx4 s[16:19], s[0:1], 0x44
	s_cbranch_execnz .LBB36_3
.LBB36_2:
	v_cvt_f32_u32_e32 v1, s22
	s_sub_i32 s6, 0, s22
	v_rcp_iflag_f32_e32 v1, v1
	s_nop 0
	v_mul_f32_e32 v1, 0x4f7ffffe, v1
	v_cvt_u32_f32_e32 v1, v1
	s_nop 0
	v_readfirstlane_b32 s7, v1
	s_mul_i32 s6, s6, s7
	s_mul_hi_u32 s6, s7, s6
	s_add_i32 s7, s7, s6
	s_mul_hi_u32 s6, s5, s7
	s_mul_i32 s8, s6, s22
	s_sub_i32 s5, s5, s8
	s_add_i32 s7, s6, 1
	s_sub_i32 s8, s5, s22
	s_cmp_ge_u32 s5, s22
	s_cselect_b32 s6, s7, s6
	s_cselect_b32 s5, s8, s5
	s_add_i32 s7, s6, 1
	s_cmp_ge_u32 s5, s22
	s_cselect_b32 s20, s7, s6
.LBB36_3:
	s_add_i32 s5, s2, 1
	s_mul_hi_i32 s9, s15, s5
	s_mov_b32 s8, 0
	s_cmp_lg_u64 s[8:9], 0
	s_mul_i32 s5, s15, s5
	s_cbranch_scc0 .LBB36_22
; %bb.4:
	v_cvt_f32_u32_e32 v1, s22
	v_cvt_f32_ubyte0_e32 v2, 0
	s_sub_u32 s8, 0, s22
	s_subb_u32 s10, 0, 0
	v_fmamk_f32 v1, v2, 0x4f800000, v1
	v_rcp_f32_e32 v1, v1
	s_nop 0
	v_mul_f32_e32 v1, 0x5f7ffffc, v1
	v_mul_f32_e32 v2, 0x2f800000, v1
	v_trunc_f32_e32 v2, v2
	v_fmamk_f32 v1, v2, 0xcf800000, v1
	v_cvt_u32_f32_e32 v2, v2
	v_cvt_u32_f32_e32 v1, v1
	v_readfirstlane_b32 s11, v2
	s_waitcnt lgkmcnt(0)
	v_readfirstlane_b32 s19, v1
	s_mul_i32 s21, s8, s11
	s_mul_hi_u32 s24, s8, s19
	s_mul_i32 s23, s10, s19
	s_add_i32 s21, s24, s21
	s_add_i32 s21, s21, s23
	s_mul_i32 s25, s8, s19
	s_mul_hi_u32 s23, s19, s21
	s_mul_i32 s24, s19, s21
	s_mul_hi_u32 s19, s19, s25
	s_add_u32 s19, s19, s24
	s_addc_u32 s23, 0, s23
	s_mul_hi_u32 s26, s11, s25
	s_mul_i32 s25, s11, s25
	s_add_u32 s19, s19, s25
	s_mul_hi_u32 s24, s11, s21
	s_addc_u32 s19, s23, s26
	s_addc_u32 s23, s24, 0
	s_mul_i32 s21, s11, s21
	s_add_u32 s19, s19, s21
	s_addc_u32 s21, 0, s23
	v_add_co_u32_e32 v1, vcc, s19, v1
	s_cmp_lg_u64 vcc, 0
	s_addc_u32 s11, s11, s21
	v_readfirstlane_b32 s21, v1
	s_mul_i32 s19, s8, s11
	s_mul_hi_u32 s23, s8, s21
	s_add_i32 s19, s23, s19
	s_mul_i32 s10, s10, s21
	s_add_i32 s19, s19, s10
	s_mul_i32 s8, s8, s21
	s_mul_hi_u32 s23, s11, s8
	s_mul_i32 s24, s11, s8
	s_mul_i32 s26, s21, s19
	s_mul_hi_u32 s8, s21, s8
	s_mul_hi_u32 s25, s21, s19
	s_add_u32 s8, s8, s26
	s_addc_u32 s21, 0, s25
	s_add_u32 s8, s8, s24
	s_mul_hi_u32 s10, s11, s19
	s_addc_u32 s8, s21, s23
	s_addc_u32 s10, s10, 0
	s_mul_i32 s19, s11, s19
	s_add_u32 s8, s8, s19
	s_addc_u32 s10, 0, s10
	v_add_co_u32_e32 v1, vcc, s8, v1
	s_cmp_lg_u64 vcc, 0
	s_addc_u32 s19, s11, s10
	s_ashr_i32 s10, s9, 31
	s_add_u32 s8, s5, s10
	s_mov_b32 s11, s10
	s_addc_u32 s9, s9, s10
	s_xor_b64 s[8:9], s[8:9], s[10:11]
	v_readfirstlane_b32 s23, v1
	s_mul_i32 s21, s8, s19
	s_mul_hi_u32 s24, s8, s23
	s_mul_hi_u32 s11, s8, s19
	s_add_u32 s21, s24, s21
	s_addc_u32 s11, 0, s11
	s_mul_hi_u32 s25, s9, s23
	s_mul_i32 s23, s9, s23
	s_add_u32 s21, s21, s23
	s_mul_hi_u32 s24, s9, s19
	s_addc_u32 s11, s11, s25
	s_addc_u32 s21, s24, 0
	s_mul_i32 s19, s9, s19
	s_add_u32 s11, s11, s19
	s_addc_u32 s19, 0, s21
	s_mul_i32 s19, s22, s19
	s_mul_hi_u32 s24, s22, s11
	s_add_i32 s24, s24, s19
	s_mul_i32 s19, s22, s11
	v_mov_b32_e32 v1, s19
	s_add_u32 s21, s11, 1
	s_add_u32 s23, s11, 2
	v_sub_co_u32_e32 v1, vcc, s8, v1
	s_cmp_lg_u64 vcc, 0
	s_subb_u32 s8, s9, s24
	v_subrev_co_u32_e32 v2, vcc, s22, v1
	s_cmp_lg_u64 vcc, 0
	s_subb_u32 s9, s8, 0
	v_cmp_le_u32_e32 vcc, s22, v2
	s_cmp_eq_u32 s9, 0
	v_mov_b32_e32 v3, s21
	v_cndmask_b32_e64 v2, 0, -1, vcc
	s_cselect_b64 vcc, -1, 0
	v_cndmask_b32_e32 v2, -1, v2, vcc
	v_mov_b32_e32 v4, s23
	v_cmp_ne_u32_e32 vcc, 0, v2
	s_cmp_eq_u32 s8, 0
	s_nop 0
	v_cndmask_b32_e32 v2, v3, v4, vcc
	v_cmp_le_u32_e32 vcc, s22, v1
	v_mov_b32_e32 v3, s11
	s_nop 0
	v_cndmask_b32_e64 v1, 0, -1, vcc
	s_cselect_b64 vcc, -1, 0
	v_cndmask_b32_e32 v1, -1, v1, vcc
	v_cmp_ne_u32_e32 vcc, 0, v1
	s_nop 1
	v_cndmask_b32_e32 v1, v3, v2, vcc
	v_xor_b32_e32 v1, s10, v1
	v_subrev_co_u32_e32 v2, vcc, s10, v1
	s_cbranch_execnz .LBB36_6
.LBB36_5:
	v_cvt_f32_u32_e32 v1, s22
	s_sub_i32 s6, 0, s22
	s_mov_b32 s7, 0
	v_rcp_iflag_f32_e32 v1, v1
	s_nop 0
	v_mul_f32_e32 v1, 0x4f7ffffe, v1
	v_cvt_u32_f32_e32 v1, v1
	s_nop 0
	v_readfirstlane_b32 s8, v1
	s_mul_i32 s6, s6, s8
	s_mul_hi_u32 s6, s8, s6
	s_add_i32 s8, s8, s6
	s_mul_hi_u32 s6, s5, s8
	s_mul_i32 s9, s6, s22
	s_sub_i32 s5, s5, s9
	s_add_i32 s8, s6, 1
	s_sub_i32 s9, s5, s22
	s_cmp_ge_u32 s5, s22
	s_cselect_b32 s6, s8, s6
	s_cselect_b32 s5, s9, s5
	s_add_i32 s8, s6, 1
	s_cmp_ge_u32 s5, s22
	s_cselect_b32 s6, s8, s6
	v_mov_b64_e32 v[2:3], s[6:7]
.LBB36_6:
	s_waitcnt lgkmcnt(0)
	s_mul_hi_u32 s5, s20, s16
	s_add_i32 s5, s5, s20
	v_mul_hi_u32 v1, v2, s16
	s_lshr_b32 s19, s5, s17
	v_add_u32_e32 v1, v1, v2
	s_mul_i32 s5, s19, s18
	v_lshrrev_b32_e32 v1, s17, v1
	s_cmp_eq_u32 s5, s20
	v_cmp_eq_u32_e64 s[6:7], s19, v1
	v_mul_lo_u32 v1, v1, s18
	v_cmp_eq_u32_e32 vcc, s20, v2
	s_cselect_b64 s[10:11], -1, 0
	v_cmp_ne_u32_e64 s[8:9], v1, v2
	s_and_b64 s[6:7], s[6:7], s[8:9]
	s_or_b64 s[8:9], vcc, s[10:11]
	s_or_b64 s[6:7], s[8:9], s[6:7]
	s_and_b64 vcc, exec, s[6:7]
	s_cbranch_vccnz .LBB36_24
; %bb.7:
	s_load_dwordx8 s[24:31], s[0:1], 0x20
	s_load_dword s5, s[0:1], 0x40
	s_waitcnt lgkmcnt(0)
	s_mul_hi_u32 s6, s20, s24
	s_add_i32 s6, s6, s20
	s_lshr_b32 s7, s6, s25
	s_mul_i32 s6, s7, s26
	s_sub_i32 s6, s20, s6
	s_mul_hi_u32 s8, s6, s27
	s_add_i32 s8, s6, s8
	s_lshr_b32 s23, s8, s28
	s_mul_i32 s8, s23, s29
	s_sub_i32 s6, s6, s8
	;; [unrolled: 5-line block ×3, first 2 shown]
	s_mul_hi_u32 s6, s5, s16
	s_add_i32 s5, s5, s6
	s_lshr_b32 s24, s5, s17
	s_lshl_b32 s5, s24, 5
	s_lshl_b32 s25, s8, 1
	s_add_i32 s5, s5, s3
	s_cmp_lt_i32 s5, s12
	s_cselect_b64 s[8:9], -1, 0
	s_add_i32 s25, s25, s4
	s_cmp_lt_i32 s25, s14
	s_cselect_b64 s[10:11], -1, 0
	s_and_b64 s[8:9], s[8:9], s[10:11]
	s_andn2_b64 vcc, exec, s[8:9]
	s_mov_b32 s6, 0
	s_cbranch_vccnz .LBB36_24
; %bb.8:
	s_load_dwordx4 s[8:11], s[0:1], 0x0
	s_lshl_b32 s21, s3, 1
	s_lshl_b32 s0, s22, 8
	s_mov_b32 s1, s6
	s_add_i32 s21, s21, s4
	s_lshl_b64 s[0:1], s[0:1], 2
	s_waitcnt lgkmcnt(0)
	s_add_u32 s4, s10, s0
	s_mul_i32 s0, s7, s12
	s_addc_u32 s5, s11, s1
	s_mul_i32 s23, s23, s14
	s_add_i32 s0, s0, s3
	s_mul_i32 s0, s0, s13
	s_add_i32 s3, s25, s23
	s_mul_i32 s1, s13, s24
	s_add_i32 s0, s3, s0
	s_mulk_i32 s1, 0xa00
	s_mulk_i32 s0, 0x50
	s_add_i32 s1, s1, s0
	v_add_u32_e32 v4, s1, v0
	v_mov_b32_e32 v2, s8
	v_mov_b32_e32 v3, s9
	v_ashrrev_i32_e32 v5, 31, v4
	v_lshl_add_u64 v[2:3], v[4:5], 2, v[2:3]
	global_load_dword v5, v[2:3], off
	s_lshl_b32 s0, s2, 6
	s_add_i32 s0, s21, s0
	s_ashr_i32 s1, s0, 31
	s_lshl_b64 s[0:1], s[0:1], 3
	s_add_u32 s0, s10, s0
	s_addc_u32 s1, s11, s1
	s_add_i32 s12, s2, -1
	s_mul_i32 s2, s21, 0x50
	v_add_u32_e32 v4, s2, v0
	v_cvt_f32_u32_e32 v0, s22
	v_cvt_f32_ubyte0_e32 v1, 0
	s_load_dwordx2 s[0:1], s[0:1], 0x0
	v_mov_b32_e32 v8, s20
	v_fmac_f32_e32 v0, 0x4f800000, v1
	v_rcp_f32_e32 v0, v0
	v_cvt_f32_u32_e32 v1, s22
	s_waitcnt lgkmcnt(0)
	v_mov_b32_e32 v6, s1
	v_mov_b32_e32 v7, s0
	v_mul_f32_e32 v0, 0x5f7ffffc, v0
	v_rcp_iflag_f32_e32 v1, v1
	v_mul_f32_e32 v9, 0x2f800000, v0
	v_trunc_f32_e32 v10, v9
	v_fmac_f32_e32 v0, 0xcf800000, v10
	v_cvt_u32_f32_e32 v9, v0
	v_mul_f32_e32 v0, 0x4f7ffffe, v1
	v_cvt_u32_f32_e32 v10, v10
	v_cvt_u32_f32_e32 v11, v0
	s_mov_b32 s8, 0x3fb8aa3b
	s_mov_b32 s9, 0xc2ce8ed0
	;; [unrolled: 1-line block ×4, first 2 shown]
	v_mov_b32_e32 v12, 0x7f800000
	s_mul_hi_i32 s7, s12, s15
	s_cmp_lg_u64 s[6:7], 0
	s_mul_i32 s2, s12, s15
	s_cbranch_scc0 .LBB36_15
.LBB36_9:
	s_sub_u32 s0, 0, s22
	v_readfirstlane_b32 s3, v9
	v_readfirstlane_b32 s24, v10
	s_subb_u32 s1, 0, 0
	s_mul_hi_u32 s23, s0, s3
	s_mul_i32 s25, s0, s24
	s_mul_i32 s20, s1, s3
	s_add_i32 s23, s23, s25
	s_add_i32 s23, s23, s20
	s_mul_i32 s26, s0, s3
	s_mul_hi_u32 s20, s3, s23
	s_mul_i32 s25, s3, s23
	s_mul_hi_u32 s3, s3, s26
	s_add_u32 s3, s3, s25
	s_addc_u32 s20, 0, s20
	s_mul_hi_u32 s27, s24, s26
	s_mul_i32 s26, s24, s26
	s_add_u32 s3, s3, s26
	s_mul_hi_u32 s25, s24, s23
	s_addc_u32 s3, s20, s27
	s_addc_u32 s20, s25, 0
	s_mul_i32 s23, s24, s23
	s_add_u32 s3, s3, s23
	s_addc_u32 s20, 0, s20
	v_add_co_u32_e32 v0, vcc, s3, v9
	s_cmp_lg_u64 vcc, 0
	s_addc_u32 s3, s24, s20
	v_readfirstlane_b32 s23, v0
	s_mul_i32 s20, s0, s3
	s_mul_hi_u32 s24, s0, s23
	s_add_i32 s20, s24, s20
	s_mul_i32 s1, s1, s23
	s_add_i32 s20, s20, s1
	s_mul_i32 s0, s0, s23
	s_mul_hi_u32 s24, s3, s0
	s_mul_i32 s25, s3, s0
	s_mul_i32 s27, s23, s20
	s_mul_hi_u32 s0, s23, s0
	s_mul_hi_u32 s26, s23, s20
	s_add_u32 s0, s0, s27
	s_addc_u32 s23, 0, s26
	s_add_u32 s0, s0, s25
	s_mul_hi_u32 s1, s3, s20
	s_addc_u32 s0, s23, s24
	s_addc_u32 s1, s1, 0
	s_mul_i32 s20, s3, s20
	s_add_u32 s0, s0, s20
	s_addc_u32 s1, 0, s1
	v_add_co_u32_e32 v0, vcc, s0, v0
	s_cmp_lg_u64 vcc, 0
	s_addc_u32 s3, s3, s1
	s_ashr_i32 s0, s7, 31
	s_add_u32 s24, s2, s0
	s_mov_b32 s1, s0
	s_addc_u32 s25, s7, s0
	s_xor_b64 s[24:25], s[24:25], s[0:1]
	v_readfirstlane_b32 s20, v0
	s_mul_i32 s7, s24, s3
	s_mul_hi_u32 s23, s24, s20
	s_mul_hi_u32 s1, s24, s3
	s_add_u32 s7, s23, s7
	s_addc_u32 s1, 0, s1
	s_mul_hi_u32 s26, s25, s20
	s_mul_i32 s20, s25, s20
	s_add_u32 s7, s7, s20
	s_mul_hi_u32 s23, s25, s3
	s_addc_u32 s1, s1, s26
	s_addc_u32 s7, s23, 0
	s_mul_i32 s3, s25, s3
	s_add_u32 s1, s1, s3
	s_addc_u32 s3, 0, s7
	s_mul_i32 s3, s22, s3
	s_mul_hi_u32 s23, s22, s1
	s_add_i32 s23, s23, s3
	s_mul_i32 s3, s22, s1
	v_mov_b32_e32 v0, s3
	s_add_u32 s7, s1, 1
	s_add_u32 s20, s1, 2
	v_sub_co_u32_e32 v0, vcc, s24, v0
	s_cmp_lg_u64 vcc, 0
	s_subb_u32 s3, s25, s23
	v_subrev_co_u32_e32 v1, vcc, s22, v0
	s_cmp_lg_u64 vcc, 0
	s_subb_u32 s23, s3, 0
	v_cmp_le_u32_e32 vcc, s22, v1
	s_cmp_eq_u32 s23, 0
	v_mov_b32_e32 v13, s7
	v_cndmask_b32_e64 v1, 0, -1, vcc
	s_cselect_b64 vcc, -1, 0
	v_cndmask_b32_e32 v1, -1, v1, vcc
	v_mov_b32_e32 v14, s20
	v_cmp_ne_u32_e32 vcc, 0, v1
	s_cmp_eq_u32 s3, 0
	s_nop 0
	v_cndmask_b32_e32 v1, v13, v14, vcc
	v_cmp_le_u32_e32 vcc, s22, v0
	v_mov_b32_e32 v13, s1
	s_nop 0
	v_cndmask_b32_e64 v0, 0, -1, vcc
	s_cselect_b64 vcc, -1, 0
	v_cndmask_b32_e32 v0, -1, v0, vcc
	v_cmp_ne_u32_e32 vcc, 0, v0
	s_nop 1
	v_cndmask_b32_e32 v0, v13, v1, vcc
	v_xor_b32_e32 v0, s0, v0
	v_subrev_co_u32_e32 v0, vcc, s0, v0
	s_cbranch_execnz .LBB36_11
.LBB36_10:
	s_sub_i32 s0, 0, s22
	v_mul_lo_u32 v0, s0, v11
	v_mul_hi_u32 v0, v11, v0
	v_add_u32_e32 v0, v11, v0
	v_mul_hi_u32 v0, s2, v0
	v_mul_lo_u32 v13, v0, s22
	v_sub_u32_e32 v13, s2, v13
	v_add_u32_e32 v1, 1, v0
	v_subrev_u32_e32 v14, s22, v13
	v_cmp_le_u32_e32 vcc, s22, v13
	s_nop 1
	v_cndmask_b32_e32 v13, v13, v14, vcc
	v_cndmask_b32_e32 v0, v0, v1, vcc
	v_add_u32_e32 v1, 1, v0
	v_cmp_le_u32_e32 vcc, s22, v13
	s_nop 1
	v_cndmask_b32_e32 v0, v0, v1, vcc
.LBB36_11:
	v_cmp_ne_u32_e32 vcc, v8, v0
	s_cbranch_vccz .LBB36_14
; %bb.12:
	s_add_i32 s0, s12, s22
	s_lshl_b32 s0, s0, 6
	v_mul_hi_u32 v1, v0, s16
	s_add_i32 s0, s0, s21
	s_mov_b32 s1, s6
	v_add_u32_e32 v1, v1, v0
	s_lshl_b64 s[0:1], s[0:1], 3
	v_lshrrev_b32_e32 v1, s17, v1
	s_add_u32 s2, s10, s0
	v_mul_lo_u32 v13, v1, s18
	s_addc_u32 s3, s11, s1
	v_cmp_eq_u32_e32 vcc, v13, v0
	v_cmp_gt_u32_e64 s[0:1], s19, v1
	s_or_b64 s[0:1], s[0:1], vcc
	s_and_b64 vcc, exec, s[0:1]
	s_cbranch_vccnz .LBB36_16
; %bb.13:
	s_add_i32 s7, s12, -1
	s_mov_b64 s[0:1], 0
	s_branch .LBB36_17
.LBB36_14:
                                        ; implicit-def: $sgpr0_sgpr1
                                        ; implicit-def: $vgpr14
                                        ; implicit-def: $vgpr1
                                        ; implicit-def: $vgpr13
                                        ; implicit-def: $sgpr7
                                        ; implicit-def: $vgpr0
	s_branch .LBB36_18
.LBB36_15:
                                        ; implicit-def: $vgpr0_vgpr1
	s_branch .LBB36_10
.LBB36_16:
	s_mov_b64 s[0:1], -1
	s_mov_b32 s7, s12
	v_mov_b32_e32 v0, v8
.LBB36_17:
	s_mul_i32 s20, s12, 0x1400
	v_add_u32_e32 v14, s20, v4
	v_ashrrev_i32_e32 v15, 31, v14
	v_lshl_add_u64 v[14:15], v[14:15], 2, s[4:5]
	global_load_dword v14, v[14:15], off
	s_load_dwordx2 s[2:3], s[2:3], 0x0
	v_max_f32_e32 v1, v7, v7
	s_waitcnt lgkmcnt(0)
	v_max_f32_e64 v13, s2, s2
	v_max_f32_e32 v1, v1, v13
	v_sub_f32_e32 v13, v7, v1
	v_sub_f32_e32 v15, s2, v1
	v_mul_f32_e32 v16, 0x3fb8aa3b, v13
	v_mul_f32_e32 v17, 0x3fb8aa3b, v15
	v_fma_f32 v18, v13, s8, -v16
	v_rndne_f32_e32 v19, v16
	v_fma_f32 v20, v15, s8, -v17
	v_rndne_f32_e32 v21, v17
	v_fmac_f32_e32 v18, 0x32a5705f, v13
	v_sub_f32_e32 v16, v16, v19
	v_fmac_f32_e32 v20, 0x32a5705f, v15
	v_sub_f32_e32 v17, v17, v21
	v_add_f32_e32 v16, v16, v18
	v_cvt_i32_f32_e32 v19, v19
	v_add_f32_e32 v17, v17, v20
	v_exp_f32_e32 v16, v16
	v_cvt_i32_f32_e32 v21, v21
	v_exp_f32_e32 v17, v17
	v_cmp_ngt_f32_e32 vcc, s9, v13
	v_ldexp_f32 v16, v16, v19
	v_ldexp_f32 v17, v17, v21
	v_cndmask_b32_e32 v16, 0, v16, vcc
	v_cmp_ngt_f32_e32 vcc, s9, v15
	s_nop 1
	v_cndmask_b32_e32 v17, 0, v17, vcc
	v_cmp_nlt_f32_e32 vcc, s13, v13
	s_nop 1
	v_cndmask_b32_e32 v16, v12, v16, vcc
	v_cmp_nlt_f32_e32 vcc, s13, v15
	s_nop 1
	v_cndmask_b32_e32 v17, v12, v17, vcc
	v_cmp_le_f32_e32 vcc, s14, v13
	s_nop 1
	v_cndmask_b32_e32 v16, 0, v16, vcc
	v_cmp_le_f32_e32 vcc, s14, v15
	s_nop 1
	v_cndmask_b32_e32 v15, 0, v17, vcc
	v_mul_f32_e32 v13, s3, v15
	v_fmac_f32_e32 v13, v6, v16
	s_waitcnt vmcnt(0)
	v_mul_f32_e32 v14, v14, v15
	v_fmac_f32_e32 v14, v5, v16
	s_cbranch_execnz .LBB36_19
.LBB36_18:
	s_add_i32 s7, s12, -1
	s_mov_b64 s[0:1], 0
	v_mov_b32_e32 v0, v8
	v_mov_b32_e32 v13, v6
	;; [unrolled: 1-line block ×3, first 2 shown]
	s_waitcnt vmcnt(0)
	v_mov_b32_e32 v14, v5
.LBB36_19:
	s_andn2_b64 vcc, exec, s[0:1]
	s_cbranch_vccz .LBB36_23
; %bb.20:
	v_mov_b32_e32 v8, v0
	s_mov_b32 s12, s7
	v_mov_b32_e32 v6, v13
	v_mov_b32_e32 v7, v1
	s_waitcnt vmcnt(0)
	v_mov_b32_e32 v5, v14
	s_mul_hi_i32 s7, s12, s15
	s_cmp_lg_u64 s[6:7], 0
	s_mul_i32 s2, s12, s15
	s_cbranch_scc1 .LBB36_9
	s_branch .LBB36_15
.LBB36_21:
                                        ; implicit-def: $sgpr20_sgpr21
	s_load_dwordx4 s[16:19], s[0:1], 0x44
	s_branch .LBB36_2
.LBB36_22:
                                        ; implicit-def: $vgpr2_vgpr3
	s_branch .LBB36_5
.LBB36_23:
	v_div_scale_f32 v0, s[0:1], v13, v13, v14
	v_rcp_f32_e32 v1, v0
	v_div_scale_f32 v4, vcc, v14, v13, v14
	s_waitcnt vmcnt(0)
	v_fma_f32 v5, -v0, v1, 1.0
	v_fmac_f32_e32 v1, v5, v1
	v_mul_f32_e32 v5, v4, v1
	v_fma_f32 v6, -v0, v5, v4
	v_fmac_f32_e32 v5, v6, v1
	v_fma_f32 v0, -v0, v5, v4
	v_div_fmas_f32 v0, v0, v1, v5
	v_div_fixup_f32 v0, v0, v13, v14
	global_store_dword v[2:3], v0, off
.LBB36_24:
	s_endpgm
	.section	.rodata,"a",@progbits
	.p2align	6, 0x0
	.amdhsa_kernel _ZL33flash_attn_stream_k_fixup_generalILi80ELi32ELi2EEvPfPK15HIP_vector_typeIfLj2EEiiiiS1_IjLj3EES5_S5_S5_
		.amdhsa_group_segment_fixed_size 0
		.amdhsa_private_segment_fixed_size 0
		.amdhsa_kernarg_size 336
		.amdhsa_user_sgpr_count 2
		.amdhsa_user_sgpr_dispatch_ptr 0
		.amdhsa_user_sgpr_queue_ptr 0
		.amdhsa_user_sgpr_kernarg_segment_ptr 1
		.amdhsa_user_sgpr_dispatch_id 0
		.amdhsa_user_sgpr_kernarg_preload_length 0
		.amdhsa_user_sgpr_kernarg_preload_offset 0
		.amdhsa_user_sgpr_private_segment_size 0
		.amdhsa_uses_dynamic_stack 0
		.amdhsa_enable_private_segment 0
		.amdhsa_system_sgpr_workgroup_id_x 1
		.amdhsa_system_sgpr_workgroup_id_y 1
		.amdhsa_system_sgpr_workgroup_id_z 1
		.amdhsa_system_sgpr_workgroup_info 0
		.amdhsa_system_vgpr_workitem_id 0
		.amdhsa_next_free_vgpr 22
		.amdhsa_next_free_sgpr 32
		.amdhsa_accum_offset 24
		.amdhsa_reserve_vcc 1
		.amdhsa_float_round_mode_32 0
		.amdhsa_float_round_mode_16_64 0
		.amdhsa_float_denorm_mode_32 3
		.amdhsa_float_denorm_mode_16_64 3
		.amdhsa_dx10_clamp 1
		.amdhsa_ieee_mode 1
		.amdhsa_fp16_overflow 0
		.amdhsa_tg_split 0
		.amdhsa_exception_fp_ieee_invalid_op 0
		.amdhsa_exception_fp_denorm_src 0
		.amdhsa_exception_fp_ieee_div_zero 0
		.amdhsa_exception_fp_ieee_overflow 0
		.amdhsa_exception_fp_ieee_underflow 0
		.amdhsa_exception_fp_ieee_inexact 0
		.amdhsa_exception_int_div_zero 0
	.end_amdhsa_kernel
	.section	.text._ZL33flash_attn_stream_k_fixup_generalILi80ELi32ELi2EEvPfPK15HIP_vector_typeIfLj2EEiiiiS1_IjLj3EES5_S5_S5_,"axG",@progbits,_ZL33flash_attn_stream_k_fixup_generalILi80ELi32ELi2EEvPfPK15HIP_vector_typeIfLj2EEiiiiS1_IjLj3EES5_S5_S5_,comdat
.Lfunc_end36:
	.size	_ZL33flash_attn_stream_k_fixup_generalILi80ELi32ELi2EEvPfPK15HIP_vector_typeIfLj2EEiiiiS1_IjLj3EES5_S5_S5_, .Lfunc_end36-_ZL33flash_attn_stream_k_fixup_generalILi80ELi32ELi2EEvPfPK15HIP_vector_typeIfLj2EEiiiiS1_IjLj3EES5_S5_S5_
                                        ; -- End function
	.section	.AMDGPU.csdata,"",@progbits
; Kernel info:
; codeLenInByte = 2868
; NumSgprs: 38
; NumVgprs: 22
; NumAgprs: 0
; TotalNumVgprs: 22
; ScratchSize: 0
; MemoryBound: 0
; FloatMode: 240
; IeeeMode: 1
; LDSByteSize: 0 bytes/workgroup (compile time only)
; SGPRBlocks: 4
; VGPRBlocks: 2
; NumSGPRsForWavesPerEU: 38
; NumVGPRsForWavesPerEU: 22
; AccumOffset: 24
; Occupancy: 8
; WaveLimiterHint : 0
; COMPUTE_PGM_RSRC2:SCRATCH_EN: 0
; COMPUTE_PGM_RSRC2:USER_SGPR: 2
; COMPUTE_PGM_RSRC2:TRAP_HANDLER: 0
; COMPUTE_PGM_RSRC2:TGID_X_EN: 1
; COMPUTE_PGM_RSRC2:TGID_Y_EN: 1
; COMPUTE_PGM_RSRC2:TGID_Z_EN: 1
; COMPUTE_PGM_RSRC2:TIDIG_COMP_CNT: 0
; COMPUTE_PGM_RSRC3_GFX90A:ACCUM_OFFSET: 5
; COMPUTE_PGM_RSRC3_GFX90A:TG_SPLIT: 0
	.section	.text._ZL15flash_attn_tileILi80ELi80ELi16ELi2ELb0EEvPKcS1_S1_S1_S1_PKiPfP15HIP_vector_typeIfLj2EEffffjfiS5_IjLj3EEiiiiiiiiiiiliiliiiiil,"axG",@progbits,_ZL15flash_attn_tileILi80ELi80ELi16ELi2ELb0EEvPKcS1_S1_S1_S1_PKiPfP15HIP_vector_typeIfLj2EEffffjfiS5_IjLj3EEiiiiiiiiiiiliiliiiiil,comdat
	.globl	_ZL15flash_attn_tileILi80ELi80ELi16ELi2ELb0EEvPKcS1_S1_S1_S1_PKiPfP15HIP_vector_typeIfLj2EEffffjfiS5_IjLj3EEiiiiiiiiiiiliiliiiiil ; -- Begin function _ZL15flash_attn_tileILi80ELi80ELi16ELi2ELb0EEvPKcS1_S1_S1_S1_PKiPfP15HIP_vector_typeIfLj2EEffffjfiS5_IjLj3EEiiiiiiiiiiiliiliiiiil
	.p2align	8
	.type	_ZL15flash_attn_tileILi80ELi80ELi16ELi2ELb0EEvPKcS1_S1_S1_S1_PKiPfP15HIP_vector_typeIfLj2EEffffjfiS5_IjLj3EEiiiiiiiiiiiliiliiiiil,@function
_ZL15flash_attn_tileILi80ELi80ELi16ELi2ELb0EEvPKcS1_S1_S1_S1_PKiPfP15HIP_vector_typeIfLj2EEffffjfiS5_IjLj3EEiiiiiiiiiiiliiliiiiil: ; @_ZL15flash_attn_tileILi80ELi80ELi16ELi2ELb0EEvPKcS1_S1_S1_S1_PKiPfP15HIP_vector_typeIfLj2EEffffjfiS5_IjLj3EEiiiiiiiiiiiliiliiiiil
; %bb.0:
	s_load_dwordx4 s[28:31], s[0:1], 0x5c
	s_load_dwordx2 s[52:53], s[0:1], 0x80
	s_load_dwordx16 s[36:51], s[0:1], 0x0
	s_mov_b64 s[54:55], 0
	s_waitcnt lgkmcnt(0)
	s_lshr_b32 s5, s31, 31
	s_add_i32 s5, s31, s5
	s_ashr_i32 s5, s5, 1
	v_cvt_f32_u32_e32 v1, s5
	s_sub_i32 s6, 0, s5
	v_rcp_iflag_f32_e32 v1, v1
	s_nop 0
	v_mul_f32_e32 v1, 0x4f7ffffe, v1
	v_cvt_u32_f32_e32 v1, v1
	s_nop 0
	v_readfirstlane_b32 s7, v1
	s_mul_i32 s6, s6, s7
	s_mul_hi_u32 s6, s7, s6
	s_add_i32 s7, s7, s6
	s_mul_hi_u32 s6, s4, s7
	s_mul_i32 s7, s6, s5
	s_sub_i32 s7, s4, s7
	s_add_i32 s8, s6, 1
	s_sub_i32 s9, s7, s5
	s_cmp_ge_u32 s7, s5
	s_cselect_b32 s6, s8, s6
	s_cselect_b32 s7, s9, s7
	s_add_i32 s8, s6, 1
	s_cmp_ge_u32 s7, s5
	s_cselect_b32 s56, s8, s6
	s_abs_i32 s5, s53
	v_cvt_f32_u32_e32 v1, s5
	s_lshl_b32 s4, s4, 1
	s_mul_i32 s8, s56, s31
	s_sub_i32 s9, 0, s5
	v_rcp_iflag_f32_e32 v1, v1
	s_sub_i32 s34, s4, s8
	s_abs_i32 s7, s31
	s_xor_b32 s6, s31, s53
	v_mul_f32_e32 v1, 0x4f7ffffe, v1
	v_cvt_u32_f32_e32 v1, v1
	s_ashr_i32 s6, s6, 31
	v_readfirstlane_b32 s4, v1
	s_mul_i32 s9, s9, s4
	s_mul_hi_u32 s8, s4, s9
	s_add_i32 s4, s4, s8
	s_mul_hi_u32 s4, s7, s4
	s_mul_i32 s8, s4, s5
	s_sub_i32 s7, s7, s8
	s_add_i32 s9, s4, 1
	s_sub_i32 s8, s7, s5
	s_cmp_ge_u32 s7, s5
	s_cselect_b32 s4, s9, s4
	s_cselect_b32 s7, s8, s7
	s_add_i32 s8, s4, 1
	s_cmp_ge_u32 s7, s5
	s_cselect_b32 s4, s8, s4
	s_xor_b32 s4, s4, s6
	s_sub_i32 s15, s4, s6
	s_abs_i32 s14, s15
	v_cvt_f32_u32_e32 v1, s14
	s_load_dwordx2 s[4:5], s[0:1], 0xb8
	s_cmp_eq_u64 s[42:43], 0
	v_rcp_iflag_f32_e32 v1, v1
	s_nop 0
	v_mul_f32_e32 v1, 0x4f7ffffe, v1
	v_cvt_u32_f32_e32 v1, v1
	s_nop 0
	v_readfirstlane_b32 s16, v1
	s_cbranch_scc1 .LBB37_2
; %bb.1:
	s_waitcnt lgkmcnt(0)
	s_abs_i32 s4, s4
	v_cvt_f32_u32_e32 v1, s4
	s_sub_i32 s10, 0, s4
	s_abs_i32 s9, s56
	s_ashr_i32 s8, s56, 31
	v_rcp_iflag_f32_e32 v1, v1
	s_load_dwordx2 s[6:7], s[0:1], 0xc8
	v_mul_f32_e32 v1, 0x4f7ffffe, v1
	v_cvt_u32_f32_e32 v1, v1
	s_nop 0
	v_readfirstlane_b32 s11, v1
	s_mul_i32 s10, s10, s11
	s_mul_hi_u32 s10, s11, s10
	s_add_i32 s11, s11, s10
	s_mul_hi_u32 s10, s9, s11
	s_mul_i32 s10, s10, s4
	s_sub_i32 s9, s9, s10
	s_sub_i32 s10, s9, s4
	s_cmp_ge_u32 s9, s4
	s_cselect_b32 s9, s10, s9
	s_sub_i32 s10, s9, s4
	s_cmp_ge_u32 s9, s4
	s_cselect_b32 s4, s10, s9
	s_xor_b32 s4, s4, s8
	s_sub_i32 s4, s4, s8
	s_ashr_i32 s8, s4, 31
	s_waitcnt lgkmcnt(0)
	s_mul_i32 s7, s4, s7
	s_mul_hi_u32 s9, s4, s6
	s_add_i32 s7, s9, s7
	s_mul_i32 s8, s8, s6
	s_add_i32 s7, s7, s8
	s_mul_i32 s4, s4, s6
	s_add_u32 s54, s42, s4
	s_addc_u32 s55, s43, s7
.LBB37_2:
	s_load_dwordx4 s[20:23], s[0:1], 0x70
	s_waitcnt lgkmcnt(0)
	s_load_dword s4, s[0:1], 0x40
	s_lshl_b32 s33, s2, 4
	v_and_b32_e32 v85, 0x3ff, v0
	v_bfe_u32 v98, v0, 10, 10
	s_mul_i32 s6, s56, s22
	s_ashr_i32 s8, s6, 31
	s_mul_i32 s7, s34, s21
	s_add_u32 s6, s36, s6
	s_addc_u32 s8, s37, s8
	s_ashr_i32 s9, s7, 31
	s_add_u32 s6, s6, s7
	s_addc_u32 s7, s8, s9
	s_ashr_i32 s9, s21, 31
	s_mov_b32 s8, s21
	s_ashr_i32 s21, s20, 31
	v_lshlrev_b32_e32 v68, 2, v85
	v_cmp_gt_u32_e64 s[26:27], 20, v85
	s_lshr_b64 s[8:9], s[8:9], 2
	s_lshr_b64 s[10:11], s[20:21], 2
	v_lshlrev_b32_e32 v2, 1, v85
	v_lshl_add_u32 v4, v98, 1, s33
	v_lshlrev_b32_e32 v0, 2, v68
	s_and_saveexec_b64 s[12:13], s[26:27]
	s_cbranch_execz .LBB37_4
; %bb.3:
	v_mul_hi_u32 v1, v4, s28
	v_add_u32_e32 v1, v4, v1
	v_lshrrev_b32_e32 v1, s29, v1
	v_mul_lo_u32 v1, v1, s30
	v_sub_u32_e32 v1, v4, v1
	v_mad_u64_u32 v[6:7], s[18:19], s10, v1, 0
	v_mov_b32_e32 v8, v7
	v_mad_u64_u32 v[8:9], s[18:19], s11, v1, v[8:9]
	s_lshl_b64 s[18:19], s[8:9], 2
	v_mov_b32_e32 v7, v8
	s_add_u32 s18, s6, s18
	v_lshlrev_b64 v[6:7], 2, v[6:7]
	s_addc_u32 s19, s7, s19
	v_lshl_add_u64 v[8:9], s[6:7], 0, v[6:7]
	v_mov_b32_e32 v1, 0
	v_lshl_add_u64 v[10:11], s[18:19], 0, v[6:7]
	v_lshl_add_u64 v[8:9], v[8:9], 0, v[0:1]
	;; [unrolled: 1-line block ×3, first 2 shown]
	global_load_dwordx4 v[6:9], v[8:9], off
	v_mul_u32_u24_e32 v1, 0xa0, v98
	global_load_dwordx4 v[10:13], v[10:11], off
	v_add_lshl_u32 v1, v1, v2, 2
	s_waitcnt vmcnt(1) lgkmcnt(0)
	v_pk_mul_f32 v[6:7], v[6:7], s[4:5] op_sel_hi:[1,0]
	v_pk_mul_f32 v[8:9], v[8:9], s[4:5] op_sel_hi:[1,0]
	s_waitcnt vmcnt(0)
	v_pk_mul_f32 v[10:11], v[10:11], s[4:5] op_sel_hi:[1,0]
	v_pk_mul_f32 v[12:13], v[12:13], s[4:5] op_sel_hi:[1,0]
	v_cvt_f16_f32_e32 v3, v7
	v_cvt_f16_f32_e32 v5, v6
	;; [unrolled: 1-line block ×8, first 2 shown]
	v_pack_b32_f16 v7, v7, v6
	v_pack_b32_f16 v6, v5, v3
	;; [unrolled: 1-line block ×4, first 2 shown]
	ds_write2_b64 v1, v[6:7], v[8:9] offset1:20
.LBB37_4:
	s_or_b64 exec, exec, s[12:13]
	v_lshlrev_b32_e32 v5, 2, v98
	v_or_b32_e32 v3, 2, v5
	v_lshrrev_b32_e32 v81, 1, v3
	s_and_saveexec_b64 s[12:13], s[26:27]
	s_cbranch_execz .LBB37_6
; %bb.5:
	v_add_u32_e32 v1, s33, v81
	v_mul_hi_u32 v6, v1, s28
	v_add_u32_e32 v6, v1, v6
	v_lshrrev_b32_e32 v6, s29, v6
	v_mul_lo_u32 v6, v6, s30
	v_sub_u32_e32 v1, v1, v6
	v_mad_u64_u32 v[6:7], s[18:19], s10, v1, 0
	v_mov_b32_e32 v8, v7
	v_mad_u64_u32 v[8:9], s[18:19], s11, v1, v[8:9]
	v_mov_b32_e32 v7, v8
	v_lshl_add_u64 v[6:7], v[6:7], 2, s[6:7]
	v_mov_b32_e32 v1, 0
	v_lshl_add_u64 v[6:7], v[6:7], 0, v[0:1]
	global_load_dwordx4 v[6:9], v[6:7], off
	v_mul_u32_u24_e32 v3, 40, v3
	v_add_lshl_u32 v3, v3, v2, 2
	s_waitcnt vmcnt(0) lgkmcnt(0)
	v_pk_mul_f32 v[6:7], v[6:7], s[4:5] op_sel_hi:[1,0]
	v_pk_mul_f32 v[8:9], v[8:9], s[4:5] op_sel_hi:[1,0]
	v_cvt_f16_f32_e32 v1, v7
	v_cvt_f16_f32_e32 v7, v9
	;; [unrolled: 1-line block ×4, first 2 shown]
	v_pack_b32_f16 v7, v8, v7
	v_pack_b32_f16 v6, v6, v1
	ds_write_b64 v3, v[6:7]
.LBB37_6:
	s_or_b64 exec, exec, s[12:13]
	v_or_b32_e32 v69, 3, v5
	s_and_saveexec_b64 s[12:13], s[26:27]
	s_cbranch_execz .LBB37_8
; %bb.7:
	v_lshrrev_b32_e32 v1, 1, v69
	v_add_u32_e32 v1, s33, v1
	v_mul_hi_u32 v3, v1, s28
	v_add_u32_e32 v3, v1, v3
	v_lshrrev_b32_e32 v3, s29, v3
	v_mul_lo_u32 v3, v3, s30
	v_sub_u32_e32 v1, v1, v3
	v_mad_u64_u32 v[6:7], s[18:19], s10, v1, 0
	v_mov_b32_e32 v8, v7
	s_lshl_b64 s[8:9], s[8:9], 2
	v_mad_u64_u32 v[8:9], s[10:11], s11, v1, v[8:9]
	s_add_u32 s6, s6, s8
	v_mov_b32_e32 v7, v8
	s_addc_u32 s7, s7, s9
	v_lshl_add_u64 v[6:7], v[6:7], 2, s[6:7]
	v_mov_b32_e32 v1, 0
	v_lshl_add_u64 v[0:1], v[6:7], 0, v[0:1]
	global_load_dwordx4 v[6:9], v[0:1], off
	s_waitcnt vmcnt(0) lgkmcnt(0)
	v_pk_mul_f32 v[0:1], v[6:7], s[4:5] op_sel_hi:[1,0]
	v_pk_mul_f32 v[6:7], v[8:9], s[4:5] op_sel_hi:[1,0]
	v_cvt_f16_f32_e32 v3, v1
	v_cvt_f16_f32_e32 v1, v7
	v_cvt_f16_f32_e32 v6, v6
	v_cvt_f16_f32_e32 v0, v0
	v_mul_u32_u24_e32 v7, 40, v69
	v_add_lshl_u32 v2, v7, v2, 2
	v_pack_b32_f16 v1, v6, v1
	v_pack_b32_f16 v0, v0, v3
	ds_write_b64 v2, v[0:1]
.LBB37_8:
	s_or_b64 exec, exec, s[12:13]
	s_cmp_eq_u64 s[46:47], 0
	s_waitcnt lgkmcnt(0)
	s_barrier
	s_cbranch_scc1 .LBB37_10
; %bb.9:
	s_load_dword s4, s[0:1], 0xd0
	s_mov_b32 s7, 0
	s_waitcnt lgkmcnt(0)
	s_mul_i32 s4, s4, s56
	s_add_i32 s6, s4, s2
	s_lshl_b64 s[6:7], s[6:7], 2
	s_add_u32 s6, s46, s6
	s_addc_u32 s7, s47, s7
	s_load_dword s52, s[6:7], 0x0
.LBB37_10:
	s_lshl_b32 s35, s3, 5
	s_waitcnt lgkmcnt(0)
	s_cmp_lt_i32 s35, s52
	v_mbcnt_lo_u32_b32 v6, -1, 0
	s_cbranch_scc1 .LBB37_12
; %bb.11:
	v_mbcnt_hi_u32_b32 v106, -1, v6
	v_and_b32_e32 v0, 0x60, v106
	s_mov_b32 s2, 0
	v_add_u32_e32 v120, 32, v0
	v_xor_b32_e32 v122, 16, v106
	v_xor_b32_e32 v123, 8, v106
	;; [unrolled: 1-line block ×5, first 2 shown]
	s_mov_b64 s[6:7], 0
	s_mov_b32 s4, 0xfeffffff
	s_branch .LBB37_13
.LBB37_12:
	s_mov_b64 s[6:7], -1
                                        ; implicit-def: $sgpr4
                                        ; implicit-def: $sgpr2
                                        ; implicit-def: $vgpr106
                                        ; implicit-def: $vgpr120
                                        ; implicit-def: $vgpr122
                                        ; implicit-def: $vgpr123
                                        ; implicit-def: $vgpr124
                                        ; implicit-def: $vgpr121
                                        ; implicit-def: $vgpr119
.LBB37_13:
	s_andn2_b64 vcc, exec, s[6:7]
	v_mov_b32_e32 v3, s4
	v_mov_b32_e32 v71, s2
	;; [unrolled: 1-line block ×16, first 2 shown]
	s_cbranch_vccnz .LBB37_33
; %bb.14:
	s_load_dwordx2 s[6:7], s[0:1], 0x8c
	s_load_dwordx4 s[8:11], s[0:1], 0x98
	s_sub_i32 s2, 0, s14
	s_mul_i32 s2, s2, s16
	s_mul_hi_u32 s2, s16, s2
	s_waitcnt lgkmcnt(0)
	s_ashr_i32 s43, s6, 2
	s_ashr_i32 s42, s10, 2
	;; [unrolled: 1-line block ×4, first 2 shown]
	s_mul_i32 s6, s56, s9
	s_mul_hi_u32 s9, s56, s8
	s_abs_i32 s4, s34
	s_add_i32 s16, s16, s2
	s_add_i32 s6, s9, s6
	s_mul_i32 s9, s5, s8
	s_mul_hi_u32 s2, s4, s16
	s_ashr_i32 s16, s34, 31
	s_ashr_i32 s15, s15, 31
	s_add_i32 s6, s6, s9
	s_mul_i32 s8, s56, s8
	s_add_u32 s8, s38, s8
	s_addc_u32 s6, s39, s6
	s_xor_b32 s9, s16, s15
	s_mul_i32 s15, s2, s14
	s_sub_i32 s4, s4, s15
	s_add_i32 s15, s2, 1
	s_sub_i32 s16, s4, s14
	s_cmp_ge_u32 s4, s14
	s_cselect_b32 s2, s15, s2
	s_cselect_b32 s4, s16, s4
	s_add_i32 s15, s2, 1
	s_cmp_ge_u32 s4, s14
	s_cselect_b32 s2, s15, s2
	s_load_dwordx2 s[12:13], s[0:1], 0xa8
	s_xor_b32 s2, s2, s9
	s_sub_i32 s2, s2, s9
	s_mul_i32 s4, s2, s7
	s_ashr_i32 s7, s4, 31
	s_add_u32 s46, s8, s4
	s_addc_u32 s47, s6, s7
	s_waitcnt lgkmcnt(0)
	s_mul_i32 s4, s56, s13
	s_mul_hi_u32 s6, s56, s12
	s_add_i32 s4, s6, s4
	s_mul_i32 s5, s5, s12
	s_add_i32 s4, s4, s5
	s_mul_i32 s5, s56, s12
	s_add_u32 s5, s40, s5
	s_mul_i32 s2, s2, s11
	s_addc_u32 s4, s41, s4
	s_ashr_i32 s6, s2, 31
	v_lshrrev_b32_e32 v1, 2, v85
	s_add_u32 s40, s5, s2
	v_lshl_add_u32 v0, v98, 5, v85
	v_lshl_add_u32 v1, v98, 3, v1
	s_movk_i32 s2, 0x60
	v_mov_b32_e32 v2, 0x1440
	s_addc_u32 s41, s4, s6
	v_cmp_gt_u32_e64 s[4:5], 32, v1
	v_mad_u32_u24 v110, v0, s2, v2
	v_mul_u32_u24_e32 v2, 0x60, v1
	v_mul_lo_u32 v78, s43, v1
	v_mul_hi_u32 v1, s28, v4
	v_add_u32_e32 v1, v4, v1
	v_lshrrev_b32_e32 v1, s29, v1
	v_mul_lo_u32 v1, v1, s30
	v_cmp_gt_u32_e32 vcc, 32, v0
	v_mul_lo_u32 v74, s43, v0
	v_and_b32_e32 v0, 12, v68
	v_sub_u32_e32 v1, v4, v1
	v_lshlrev_b32_e32 v3, 2, v0
	s_movk_i32 s2, 0x1400
	v_mul_lo_u32 v112, v1, s10
	v_add_u32_e32 v1, 1, v4
	v_add3_u32 v111, v2, v3, s2
	v_mul_hi_u32 v2, s28, v1
	v_add_u32_e32 v2, v1, v2
	v_lshrrev_b32_e32 v2, s29, v2
	v_mul_lo_u32 v2, v2, s30
	v_sub_u32_e32 v1, v1, v2
	v_mul_lo_u32 v113, v1, s10
	v_mov_b32_e32 v1, 0x20c0
	v_lshl_add_u32 v114, v98, 8, v1
	v_lshrrev_b32_e32 v1, 1, v85
	v_lshl_add_u32 v1, v98, 4, v1
	v_lshrrev_b32_e32 v2, 3, v85
	v_and_b32_e32 v80, 4, v68
	v_mul_u32_u24_e32 v3, 0xa0, v1
	v_add_u32_e32 v2, v5, v2
	v_lshl_or_b32 v3, v80, 2, v3
	v_and_b32_e32 v84, 28, v68
	v_mov_b32_e32 v77, 0
	v_cmp_gt_u32_e64 s[6:7], 16, v1
	v_add_u32_e32 v116, 0x1480, v3
	v_mul_lo_u32 v82, s42, v1
	v_mul_u32_u24_e32 v1, 0xa0, v2
	v_lshlrev_b32_e32 v3, 2, v84
	v_mul_lo_u32 v86, s42, v2
	s_add_u32 s28, s0, 0xd0
	v_mul_u32_u24_e32 v108, 0x60, v85
	v_mul_u32_u24_e32 v109, 0x280, v98
	v_ashrrev_i32_e32 v75, 31, v74
	v_ashrrev_i32_e32 v79, 31, v78
	v_lshlrev_b32_e32 v115, 3, v85
	v_cmp_gt_u32_e64 s[8:9], 16, v2
	v_ashrrev_i32_e32 v83, 31, v82
	v_add3_u32 v117, v1, v3, s2
	v_ashrrev_i32_e32 v87, 31, v86
	s_addc_u32 s29, s1, 0
	v_mov_b32_e32 v8, 0xfeffffff
	v_mbcnt_hi_u32_b32 v106, -1, v6
	s_mov_b32 s2, 0x40051340
	s_mov_b32 s53, 0x3fb8aa3b
	;; [unrolled: 1-line block ×4, first 2 shown]
	v_lshlrev_b32_e32 v76, 2, v0
	v_mov_b32_e32 v118, 0x7f800000
	v_mov_b32_e32 v99, v77
	;; [unrolled: 1-line block ×16, first 2 shown]
.LBB37_15:                              ; =>This Inner Loop Header: Depth=1
	s_mul_hi_i32 s11, s35, s43
	s_mul_i32 s10, s35, s43
	s_lshl_b64 s[10:11], s[10:11], 2
	s_add_u32 s10, s46, s10
	s_addc_u32 s11, s47, s11
	v_lshl_add_u64 v[6:7], v[74:75], 2, s[10:11]
	s_and_saveexec_b64 s[12:13], vcc
	s_cbranch_execz .LBB37_17
; %bb.16:                               ;   in Loop: Header=BB37_15 Depth=1
	global_load_dwordx4 v[0:3], v[6:7], off offset:64
	s_waitcnt vmcnt(0)
	ds_write_b128 v110, v[0:3]
.LBB37_17:                              ;   in Loop: Header=BB37_15 Depth=1
	s_or_b64 exec, exec, s[12:13]
	v_lshl_add_u64 v[4:5], v[78:79], 2, s[10:11]
	s_and_saveexec_b64 s[10:11], s[4:5]
	s_cbranch_execz .LBB37_19
; %bb.18:                               ;   in Loop: Header=BB37_15 Depth=1
	v_lshl_add_u64 v[0:1], v[4:5], 0, v[76:77]
	global_load_dwordx4 v[0:3], v[0:1], off
	s_waitcnt vmcnt(0)
	ds_write_b128 v111, v[0:3]
.LBB37_19:                              ;   in Loop: Header=BB37_15 Depth=1
	s_or_b64 exec, exec, s[10:11]
	s_waitcnt lgkmcnt(0)
	s_barrier
	ds_read_b128 v[12:15], v108 offset:5120
	ds_read_b128 v[16:19], v109
	ds_read_b128 v[20:23], v109 offset:160
	ds_read_b128 v[24:27], v109 offset:320
	;; [unrolled: 1-line block ×3, first 2 shown]
	v_mov_b32_e32 v0, 0
	s_waitcnt lgkmcnt(3)
	;;#ASMSTART
	v_dot2_f32_f16 v0, v12, v16, v0
	;;#ASMEND
	v_mov_b32_e32 v1, 0
	;;#ASMSTART
	v_dot2_f32_f16 v0, v13, v17, v0
	;;#ASMEND
	v_mov_b32_e32 v2, 0
	;; [unrolled: 4-line block ×3, first 2 shown]
	;;#ASMSTART
	v_dot2_f32_f16 v0, v15, v19, v0
	;;#ASMEND
	s_waitcnt lgkmcnt(2)
	;;#ASMSTART
	v_dot2_f32_f16 v1, v12, v20, v1
	;;#ASMEND
	s_nop 0
	;;#ASMSTART
	v_dot2_f32_f16 v1, v13, v21, v1
	;;#ASMEND
	s_nop 0
	;;#ASMSTART
	v_dot2_f32_f16 v1, v14, v22, v1
	;;#ASMEND
	s_nop 0
	;;#ASMSTART
	v_dot2_f32_f16 v1, v15, v23, v1
	;;#ASMEND
	s_waitcnt lgkmcnt(1)
	;;#ASMSTART
	v_dot2_f32_f16 v2, v12, v24, v2
	;;#ASMEND
	s_nop 0
	;;#ASMSTART
	v_dot2_f32_f16 v2, v13, v25, v2
	;;#ASMEND
	s_nop 0
	;;#ASMSTART
	v_dot2_f32_f16 v2, v14, v26, v2
	;;#ASMEND
	s_nop 0
	;; [unrolled: 16-line block ×3, first 2 shown]
	;;#ASMSTART
	v_dot2_f32_f16 v3, v15, v31, v3
	;;#ASMEND
	ds_read_b128 v[12:15], v108 offset:5136
	ds_read_b128 v[16:19], v109 offset:16
	;; [unrolled: 1-line block ×5, first 2 shown]
	s_waitcnt lgkmcnt(3)
	;;#ASMSTART
	v_dot2_f32_f16 v0, v12, v16, v0
	;;#ASMEND
	s_nop 0
	;;#ASMSTART
	v_dot2_f32_f16 v0, v13, v17, v0
	;;#ASMEND
	s_nop 0
	;;#ASMSTART
	v_dot2_f32_f16 v0, v14, v18, v0
	;;#ASMEND
	s_nop 0
	;;#ASMSTART
	v_dot2_f32_f16 v0, v15, v19, v0
	;;#ASMEND
	s_waitcnt lgkmcnt(2)
	;;#ASMSTART
	v_dot2_f32_f16 v1, v12, v20, v1
	;;#ASMEND
	s_nop 0
	;;#ASMSTART
	v_dot2_f32_f16 v1, v13, v21, v1
	;;#ASMEND
	s_nop 0
	;;#ASMSTART
	v_dot2_f32_f16 v1, v14, v22, v1
	;;#ASMEND
	s_nop 0
	;;#ASMSTART
	v_dot2_f32_f16 v1, v15, v23, v1
	;;#ASMEND
	s_waitcnt lgkmcnt(1)
	;;#ASMSTART
	v_dot2_f32_f16 v2, v12, v24, v2
	;;#ASMEND
	s_nop 0
	;;#ASMSTART
	v_dot2_f32_f16 v2, v13, v25, v2
	;;#ASMEND
	s_nop 0
	;;#ASMSTART
	v_dot2_f32_f16 v2, v14, v26, v2
	;;#ASMEND
	s_nop 0
	;;#ASMSTART
	v_dot2_f32_f16 v2, v15, v27, v2
	;;#ASMEND
	s_waitcnt lgkmcnt(0)
	;;#ASMSTART
	v_dot2_f32_f16 v3, v12, v28, v3
	;;#ASMEND
	s_nop 0
	;;#ASMSTART
	v_dot2_f32_f16 v3, v13, v29, v3
	;;#ASMEND
	s_nop 0
	;;#ASMSTART
	v_dot2_f32_f16 v3, v14, v30, v3
	;;#ASMEND
	s_nop 0
	;;#ASMSTART
	v_dot2_f32_f16 v3, v15, v31, v3
	;;#ASMEND
	ds_read_b128 v[12:15], v108 offset:5152
	ds_read_b128 v[16:19], v109 offset:32
	;; [unrolled: 1-line block ×5, first 2 shown]
	s_waitcnt lgkmcnt(3)
	;;#ASMSTART
	v_dot2_f32_f16 v0, v12, v16, v0
	;;#ASMEND
	s_nop 0
	;;#ASMSTART
	v_dot2_f32_f16 v0, v13, v17, v0
	;;#ASMEND
	s_nop 0
	;;#ASMSTART
	v_dot2_f32_f16 v0, v14, v18, v0
	;;#ASMEND
	s_nop 0
	;;#ASMSTART
	v_dot2_f32_f16 v0, v15, v19, v0
	;;#ASMEND
	s_waitcnt lgkmcnt(2)
	;;#ASMSTART
	v_dot2_f32_f16 v1, v12, v20, v1
	;;#ASMEND
	s_nop 0
	;;#ASMSTART
	v_dot2_f32_f16 v1, v13, v21, v1
	;;#ASMEND
	s_nop 0
	;;#ASMSTART
	v_dot2_f32_f16 v1, v14, v22, v1
	;;#ASMEND
	s_nop 0
	;;#ASMSTART
	v_dot2_f32_f16 v1, v15, v23, v1
	;;#ASMEND
	;; [unrolled: 16-line block ×4, first 2 shown]
	ds_read_b128 v[12:15], v108 offset:5168
	ds_read_b128 v[16:19], v109 offset:48
	;; [unrolled: 1-line block ×5, first 2 shown]
	s_waitcnt lgkmcnt(3)
	;;#ASMSTART
	v_dot2_f32_f16 v0, v12, v16, v0
	;;#ASMEND
	s_nop 0
	;;#ASMSTART
	v_dot2_f32_f16 v0, v13, v17, v0
	;;#ASMEND
	s_nop 0
	;;#ASMSTART
	v_dot2_f32_f16 v0, v14, v18, v0
	;;#ASMEND
	s_nop 0
	;;#ASMSTART
	v_dot2_f32_f16 v0, v15, v19, v0
	;;#ASMEND
	s_waitcnt lgkmcnt(2)
	;;#ASMSTART
	v_dot2_f32_f16 v1, v12, v20, v1
	;;#ASMEND
	s_nop 0
	;;#ASMSTART
	v_dot2_f32_f16 v1, v13, v21, v1
	;;#ASMEND
	s_nop 0
	;;#ASMSTART
	v_dot2_f32_f16 v1, v14, v22, v1
	;;#ASMEND
	s_nop 0
	;;#ASMSTART
	v_dot2_f32_f16 v1, v15, v23, v1
	;;#ASMEND
	;; [unrolled: 16-line block ×4, first 2 shown]
	ds_read_b128 v[12:15], v108 offset:5184
	ds_read_b128 v[16:19], v109 offset:64
	;; [unrolled: 1-line block ×5, first 2 shown]
	s_waitcnt lgkmcnt(3)
	;;#ASMSTART
	v_dot2_f32_f16 v0, v12, v16, v0
	;;#ASMEND
	s_nop 0
	;;#ASMSTART
	v_dot2_f32_f16 v0, v13, v17, v0
	;;#ASMEND
	s_nop 0
	;;#ASMSTART
	v_dot2_f32_f16 v0, v14, v18, v0
	;;#ASMEND
	s_nop 0
	;;#ASMSTART
	v_dot2_f32_f16 v0, v15, v19, v0
	;;#ASMEND
	s_waitcnt lgkmcnt(2)
	;;#ASMSTART
	v_dot2_f32_f16 v1, v12, v20, v1
	;;#ASMEND
	s_nop 0
	;;#ASMSTART
	v_dot2_f32_f16 v1, v13, v21, v1
	;;#ASMEND
	s_nop 0
	;;#ASMSTART
	v_dot2_f32_f16 v1, v14, v22, v1
	;;#ASMEND
	s_nop 0
	;;#ASMSTART
	v_dot2_f32_f16 v1, v15, v23, v1
	;;#ASMEND
	;; [unrolled: 16-line block ×4, first 2 shown]
	s_barrier
	s_and_saveexec_b64 s[10:11], vcc
	s_cbranch_execz .LBB37_21
; %bb.20:                               ;   in Loop: Header=BB37_15 Depth=1
	global_load_dwordx4 v[12:15], v[6:7], off offset:144
	s_waitcnt vmcnt(0)
	ds_write_b128 v110, v[12:15]
.LBB37_21:                              ;   in Loop: Header=BB37_15 Depth=1
	s_or_b64 exec, exec, s[10:11]
	s_and_saveexec_b64 s[10:11], s[4:5]
	s_cbranch_execz .LBB37_23
; %bb.22:                               ;   in Loop: Header=BB37_15 Depth=1
	v_lshl_add_u64 v[4:5], v[4:5], 0, v[76:77]
	global_load_dwordx4 v[4:7], v[4:5], off offset:80
	s_waitcnt vmcnt(0)
	ds_write_b128 v111, v[4:7]
.LBB37_23:                              ;   in Loop: Header=BB37_15 Depth=1
	s_or_b64 exec, exec, s[10:11]
	s_waitcnt lgkmcnt(0)
	s_barrier
	ds_read_b128 v[4:7], v108 offset:5120
	ds_read_b128 v[12:15], v109 offset:80
	;; [unrolled: 1-line block ×5, first 2 shown]
	s_waitcnt lgkmcnt(3)
	;;#ASMSTART
	v_dot2_f32_f16 v0, v4, v12, v0
	;;#ASMEND
	s_nop 0
	;;#ASMSTART
	v_dot2_f32_f16 v0, v5, v13, v0
	;;#ASMEND
	v_xor_b32_e32 v122, 16, v106
	;;#ASMSTART
	v_dot2_f32_f16 v0, v6, v14, v0
	;;#ASMEND
	v_xor_b32_e32 v123, 8, v106
	;;#ASMSTART
	v_dot2_f32_f16 v0, v7, v15, v0
	;;#ASMEND
	s_waitcnt lgkmcnt(2)
	;;#ASMSTART
	v_dot2_f32_f16 v1, v4, v16, v1
	;;#ASMEND
	v_xor_b32_e32 v124, 4, v106
	;;#ASMSTART
	v_dot2_f32_f16 v1, v5, v17, v1
	;;#ASMEND
	v_xor_b32_e32 v121, 2, v106
	;; [unrolled: 4-line block ×3, first 2 shown]
	;;#ASMSTART
	v_dot2_f32_f16 v1, v7, v19, v1
	;;#ASMEND
	s_waitcnt lgkmcnt(1)
	;;#ASMSTART
	v_dot2_f32_f16 v2, v4, v20, v2
	;;#ASMEND
	v_lshlrev_b32_e32 v92, 2, v80
	;;#ASMSTART
	v_dot2_f32_f16 v2, v5, v21, v2
	;;#ASMEND
	s_nop 0
	;;#ASMSTART
	v_dot2_f32_f16 v2, v6, v22, v2
	;;#ASMEND
	s_nop 0
	;;#ASMSTART
	v_dot2_f32_f16 v2, v7, v23, v2
	;;#ASMEND
	s_waitcnt lgkmcnt(0)
	;;#ASMSTART
	v_dot2_f32_f16 v3, v4, v24, v3
	;;#ASMEND
	s_nop 0
	;;#ASMSTART
	v_dot2_f32_f16 v3, v5, v25, v3
	;;#ASMEND
	s_nop 0
	;; [unrolled: 4-line block ×3, first 2 shown]
	;;#ASMSTART
	v_dot2_f32_f16 v3, v7, v27, v3
	;;#ASMEND
	ds_read_b128 v[4:7], v108 offset:5136
	ds_read_b128 v[12:15], v109 offset:96
	;; [unrolled: 1-line block ×5, first 2 shown]
	s_waitcnt lgkmcnt(3)
	;;#ASMSTART
	v_dot2_f32_f16 v0, v4, v12, v0
	;;#ASMEND
	s_nop 0
	;;#ASMSTART
	v_dot2_f32_f16 v0, v5, v13, v0
	;;#ASMEND
	s_nop 0
	;;#ASMSTART
	v_dot2_f32_f16 v0, v6, v14, v0
	;;#ASMEND
	s_nop 0
	;;#ASMSTART
	v_dot2_f32_f16 v0, v7, v15, v0
	;;#ASMEND
	s_waitcnt lgkmcnt(2)
	;;#ASMSTART
	v_dot2_f32_f16 v1, v4, v16, v1
	;;#ASMEND
	s_nop 0
	;;#ASMSTART
	v_dot2_f32_f16 v1, v5, v17, v1
	;;#ASMEND
	s_nop 0
	;;#ASMSTART
	v_dot2_f32_f16 v1, v6, v18, v1
	;;#ASMEND
	s_nop 0
	;;#ASMSTART
	v_dot2_f32_f16 v1, v7, v19, v1
	;;#ASMEND
	s_waitcnt lgkmcnt(1)
	;;#ASMSTART
	v_dot2_f32_f16 v2, v4, v20, v2
	;;#ASMEND
	s_nop 0
	;;#ASMSTART
	v_dot2_f32_f16 v2, v5, v21, v2
	;;#ASMEND
	s_nop 0
	;;#ASMSTART
	v_dot2_f32_f16 v2, v6, v22, v2
	;;#ASMEND
	s_nop 0
	;;#ASMSTART
	v_dot2_f32_f16 v2, v7, v23, v2
	;;#ASMEND
	s_waitcnt lgkmcnt(0)
	;;#ASMSTART
	v_dot2_f32_f16 v3, v4, v24, v3
	;;#ASMEND
	s_nop 0
	;;#ASMSTART
	v_dot2_f32_f16 v3, v5, v25, v3
	;;#ASMEND
	s_nop 0
	;;#ASMSTART
	v_dot2_f32_f16 v3, v6, v26, v3
	;;#ASMEND
	s_nop 0
	;;#ASMSTART
	v_dot2_f32_f16 v3, v7, v27, v3
	;;#ASMEND
	ds_read_b128 v[4:7], v108 offset:5152
	ds_read_b128 v[12:15], v109 offset:112
	;; [unrolled: 1-line block ×5, first 2 shown]
	s_waitcnt lgkmcnt(3)
	;;#ASMSTART
	v_dot2_f32_f16 v0, v4, v12, v0
	;;#ASMEND
	s_nop 0
	;;#ASMSTART
	v_dot2_f32_f16 v0, v5, v13, v0
	;;#ASMEND
	s_nop 0
	;;#ASMSTART
	v_dot2_f32_f16 v0, v6, v14, v0
	;;#ASMEND
	s_nop 0
	;;#ASMSTART
	v_dot2_f32_f16 v0, v7, v15, v0
	;;#ASMEND
	s_waitcnt lgkmcnt(2)
	;;#ASMSTART
	v_dot2_f32_f16 v1, v4, v16, v1
	;;#ASMEND
	s_nop 0
	;;#ASMSTART
	v_dot2_f32_f16 v1, v5, v17, v1
	;;#ASMEND
	s_nop 0
	;;#ASMSTART
	v_dot2_f32_f16 v1, v6, v18, v1
	;;#ASMEND
	s_nop 0
	;;#ASMSTART
	v_dot2_f32_f16 v1, v7, v19, v1
	;;#ASMEND
	;; [unrolled: 16-line block ×4, first 2 shown]
	ds_read_b128 v[4:7], v108 offset:5168
	ds_read_b128 v[12:15], v109 offset:128
	;; [unrolled: 1-line block ×5, first 2 shown]
	s_waitcnt lgkmcnt(3)
	;;#ASMSTART
	v_dot2_f32_f16 v0, v4, v12, v0
	;;#ASMEND
	s_nop 0
	;;#ASMSTART
	v_dot2_f32_f16 v0, v5, v13, v0
	;;#ASMEND
	s_nop 0
	;;#ASMSTART
	v_dot2_f32_f16 v0, v6, v14, v0
	;;#ASMEND
	s_nop 0
	;;#ASMSTART
	v_dot2_f32_f16 v0, v7, v15, v0
	;;#ASMEND
	s_waitcnt lgkmcnt(2)
	;;#ASMSTART
	v_dot2_f32_f16 v1, v4, v16, v1
	;;#ASMEND
	s_nop 0
	;;#ASMSTART
	v_dot2_f32_f16 v1, v5, v17, v1
	;;#ASMEND
	s_nop 0
	;;#ASMSTART
	v_dot2_f32_f16 v1, v6, v18, v1
	;;#ASMEND
	s_nop 0
	;;#ASMSTART
	v_dot2_f32_f16 v1, v7, v19, v1
	;;#ASMEND
	;; [unrolled: 16-line block ×4, first 2 shown]
	ds_read_b128 v[4:7], v108 offset:5184
	ds_read_b128 v[12:15], v109 offset:144
	;; [unrolled: 1-line block ×5, first 2 shown]
	s_waitcnt lgkmcnt(3)
	;;#ASMSTART
	v_dot2_f32_f16 v0, v4, v12, v0
	;;#ASMEND
	s_nop 0
	;;#ASMSTART
	v_dot2_f32_f16 v0, v5, v13, v0
	;;#ASMEND
	s_nop 0
	;;#ASMSTART
	v_dot2_f32_f16 v0, v6, v14, v0
	;;#ASMEND
	v_max_f32_e32 v14, v11, v11
	;;#ASMSTART
	v_dot2_f32_f16 v0, v7, v15, v0
	;;#ASMEND
	s_waitcnt lgkmcnt(2)
	;;#ASMSTART
	v_dot2_f32_f16 v1, v4, v16, v1
	;;#ASMEND
	v_max_f32_e32 v15, v10, v10
	;;#ASMSTART
	v_dot2_f32_f16 v1, v5, v17, v1
	;;#ASMEND
	v_max_f32_e32 v16, v9, v9
	;; [unrolled: 4-line block ×3, first 2 shown]
	;;#ASMSTART
	v_dot2_f32_f16 v1, v7, v19, v1
	;;#ASMEND
	s_waitcnt lgkmcnt(1)
	;;#ASMSTART
	v_dot2_f32_f16 v2, v4, v20, v2
	;;#ASMEND
	s_nop 0
	;;#ASMSTART
	v_dot2_f32_f16 v2, v5, v21, v2
	;;#ASMEND
	s_nop 0
	;; [unrolled: 4-line block ×3, first 2 shown]
	;;#ASMSTART
	v_dot2_f32_f16 v2, v7, v23, v2
	;;#ASMEND
	s_waitcnt lgkmcnt(0)
	;;#ASMSTART
	v_dot2_f32_f16 v3, v4, v24, v3
	;;#ASMEND
	s_nop 0
	;;#ASMSTART
	v_dot2_f32_f16 v3, v5, v25, v3
	;;#ASMEND
	s_nop 0
	;;#ASMSTART
	v_dot2_f32_f16 v3, v6, v26, v3
	;;#ASMEND
	v_add_u32_e32 v6, s35, v85
	v_add_u32_e32 v4, v6, v112
	;; [unrolled: 1-line block ×3, first 2 shown]
	;;#ASMSTART
	v_dot2_f32_f16 v3, v7, v27, v3
	;;#ASMEND
	v_ashrrev_i32_e32 v7, 31, v6
	v_ashrrev_i32_e32 v5, 31, v4
	v_lshl_add_u64 v[6:7], v[6:7], 1, s[54:55]
	v_lshl_add_u64 v[4:5], v[4:5], 1, s[54:55]
	flat_load_ushort v12, v[6:7]
	flat_load_ushort v13, v[4:5]
	v_and_b32_e32 v4, 0x60, v106
	v_add_u32_e32 v120, 32, v4
	v_cmp_lt_i32_e64 s[10:11], v122, v120
	s_waitcnt lgkmcnt(0)
	s_barrier
	v_cndmask_b32_e64 v4, v106, v122, s[10:11]
	v_lshlrev_b32_e32 v20, 2, v4
	v_cmp_lt_i32_e64 s[10:11], v123, v120
	s_waitcnt vmcnt(0)
	v_cvt_f32_f16_e32 v4, v12
	v_cvt_f32_f16_e32 v6, v13
	v_cndmask_b32_e64 v5, v106, v123, s[10:11]
	v_cmp_lt_i32_e64 s[10:11], v124, v120
	v_lshlrev_b32_e32 v12, 2, v5
	v_pk_add_f32 v[4:5], v[2:3], v[4:5] op_sel_hi:[1,0]
	v_cndmask_b32_e64 v7, v106, v124, s[10:11]
	v_lshlrev_b32_e32 v13, 2, v7
	v_pk_add_f32 v[6:7], v[0:1], v[6:7] op_sel_hi:[1,0]
	v_pk_add_f32 v[2:3], v[4:5], s[2:3] op_sel_hi:[1,0]
	;; [unrolled: 1-line block ×3, first 2 shown]
	v_max_f32_e32 v3, v14, v3
	v_max_f32_e32 v2, v15, v2
	;; [unrolled: 1-line block ×4, first 2 shown]
	ds_bpermute_b32 v14, v20, v3
	ds_bpermute_b32 v15, v20, v2
	;; [unrolled: 1-line block ×4, first 2 shown]
	v_cmp_lt_i32_e64 s[10:11], v121, v120
	s_waitcnt lgkmcnt(3)
	v_max_f32_e32 v14, v14, v14
	s_waitcnt lgkmcnt(2)
	v_max_f32_e32 v15, v15, v15
	;; [unrolled: 2-line block ×4, first 2 shown]
	v_max_f32_e32 v3, v3, v14
	v_max_f32_e32 v2, v2, v15
	;; [unrolled: 1-line block ×4, first 2 shown]
	ds_bpermute_b32 v14, v12, v3
	ds_bpermute_b32 v15, v12, v2
	;; [unrolled: 1-line block ×4, first 2 shown]
	v_cndmask_b32_e64 v18, v106, v121, s[10:11]
	s_waitcnt lgkmcnt(3)
	v_max_f32_e32 v14, v14, v14
	s_waitcnt lgkmcnt(2)
	v_max_f32_e32 v15, v15, v15
	;; [unrolled: 2-line block ×4, first 2 shown]
	v_max_f32_e32 v3, v3, v14
	v_max_f32_e32 v2, v2, v15
	;; [unrolled: 1-line block ×4, first 2 shown]
	ds_bpermute_b32 v12, v13, v3
	ds_bpermute_b32 v14, v13, v2
	ds_bpermute_b32 v15, v13, v1
	ds_bpermute_b32 v13, v13, v0
	v_lshlrev_b32_e32 v18, 2, v18
	s_waitcnt lgkmcnt(3)
	v_max_f32_e32 v12, v12, v12
	s_waitcnt lgkmcnt(2)
	v_max_f32_e32 v14, v14, v14
	;; [unrolled: 2-line block ×4, first 2 shown]
	v_max_f32_e32 v3, v3, v12
	v_max_f32_e32 v2, v2, v14
	;; [unrolled: 1-line block ×3, first 2 shown]
	ds_bpermute_b32 v12, v18, v3
	ds_bpermute_b32 v14, v18, v2
	v_max_f32_e32 v0, v0, v13
	ds_bpermute_b32 v15, v18, v1
	ds_bpermute_b32 v13, v18, v0
	v_cmp_lt_i32_e64 s[10:11], v119, v120
	s_waitcnt lgkmcnt(3)
	v_max_f32_e32 v12, v12, v12
	s_waitcnt lgkmcnt(2)
	v_max_f32_e32 v14, v14, v14
	v_cndmask_b32_e64 v19, v106, v119, s[10:11]
	v_lshlrev_b32_e32 v17, 2, v19
	s_waitcnt lgkmcnt(1)
	v_max_f32_e32 v15, v15, v15
	v_max_f32_e32 v3, v3, v12
	;; [unrolled: 1-line block ×3, first 2 shown]
	s_waitcnt lgkmcnt(0)
	v_max_f32_e32 v12, v13, v13
	v_max_f32_e32 v1, v1, v15
	ds_bpermute_b32 v13, v17, v3
	v_max_f32_e32 v0, v0, v12
	ds_bpermute_b32 v12, v17, v2
	ds_bpermute_b32 v15, v17, v1
	;; [unrolled: 1-line block ×3, first 2 shown]
	s_waitcnt lgkmcnt(3)
	v_max_f32_e32 v13, v13, v13
	v_max_f32_e32 v3, v3, v13
	s_waitcnt lgkmcnt(2)
	v_max_f32_e32 v12, v12, v12
	v_max_f32_e32 v2, v2, v12
	;; [unrolled: 3-line block ×3, first 2 shown]
	s_waitcnt lgkmcnt(0)
	v_max_f32_e32 v12, v14, v14
	v_sub_f32_e32 v5, v5, v3
	v_max_f32_e32 v0, v0, v12
	v_mul_f32_e32 v12, 0x3fb8aa3b, v5
	v_fma_f32 v13, v5, s53, -v12
	v_rndne_f32_e32 v14, v12
	v_fmac_f32_e32 v13, 0x32a5705f, v5
	v_sub_f32_e32 v12, v12, v14
	v_add_f32_e32 v12, v12, v13
	v_exp_f32_e32 v12, v12
	v_cvt_i32_f32_e32 v13, v14
	v_sub_f32_e32 v4, v4, v2
	v_cmp_ngt_f32_e64 s[10:11], s57, v5
	v_sub_f32_e32 v7, v7, v1
	v_ldexp_f32 v12, v12, v13
	v_mul_f32_e32 v13, 0x3fb8aa3b, v4
	v_fma_f32 v14, v4, s53, -v13
	v_rndne_f32_e32 v15, v13
	v_fmac_f32_e32 v14, 0x32a5705f, v4
	v_sub_f32_e32 v13, v13, v15
	v_add_f32_e32 v13, v13, v14
	v_exp_f32_e32 v13, v13
	v_cvt_i32_f32_e32 v14, v15
	v_cndmask_b32_e64 v12, 0, v12, s[10:11]
	v_cmp_nlt_f32_e64 s[10:11], s58, v5
	v_sub_f32_e32 v6, v6, v0
	v_ldexp_f32 v5, v13, v14
	v_cndmask_b32_e64 v89, v118, v12, s[10:11]
	v_mul_f32_e32 v12, 0x3fb8aa3b, v7
	v_fma_f32 v13, v7, s53, -v12
	v_rndne_f32_e32 v14, v12
	v_fmac_f32_e32 v13, 0x32a5705f, v7
	v_sub_f32_e32 v12, v12, v14
	v_add_f32_e32 v12, v12, v13
	v_exp_f32_e32 v12, v12
	v_cvt_i32_f32_e32 v13, v14
	v_cmp_ngt_f32_e64 s[10:11], s57, v4
	s_nop 1
	v_cndmask_b32_e64 v5, 0, v5, s[10:11]
	v_cmp_nlt_f32_e64 s[10:11], s58, v4
	v_ldexp_f32 v4, v12, v13
	s_nop 0
	v_cndmask_b32_e64 v88, v118, v5, s[10:11]
	v_mul_f32_e32 v5, 0x3fb8aa3b, v6
	v_fma_f32 v12, v6, s53, -v5
	v_rndne_f32_e32 v13, v5
	v_fmac_f32_e32 v12, 0x32a5705f, v6
	v_sub_f32_e32 v5, v5, v13
	v_add_f32_e32 v5, v5, v12
	v_exp_f32_e32 v5, v5
	v_cvt_i32_f32_e32 v12, v13
	v_cmp_ngt_f32_e64 s[10:11], s57, v7
	s_nop 1
	v_cndmask_b32_e64 v4, 0, v4, s[10:11]
	v_cmp_nlt_f32_e64 s[10:11], s58, v7
	s_nop 1
	v_cndmask_b32_e64 v91, v118, v4, s[10:11]
	v_ldexp_f32 v4, v5, v12
	v_cmp_ngt_f32_e64 s[10:11], s57, v6
	v_cvt_f16_f32_e32 v5, v88
	s_nop 0
	v_cndmask_b32_e64 v4, 0, v4, s[10:11]
	v_cmp_nlt_f32_e64 s[10:11], s58, v6
	v_cvt_f16_f32_e32 v6, v91
	s_nop 0
	v_cndmask_b32_e64 v90, v118, v4, s[10:11]
	v_cvt_f16_f32_e32 v4, v89
	v_cvt_f16_f32_e32 v7, v90
	s_mul_hi_i32 s11, s35, s42
	s_mul_i32 s10, s35, s42
	s_lshl_b64 s[10:11], s[10:11], 2
	s_add_u32 s10, s40, s10
	v_pack_b32_f16 v5, v5, v4
	v_pack_b32_f16 v4, v7, v6
	v_add_u32_e32 v6, v114, v115
	s_addc_u32 s11, s41, s11
	ds_write_b64 v6, v[4:5]
	s_and_saveexec_b64 s[12:13], s[6:7]
	s_cbranch_execz .LBB37_25
; %bb.24:                               ;   in Loop: Header=BB37_15 Depth=1
	v_lshl_add_u64 v[4:5], v[82:83], 2, s[10:11]
	v_mov_b32_e32 v93, v77
	v_lshl_add_u64 v[4:5], v[4:5], 0, v[92:93]
	global_load_dwordx4 v[4:7], v[4:5], off offset:128
	s_waitcnt vmcnt(0)
	ds_write_b128 v116, v[4:7]
.LBB37_25:                              ;   in Loop: Header=BB37_15 Depth=1
	s_or_b64 exec, exec, s[12:13]
	v_lshlrev_b32_e32 v96, 2, v84
	s_and_saveexec_b64 s[12:13], s[8:9]
	s_cbranch_execz .LBB37_27
; %bb.26:                               ;   in Loop: Header=BB37_15 Depth=1
	v_lshl_add_u64 v[4:5], v[86:87], 2, s[10:11]
	v_mov_b32_e32 v97, v77
	v_lshl_add_u64 v[4:5], v[4:5], 0, v[96:97]
	global_load_dwordx4 v[4:7], v[4:5], off
	s_waitcnt vmcnt(0)
	ds_write_b128 v117, v[4:7]
.LBB37_27:                              ;   in Loop: Header=BB37_15 Depth=1
	s_or_b64 exec, exec, s[12:13]
	v_add_u32_e32 v127, 0x1000, v115
	v_add_u32_e32 v126, 0x1400, v115
	;; [unrolled: 1-line block ×3, first 2 shown]
	v_sub_f32_e32 v94, v10, v2
	v_sub_f32_e32 v95, v11, v3
	;; [unrolled: 1-line block ×4, first 2 shown]
	s_waitcnt lgkmcnt(0)
	s_barrier
	ds_read2_b64 v[60:63], v127 offset0:128 offset1:148
	ds_read_b128 v[64:67], v114
	ds_read_b128 v[52:55], v114 offset:16
	ds_read_b128 v[44:47], v114 offset:32
	;; [unrolled: 1-line block ×3, first 2 shown]
	ds_read2_b64 v[56:59], v127 offset0:168 offset1:188
	ds_read2_b64 v[48:51], v127 offset0:208 offset1:228
	;; [unrolled: 1-line block ×5, first 2 shown]
	ds_read_b128 v[36:39], v114 offset:64
	ds_read_b128 v[24:27], v114 offset:80
	ds_read2_b64 v[12:15], v125 offset0:112 offset1:132
	ds_read2_b64 v[4:7], v125 offset0:152 offset1:172
	ds_read_b128 v[16:19], v114 offset:96
	ds_read_b128 v[8:11], v114 offset:112
	s_or_b32 s36, s35, 16
	s_mul_hi_i32 s37, s36, s42
	s_mul_i32 s36, s36, s42
	s_lshl_b64 s[36:37], s[36:37], 2
	s_add_u32 s36, s40, s36
	v_cmp_ngt_f32_e64 s[22:23], s57, v128
	v_cmp_nlt_f32_e64 s[24:25], s58, v128
	v_cmp_ngt_f32_e64 s[18:19], s57, v97
	v_cmp_nlt_f32_e64 s[20:21], s58, v97
	;; [unrolled: 2-line block ×4, first 2 shown]
	s_addc_u32 s37, s41, s37
	s_waitcnt lgkmcnt(0)
	s_barrier
	s_and_saveexec_b64 s[38:39], s[6:7]
	s_cbranch_execz .LBB37_29
; %bb.28:                               ;   in Loop: Header=BB37_15 Depth=1
	v_lshl_add_u64 v[130:131], v[82:83], 2, s[36:37]
	v_mov_b32_e32 v93, v77
	v_lshl_add_u64 v[92:93], v[130:131], 0, v[92:93]
	global_load_dwordx4 v[130:133], v[92:93], off offset:128
	s_waitcnt vmcnt(0)
	ds_write_b128 v116, v[130:133]
.LBB37_29:                              ;   in Loop: Header=BB37_15 Depth=1
	s_or_b64 exec, exec, s[38:39]
	v_mul_f32_e32 v92, 0x3fb8aa3b, v128
	v_fma_f32 v93, v128, s53, -v92
	v_fmac_f32_e32 v93, 0x32a5705f, v128
	v_rndne_f32_e32 v128, v92
	v_sub_f32_e32 v92, v92, v128
	v_add_f32_e32 v92, v92, v93
	v_cvt_i32_f32_e32 v93, v128
	v_mul_f32_e32 v128, 0x3fb8aa3b, v97
	v_fma_f32 v129, v97, s53, -v128
	v_fmac_f32_e32 v129, 0x32a5705f, v97
	v_rndne_f32_e32 v97, v128
	v_exp_f32_e32 v92, v92
	v_sub_f32_e32 v128, v128, v97
	v_add_f32_e32 v128, v128, v129
	v_exp_f32_e32 v128, v128
	v_cvt_i32_f32_e32 v97, v97
	v_ldexp_f32 v92, v92, v93
	v_cndmask_b32_e64 v92, 0, v92, s[22:23]
	v_cndmask_b32_e64 v93, v118, v92, s[24:25]
	v_ldexp_f32 v92, v128, v97
	v_mul_f32_e32 v97, 0x3fb8aa3b, v95
	v_fma_f32 v128, v95, s53, -v97
	v_fmac_f32_e32 v128, 0x32a5705f, v95
	v_rndne_f32_e32 v95, v97
	v_sub_f32_e32 v97, v97, v95
	v_add_f32_e32 v97, v97, v128
	v_mul_f32_e32 v128, 0x3fb8aa3b, v94
	v_fma_f32 v129, v94, s53, -v128
	v_fmac_f32_e32 v129, 0x32a5705f, v94
	v_rndne_f32_e32 v94, v128
	v_sub_f32_e32 v128, v128, v94
	v_add_f32_e32 v128, v128, v129
	v_exp_f32_e32 v97, v97
	v_cvt_i32_f32_e32 v95, v95
	v_exp_f32_e32 v128, v128
	v_cvt_i32_f32_e32 v94, v94
	v_cndmask_b32_e64 v92, 0, v92, s[18:19]
	v_ldexp_f32 v95, v97, v95
	v_cndmask_b32_e64 v95, 0, v95, s[14:15]
	v_ldexp_f32 v94, v128, v94
	v_cndmask_b32_e64 v94, 0, v94, s[10:11]
	v_cndmask_b32_e64 v92, v118, v92, s[20:21]
	;; [unrolled: 1-line block ×4, first 2 shown]
	s_and_saveexec_b64 s[10:11], s[8:9]
	s_cbranch_execz .LBB37_31
; %bb.30:                               ;   in Loop: Header=BB37_15 Depth=1
	v_lshl_add_u64 v[128:129], v[86:87], 2, s[36:37]
	v_mov_b32_e32 v97, v77
	v_lshl_add_u64 v[96:97], v[128:129], 0, v[96:97]
	global_load_dwordx4 v[128:131], v[96:97], off
	s_waitcnt vmcnt(0)
	ds_write_b128 v117, v[128:131]
.LBB37_31:                              ;   in Loop: Header=BB37_15 Depth=1
	s_or_b64 exec, exec, s[10:11]
	v_cvt_f16_f32_e32 v129, v95
	v_cvt_f16_f32_e32 v96, v92
	;; [unrolled: 1-line block ×4, first 2 shown]
	v_pk_mul_f16 v100, v129, v100 op_sel_hi:[0,1]
	v_pk_mul_f16 v99, v129, v99 op_sel_hi:[0,1]
	v_pk_mul_f16 v129, v60, v64 op_sel_hi:[1,0]
	v_pk_mul_f16 v107, v96, v107 op_sel_hi:[0,1]
	v_pk_fma_f16 v96, v96, v105, v129 op_sel_hi:[0,1,1]
	v_pk_mul_f16 v105, v60, v64 op_sel:[0,1]
	v_pk_mul_f16 v104, v97, v104 op_sel_hi:[0,1]
	v_pk_mul_f16 v102, v128, v102 op_sel_hi:[0,1]
	v_pk_fma_f16 v97, v97, v103, v105 op_sel_hi:[0,1,1]
	v_pk_mul_f16 v103, v60, v65 op_sel_hi:[1,0]
	v_pk_fma_f16 v60, v60, v65, v100 op_sel:[0,1,0]
	v_pk_fma_f16 v101, v128, v101, v103 op_sel_hi:[0,1,1]
	v_pk_fma_f16 v100, v61, v64, v107 op_sel_hi:[1,0,1]
	v_pk_fma_f16 v64, v61, v64, v104 op_sel:[0,1,0]
	v_pk_fma_f16 v102, v61, v65, v102 op_sel_hi:[1,0,1]
	v_pk_fma_f16 v61, v61, v65, v99 op_sel:[0,1,0]
	;; [unrolled: 2-line block ×62, first 2 shown]
	s_waitcnt lgkmcnt(0)
	s_barrier
	ds_read2_b64 v[4:7], v127 offset0:128 offset1:148
	ds_read_b128 v[8:11], v114 offset:128
	ds_read_b128 v[12:15], v114 offset:144
	;; [unrolled: 1-line block ×4, first 2 shown]
	v_pk_fma_f32 v[70:71], v[70:71], v[94:95], v[88:89]
	v_pk_fma_f32 v[72:73], v[72:73], v[92:93], v[90:91]
	s_waitcnt lgkmcnt(3)
	v_pk_fma_f16 v24, v4, v8, v24 op_sel_hi:[1,0,1]
	v_pk_fma_f16 v25, v4, v8, v25 op_sel:[0,1,0]
	v_pk_fma_f16 v26, v4, v9, v26 op_sel_hi:[1,0,1]
	v_pk_fma_f16 v4, v4, v9, v27 op_sel:[0,1,0]
	;; [unrolled: 2-line block ×5, first 2 shown]
	v_pk_fma_f16 v31, v6, v11, v26 op_sel_hi:[1,0,1]
	ds_read2_b64 v[24:27], v127 offset0:168 offset1:188
	v_pk_fma_f16 v4, v6, v11, v4 op_sel:[0,1,0]
	v_pk_fma_f16 v6, v7, v10, v28 op_sel_hi:[1,0,1]
	v_pk_fma_f16 v8, v7, v10, v8 op_sel:[0,1,0]
	v_pk_fma_f16 v10, v7, v11, v29 op_sel_hi:[1,0,1]
	v_pk_fma_f16 v5, v7, v11, v5 op_sel:[0,1,0]
	s_waitcnt lgkmcnt(0)
	v_pk_fma_f16 v7, v24, v12, v9 op_sel_hi:[1,0,1]
	v_pk_fma_f16 v4, v24, v13, v4 op_sel:[0,1,0]
	v_pk_fma_f16 v9, v24, v12, v30 op_sel:[0,1,0]
	v_pk_fma_f16 v11, v24, v13, v31 op_sel_hi:[1,0,1]
	v_pk_fma_f16 v24, v25, v12, v6 op_sel_hi:[1,0,1]
	v_pk_fma_f16 v8, v25, v12, v8 op_sel:[0,1,0]
	v_pk_fma_f16 v10, v25, v13, v10 op_sel_hi:[1,0,1]
	v_pk_fma_f16 v12, v25, v13, v5 op_sel:[0,1,0]
	v_pk_fma_f16 v13, v26, v14, v7 op_sel_hi:[1,0,1]
	v_pk_fma_f16 v25, v26, v15, v4 op_sel:[0,1,0]
	ds_read2_b64 v[4:7], v127 offset0:208 offset1:228
	v_pk_fma_f16 v9, v26, v14, v9 op_sel:[0,1,0]
	v_pk_fma_f16 v11, v26, v15, v11 op_sel_hi:[1,0,1]
	v_pk_fma_f16 v24, v27, v14, v24 op_sel_hi:[1,0,1]
	v_pk_fma_f16 v8, v27, v14, v8 op_sel:[0,1,0]
	v_pk_fma_f16 v10, v27, v15, v10 op_sel_hi:[1,0,1]
	v_pk_fma_f16 v12, v27, v15, v12 op_sel:[0,1,0]
	s_waitcnt lgkmcnt(0)
	v_pk_fma_f16 v13, v4, v16, v13 op_sel_hi:[1,0,1]
	v_pk_fma_f16 v9, v4, v16, v9 op_sel:[0,1,0]
	v_pk_fma_f16 v11, v4, v17, v11 op_sel_hi:[1,0,1]
	v_pk_fma_f16 v4, v4, v17, v25 op_sel:[0,1,0]
	;; [unrolled: 2-line block ×5, first 2 shown]
	v_pk_fma_f16 v17, v6, v19, v11 op_sel_hi:[1,0,1]
	ds_read2_b64 v[8:11], v126 offset0:120 offset1:140
	v_pk_fma_f16 v4, v6, v19, v4 op_sel:[0,1,0]
	v_pk_fma_f16 v6, v7, v18, v14 op_sel_hi:[1,0,1]
	v_pk_fma_f16 v14, v7, v18, v15 op_sel:[0,1,0]
	v_pk_fma_f16 v15, v7, v19, v16 op_sel_hi:[1,0,1]
	v_pk_fma_f16 v5, v7, v19, v5 op_sel:[0,1,0]
	s_waitcnt lgkmcnt(0)
	v_pk_fma_f16 v7, v8, v20, v12 op_sel_hi:[1,0,1]
	v_pk_fma_f16 v12, v8, v20, v13 op_sel:[0,1,0]
	v_pk_fma_f16 v13, v8, v21, v17 op_sel_hi:[1,0,1]
	v_pk_fma_f16 v4, v8, v21, v4 op_sel:[0,1,0]
	;; [unrolled: 2-line block ×6, first 2 shown]
	v_pk_fma_f16 v21, v11, v22, v6 op_sel_hi:[1,0,1]
	ds_read2_b64 v[4:7], v125 offset0:32 offset1:52
	ds_read_b128 v[12:15], v114 offset:192
	v_pk_fma_f16 v22, v11, v22, v8 op_sel:[0,1,0]
	v_pk_fma_f16 v16, v11, v23, v16 op_sel_hi:[1,0,1]
	v_pk_fma_f16 v23, v11, v23, v9 op_sel:[0,1,0]
	ds_read_b128 v[8:11], v114 offset:208
	s_waitcnt lgkmcnt(1)
	v_pk_fma_f16 v17, v4, v12, v17 op_sel_hi:[1,0,1]
	v_pk_fma_f16 v18, v4, v12, v18 op_sel:[0,1,0]
	v_pk_fma_f16 v19, v4, v13, v19 op_sel_hi:[1,0,1]
	v_pk_fma_f16 v4, v4, v13, v20 op_sel:[0,1,0]
	;; [unrolled: 2-line block ×5, first 2 shown]
	v_pk_fma_f16 v23, v6, v15, v19 op_sel_hi:[1,0,1]
	ds_read2_b64 v[16:19], v125 offset0:72 offset1:92
	v_pk_fma_f16 v4, v6, v15, v4 op_sel:[0,1,0]
	v_pk_fma_f16 v6, v7, v14, v20 op_sel_hi:[1,0,1]
	v_pk_fma_f16 v12, v7, v14, v12 op_sel:[0,1,0]
	v_pk_fma_f16 v14, v7, v15, v21 op_sel_hi:[1,0,1]
	v_pk_fma_f16 v5, v7, v15, v5 op_sel:[0,1,0]
	s_waitcnt lgkmcnt(0)
	v_pk_fma_f16 v7, v16, v8, v13 op_sel_hi:[1,0,1]
	v_pk_fma_f16 v13, v16, v8, v22 op_sel:[0,1,0]
	v_pk_fma_f16 v15, v16, v9, v23 op_sel_hi:[1,0,1]
	v_pk_fma_f16 v4, v16, v9, v4 op_sel:[0,1,0]
	;; [unrolled: 2-line block ×6, first 2 shown]
	v_pk_fma_f16 v22, v19, v10, v6 op_sel_hi:[1,0,1]
	ds_read2_b64 v[4:7], v125 offset0:112 offset1:132
	ds_read_b128 v[12:15], v114 offset:224
	v_pk_fma_f16 v23, v19, v10, v8 op_sel:[0,1,0]
	v_pk_fma_f16 v16, v19, v11, v16 op_sel_hi:[1,0,1]
	v_pk_fma_f16 v19, v19, v11, v9 op_sel:[0,1,0]
	ds_read_b128 v[8:11], v114 offset:240
	s_waitcnt lgkmcnt(1)
	v_pk_fma_f16 v17, v4, v12, v17 op_sel_hi:[1,0,1]
	v_pk_fma_f16 v20, v4, v12, v20 op_sel:[0,1,0]
	v_pk_fma_f16 v21, v4, v13, v21 op_sel_hi:[1,0,1]
	v_pk_fma_f16 v4, v4, v13, v18 op_sel:[0,1,0]
	;; [unrolled: 2-line block ×4, first 2 shown]
	v_pk_fma_f16 v13, v6, v14, v17 op_sel_hi:[1,0,1]
	ds_read2_b64 v[16:19], v125 offset0:152 offset1:172
	s_waitcnt lgkmcnt(0)
	s_barrier
	s_load_dword s10, s[28:29], 0x4
	v_pk_fma_f16 v20, v6, v14, v20 op_sel:[0,1,0]
	v_pk_fma_f16 v21, v6, v15, v21 op_sel_hi:[1,0,1]
	v_pk_fma_f16 v4, v6, v15, v4 op_sel:[0,1,0]
	v_pk_fma_f16 v6, v7, v14, v22 op_sel_hi:[1,0,1]
	v_pk_fma_f16 v12, v7, v14, v12 op_sel:[0,1,0]
	v_pk_fma_f16 v14, v7, v15, v23 op_sel_hi:[1,0,1]
	v_pk_fma_f16 v5, v7, v15, v5 op_sel:[0,1,0]
	s_waitcnt lgkmcnt(0)
	s_lshl_b32 s10, s10, 5
	v_pk_fma_f16 v7, v16, v8, v13 op_sel_hi:[1,0,1]
	v_pk_fma_f16 v13, v16, v8, v20 op_sel:[0,1,0]
	v_pk_fma_f16 v15, v16, v9, v21 op_sel_hi:[1,0,1]
	v_pk_fma_f16 v4, v16, v9, v4 op_sel:[0,1,0]
	;; [unrolled: 2-line block ×4, first 2 shown]
	s_add_i32 s35, s10, s35
	v_pk_fma_f16 v105, v18, v10, v7 op_sel_hi:[1,0,1]
	v_pk_fma_f16 v103, v18, v10, v13 op_sel:[0,1,0]
	v_pk_fma_f16 v101, v18, v11, v15 op_sel_hi:[1,0,1]
	v_pk_fma_f16 v100, v18, v11, v4 op_sel:[0,1,0]
	;; [unrolled: 2-line block ×3, first 2 shown]
	v_pk_fma_f16 v102, v19, v11, v12 op_sel_hi:[1,0,1]
	s_cmp_ge_i32 s35, s52
	v_pk_fma_f16 v99, v19, v11, v5 op_sel:[0,1,0]
	s_cbranch_scc1 .LBB37_33
; %bb.32:                               ;   in Loop: Header=BB37_15 Depth=1
	v_mov_b32_e32 v8, v0
	v_mov_b32_e32 v9, v1
	;; [unrolled: 1-line block ×4, first 2 shown]
	s_branch .LBB37_15
.LBB37_33:
	v_cmp_lt_i32_e32 vcc, v122, v120
	s_cmp_lg_u64 s[44:45], 0
	s_cselect_b64 s[4:5], -1, 0
	v_cndmask_b32_e32 v4, v106, v122, vcc
	v_cmp_lt_i32_e32 vcc, v123, v120
	v_lshlrev_b32_e32 v7, 2, v4
	ds_bpermute_b32 v5, v7, v73
	v_cndmask_b32_e32 v4, v106, v123, vcc
	v_cmp_lt_i32_e32 vcc, v124, v120
	v_lshlrev_b32_e32 v11, 2, v4
	ds_bpermute_b32 v6, v7, v70
	v_cndmask_b32_e32 v4, v106, v124, vcc
	v_lshlrev_b32_e32 v12, 2, v4
	ds_bpermute_b32 v4, v7, v72
	ds_bpermute_b32 v7, v7, v71
	v_cmp_lt_i32_e32 vcc, v121, v120
	s_cmp_eq_u32 s3, 0
	s_cselect_b64 s[6:7], -1, 0
	s_waitcnt lgkmcnt(1)
	v_pk_add_f32 v[4:5], v[72:73], v[4:5]
	s_waitcnt lgkmcnt(0)
	v_pk_add_f32 v[6:7], v[70:71], v[6:7]
	ds_bpermute_b32 v8, v11, v4
	ds_bpermute_b32 v9, v11, v5
	;; [unrolled: 1-line block ×4, first 2 shown]
	v_cndmask_b32_e32 v13, v106, v121, vcc
	v_lshlrev_b32_e32 v13, 2, v13
	s_waitcnt lgkmcnt(2)
	v_pk_add_f32 v[4:5], v[4:5], v[8:9]
	ds_bpermute_b32 v8, v12, v4
	s_waitcnt lgkmcnt(1)
	v_pk_add_f32 v[6:7], v[6:7], v[10:11]
	ds_bpermute_b32 v9, v12, v5
	ds_bpermute_b32 v10, v12, v6
	;; [unrolled: 1-line block ×3, first 2 shown]
	v_cmp_lt_i32_e32 vcc, v119, v120
	s_and_b64 s[4:5], s[6:7], s[4:5]
	s_waitcnt lgkmcnt(2)
	v_pk_add_f32 v[4:5], v[4:5], v[8:9]
	ds_bpermute_b32 v8, v13, v4
	s_waitcnt lgkmcnt(1)
	v_pk_add_f32 v[6:7], v[6:7], v[10:11]
	ds_bpermute_b32 v9, v13, v5
	ds_bpermute_b32 v10, v13, v6
	;; [unrolled: 1-line block ×3, first 2 shown]
	v_cndmask_b32_e32 v12, v106, v119, vcc
	v_lshlrev_b32_e32 v13, 2, v12
	s_waitcnt lgkmcnt(2)
	v_pk_add_f32 v[4:5], v[4:5], v[8:9]
	ds_bpermute_b32 v8, v13, v4
	s_waitcnt lgkmcnt(1)
	v_pk_add_f32 v[10:11], v[6:7], v[10:11]
	ds_bpermute_b32 v9, v13, v5
	ds_bpermute_b32 v12, v13, v10
	;; [unrolled: 1-line block ×3, first 2 shown]
	s_and_b64 vcc, exec, s[4:5]
	s_waitcnt lgkmcnt(2)
	v_pk_add_f32 v[6:7], v[4:5], v[8:9]
	s_waitcnt lgkmcnt(0)
	v_pk_add_f32 v[4:5], v[10:11], v[12:13]
	s_cbranch_vccz .LBB37_35
; %bb.34:
	s_ashr_i32 s35, s34, 31
	s_lshl_b64 s[4:5], s[34:35], 2
	s_add_u32 s4, s44, s4
	s_addc_u32 s5, s45, s5
	v_mov_b32_e32 v8, 0
	global_load_dwordx2 v[12:13], v8, s[4:5]
	v_max_f32_e32 v8, v1, v1
	v_max_f32_e32 v10, v0, v0
	;; [unrolled: 1-line block ×4, first 2 shown]
	s_mov_b32 s5, 0x3fb8aa3b
	s_mov_b32 s2, 0xc2ce8ed0
	;; [unrolled: 1-line block ×3, first 2 shown]
	v_mov_b32_e32 v14, 0x7f800000
	s_waitcnt vmcnt(0)
	v_max_f32_e32 v16, v13, v13
	v_max_f32_e32 v17, v12, v12
	;; [unrolled: 1-line block ×4, first 2 shown]
	v_pk_add_f32 v[0:1], v[0:1], v[8:9] neg_lo:[0,1] neg_hi:[0,1]
	v_max_f32_e32 v11, v11, v16
	v_max_f32_e32 v10, v15, v17
	v_mul_f32_e32 v17, 0x3fb8aa3b, v1
	v_pk_add_f32 v[2:3], v[2:3], v[10:11] neg_lo:[0,1] neg_hi:[0,1]
	v_mul_f32_e32 v18, 0x3fb8aa3b, v0
	v_fma_f32 v23, v1, s5, -v17
	v_rndne_f32_e32 v24, v17
	v_mul_f32_e32 v19, 0x3fb8aa3b, v3
	v_fma_f32 v25, v0, s5, -v18
	v_rndne_f32_e32 v26, v18
	v_fmac_f32_e32 v23, 0x32a5705f, v1
	v_sub_f32_e32 v17, v17, v24
	v_mul_f32_e32 v20, 0x3fb8aa3b, v2
	v_fma_f32 v27, v3, s5, -v19
	v_rndne_f32_e32 v28, v19
	v_fmac_f32_e32 v25, 0x32a5705f, v0
	v_sub_f32_e32 v18, v18, v26
	v_add_f32_e32 v17, v17, v23
	v_fma_f32 v29, v2, s5, -v20
	v_rndne_f32_e32 v30, v20
	v_cvt_i32_f32_e32 v24, v24
	v_fmac_f32_e32 v27, 0x32a5705f, v3
	v_sub_f32_e32 v19, v19, v28
	v_add_f32_e32 v18, v18, v25
	v_exp_f32_e32 v17, v17
	v_cvt_i32_f32_e32 v26, v26
	v_fmac_f32_e32 v29, 0x32a5705f, v2
	v_sub_f32_e32 v20, v20, v30
	v_add_f32_e32 v19, v19, v27
	v_exp_f32_e32 v18, v18
	v_cvt_i32_f32_e32 v28, v28
	v_add_f32_e32 v20, v20, v29
	v_exp_f32_e32 v19, v19
	v_cvt_i32_f32_e32 v30, v30
	v_exp_f32_e32 v20, v20
	v_ldexp_f32 v17, v17, v24
	v_cmp_ngt_f32_e32 vcc, s2, v1
	v_ldexp_f32 v18, v18, v26
	v_ldexp_f32 v19, v19, v28
	v_cndmask_b32_e32 v17, 0, v17, vcc
	v_cmp_ngt_f32_e32 vcc, s2, v0
	v_ldexp_f32 v20, v20, v30
	v_sub_f32_e32 v15, v13, v11
	v_cndmask_b32_e32 v18, 0, v18, vcc
	v_cmp_ngt_f32_e32 vcc, s2, v3
	v_sub_f32_e32 v13, v13, v9
	v_sub_f32_e32 v16, v12, v10
	v_cndmask_b32_e32 v19, 0, v19, vcc
	v_cmp_ngt_f32_e32 vcc, s2, v2
	v_sub_f32_e32 v12, v12, v8
	v_mul_f32_e32 v21, 0x3fb8aa3b, v13
	v_cndmask_b32_e32 v20, 0, v20, vcc
	v_cmp_nlt_f32_e32 vcc, s4, v1
	v_mul_f32_e32 v22, 0x3fb8aa3b, v12
	v_fma_f32 v31, v13, s5, -v21
	v_cndmask_b32_e32 v1, v14, v17, vcc
	v_cmp_nlt_f32_e32 vcc, s4, v0
	v_rndne_f32_e32 v32, v21
	v_fma_f32 v33, v12, s5, -v22
	v_cndmask_b32_e32 v0, v14, v18, vcc
	v_cvt_f16_f32_e32 v17, v0
	v_cvt_f16_f32_e32 v18, v1
	v_rndne_f32_e32 v34, v22
	v_fmac_f32_e32 v31, 0x32a5705f, v13
	v_sub_f32_e32 v21, v21, v32
	v_cmp_nlt_f32_e32 vcc, s4, v3
	v_fmac_f32_e32 v33, 0x32a5705f, v12
	v_add_f32_e32 v21, v21, v31
	v_cndmask_b32_e32 v3, v14, v19, vcc
	v_cmp_nlt_f32_e32 vcc, s4, v2
	v_pk_mul_f16 v105, v17, v105 op_sel_hi:[0,1]
	v_pk_mul_f16 v107, v17, v107 op_sel_hi:[0,1]
	v_sub_f32_e32 v17, v22, v34
	v_cvt_i32_f32_e32 v32, v32
	v_exp_f32_e32 v21, v21
	v_cndmask_b32_e32 v2, v14, v20, vcc
	v_add_f32_e32 v17, v17, v33
	v_cvt_f16_f32_e32 v19, v2
	v_pk_mul_f16 v103, v18, v103 op_sel_hi:[0,1]
	v_pk_mul_f16 v104, v18, v104 op_sel_hi:[0,1]
	v_exp_f32_e32 v17, v17
	v_cvt_i32_f32_e32 v18, v34
	v_cvt_f16_f32_e32 v20, v3
	v_ldexp_f32 v21, v21, v32
	v_cmp_ngt_f32_e32 vcc, s2, v13
	v_pk_mul_f16 v101, v19, v101 op_sel_hi:[0,1]
	v_pk_mul_f16 v102, v19, v102 op_sel_hi:[0,1]
	v_cndmask_b32_e32 v19, 0, v21, vcc
	v_cmp_nlt_f32_e32 vcc, s4, v13
	v_ldexp_f32 v17, v17, v18
	v_mul_f32_e32 v18, 0x3fb8aa3b, v15
	v_pk_mul_f16 v100, v20, v100 op_sel_hi:[0,1]
	v_pk_mul_f16 v99, v20, v99 op_sel_hi:[0,1]
	v_cndmask_b32_e32 v13, v14, v19, vcc
	v_fma_f32 v19, v15, s5, -v18
	v_rndne_f32_e32 v20, v18
	v_fmac_f32_e32 v19, 0x32a5705f, v15
	v_sub_f32_e32 v18, v18, v20
	v_add_f32_e32 v18, v18, v19
	v_exp_f32_e32 v18, v18
	v_cvt_i32_f32_e32 v19, v20
	v_cmp_ngt_f32_e32 vcc, s2, v12
	s_nop 1
	v_cndmask_b32_e32 v17, 0, v17, vcc
	v_cmp_nlt_f32_e32 vcc, s4, v12
	s_nop 1
	v_cndmask_b32_e32 v12, v14, v17, vcc
	v_ldexp_f32 v17, v18, v19
	v_mul_f32_e32 v18, 0x3fb8aa3b, v16
	v_fma_f32 v19, v16, s5, -v18
	v_rndne_f32_e32 v20, v18
	v_fmac_f32_e32 v19, 0x32a5705f, v16
	v_sub_f32_e32 v18, v18, v20
	v_add_f32_e32 v18, v18, v19
	v_exp_f32_e32 v18, v18
	v_cvt_i32_f32_e32 v19, v20
	v_cmp_ngt_f32_e32 vcc, s2, v15
	v_pk_fma_f32 v[6:7], v[6:7], v[0:1], v[12:13]
	s_nop 0
	v_cndmask_b32_e32 v17, 0, v17, vcc
	v_cmp_nlt_f32_e32 vcc, s4, v15
	s_nop 1
	v_cndmask_b32_e32 v15, v14, v17, vcc
	v_ldexp_f32 v17, v18, v19
	v_cmp_ngt_f32_e32 vcc, s2, v16
	s_nop 1
	v_cndmask_b32_e32 v17, 0, v17, vcc
	v_cmp_nlt_f32_e32 vcc, s4, v16
	s_nop 1
	v_cndmask_b32_e32 v14, v14, v17, vcc
	v_pk_fma_f32 v[4:5], v[4:5], v[2:3], v[14:15]
	v_mov_b64_e32 v[0:1], v[8:9]
	v_mov_b64_e32 v[2:3], v[10:11]
.LBB37_35:
	v_lshlrev_b32_e32 v8, 1, v98
	v_add_u32_e32 v9, s33, v8
	v_cmp_gt_i32_e32 vcc, s30, v9
	s_and_saveexec_b64 s[4:5], vcc
	s_cbranch_execz .LBB37_62
; %bb.36:
	s_load_dword s2, s[0:1], 0xd4
	v_mov_b32_e32 v10, 1.0
	s_waitcnt lgkmcnt(0)
	s_cmp_lg_u32 s2, 1
	s_cselect_b64 s[0:1], -1, 0
	s_cmp_eq_u32 s2, 1
	s_cselect_b64 s[6:7], -1, 0
	s_and_b64 vcc, exec, s[0:1]
	s_cbranch_vccnz .LBB37_38
; %bb.37:
	v_div_scale_f32 v9, s[4:5], v6, v6, 1.0
	v_rcp_f32_e32 v10, v9
	v_div_scale_f32 v11, vcc, 1.0, v6, 1.0
	v_fma_f32 v12, -v9, v10, 1.0
	v_fmac_f32_e32 v10, v12, v10
	v_mul_f32_e32 v12, v11, v10
	v_fma_f32 v13, -v9, v12, v11
	v_fmac_f32_e32 v12, v13, v10
	v_fma_f32 v9, -v9, v12, v11
	v_div_fmas_f32 v9, v9, v10, v12
	v_div_fixup_f32 v10, v9, v6, 1.0
.LBB37_38:
	s_mul_i32 s8, s56, s30
	s_add_i32 s8, s8, s33
	v_add_u32_e32 v8, s8, v8
	v_mul_lo_u32 v11, v8, s31
	v_add_u32_e32 v8, s34, v11
	v_mul_lo_u32 v8, s2, v8
	v_add_u32_e32 v8, s3, v8
	s_and_saveexec_b64 s[4:5], s[26:27]
	s_cbranch_execz .LBB37_40
; %bb.39:
	v_cvt_f32_f16_sdwa v15, v105 dst_sel:DWORD dst_unused:UNUSED_PAD src0_sel:WORD_1
	v_cvt_f32_f16_e32 v14, v105
	v_cvt_f32_f16_sdwa v17, v107 dst_sel:DWORD dst_unused:UNUSED_PAD src0_sel:WORD_1
	v_cvt_f32_f16_e32 v16, v107
	s_movk_i32 s9, 0x50
	v_mad_u64_u32 v[12:13], s[10:11], v8, s9, v[68:69]
	v_mov_b32_e32 v13, 0
	v_lshl_add_u64 v[18:19], v[12:13], 2, s[48:49]
	v_pk_mul_f32 v[12:13], v[10:11], v[14:15] op_sel_hi:[0,1]
	v_pk_mul_f32 v[14:15], v[10:11], v[16:17] op_sel_hi:[0,1]
	global_store_dwordx4 v[18:19], v[12:15], off
.LBB37_40:
	s_or_b64 exec, exec, s[4:5]
	v_cmp_eq_u32_e32 vcc, 0, v85
	s_and_b64 s[4:5], vcc, s[0:1]
	s_and_saveexec_b64 s[0:1], s[4:5]
	s_cbranch_execz .LBB37_42
; %bb.41:
	v_ashrrev_i32_e32 v9, 31, v8
	v_lshl_add_u64 v[8:9], v[8:9], 3, s[50:51]
	v_mov_b32_e32 v12, v0
	v_mov_b32_e32 v13, v6
	global_store_dwordx2 v[8:9], v[12:13], off
.LBB37_42:
	s_or_b64 exec, exec, s[0:1]
	v_cndmask_b32_e64 v0, 0, 1, s[6:7]
	v_cmp_ne_u32_e64 s[0:1], 1, v0
	s_andn2_b64 vcc, exec, s[6:7]
	v_mov_b32_e32 v0, 1.0
	s_cbranch_vccnz .LBB37_44
; %bb.43:
	v_div_scale_f32 v0, s[6:7], v7, v7, 1.0
	v_rcp_f32_e32 v6, v0
	v_div_scale_f32 v8, vcc, 1.0, v7, 1.0
	v_fma_f32 v9, -v0, v6, 1.0
	v_fmac_f32_e32 v6, v9, v6
	v_mul_f32_e32 v9, v8, v6
	v_fma_f32 v10, -v0, v9, v8
	v_fmac_f32_e32 v9, v10, v6
	v_fma_f32 v0, -v0, v9, v8
	v_div_fmas_f32 v0, v0, v6, v9
	v_div_fixup_f32 v0, v0, v7, 1.0
.LBB37_44:
	s_add_i32 s9, s34, 1
	v_add_u32_e32 v6, s9, v11
	v_mul_lo_u32 v6, s2, v6
	v_add_u32_e32 v8, s3, v6
	s_and_saveexec_b64 s[6:7], s[26:27]
	s_cbranch_execz .LBB37_46
; %bb.45:
	v_cvt_f32_f16_sdwa v13, v103 dst_sel:DWORD dst_unused:UNUSED_PAD src0_sel:WORD_1
	v_cvt_f32_f16_e32 v12, v103
	v_cvt_f32_f16_sdwa v15, v104 dst_sel:DWORD dst_unused:UNUSED_PAD src0_sel:WORD_1
	v_cvt_f32_f16_e32 v14, v104
	s_movk_i32 s10, 0x50
	v_mad_u64_u32 v[10:11], s[10:11], v8, s10, v[68:69]
	v_mov_b32_e32 v11, 0
	v_lshl_add_u64 v[16:17], v[10:11], 2, s[48:49]
	v_pk_mul_f32 v[10:11], v[0:1], v[12:13] op_sel_hi:[0,1]
	v_pk_mul_f32 v[12:13], v[0:1], v[14:15] op_sel_hi:[0,1]
	global_store_dwordx4 v[16:17], v[10:13], off
.LBB37_46:
	s_or_b64 exec, exec, s[6:7]
	s_and_saveexec_b64 s[6:7], s[4:5]
	s_cbranch_execz .LBB37_48
; %bb.47:
	v_ashrrev_i32_e32 v9, 31, v8
	v_lshl_add_u64 v[8:9], v[8:9], 3, s[50:51]
	v_mov_b32_e32 v6, v1
	global_store_dwordx2 v[8:9], v[6:7], off
.LBB37_48:
	s_or_b64 exec, exec, s[6:7]
	v_add_u32_e32 v0, s33, v81
	v_cmp_gt_i32_e32 vcc, s30, v0
	s_and_b64 exec, exec, vcc
	s_cbranch_execz .LBB37_62
; %bb.49:
	s_and_b64 vcc, exec, s[0:1]
	v_mov_b32_e32 v6, 1.0
	s_cbranch_vccnz .LBB37_51
; %bb.50:
	v_div_scale_f32 v0, s[6:7], v4, v4, 1.0
	v_rcp_f32_e32 v1, v0
	v_div_scale_f32 v6, vcc, 1.0, v4, 1.0
	v_fma_f32 v7, -v0, v1, 1.0
	v_fmac_f32_e32 v1, v7, v1
	v_mul_f32_e32 v7, v6, v1
	v_fma_f32 v8, -v0, v7, v6
	v_fmac_f32_e32 v7, v8, v1
	v_fma_f32 v0, -v0, v7, v6
	v_div_fmas_f32 v0, v0, v1, v7
	v_div_fixup_f32 v6, v0, v4, 1.0
.LBB37_51:
	v_add_u32_e32 v0, s8, v81
	v_mul_lo_u32 v0, v0, s31
	v_add_u32_e32 v0, s34, v0
	v_mul_lo_u32 v0, s2, v0
	v_add_u32_e32 v0, s3, v0
	s_and_saveexec_b64 s[6:7], s[26:27]
	s_cbranch_execz .LBB37_53
; %bb.52:
	v_cvt_f32_f16_sdwa v11, v101 dst_sel:DWORD dst_unused:UNUSED_PAD src0_sel:WORD_1
	v_cvt_f32_f16_e32 v10, v101
	v_cvt_f32_f16_sdwa v13, v102 dst_sel:DWORD dst_unused:UNUSED_PAD src0_sel:WORD_1
	v_cvt_f32_f16_e32 v12, v102
	s_movk_i32 s10, 0x50
	v_mad_u64_u32 v[8:9], s[10:11], v0, s10, v[68:69]
	v_mov_b32_e32 v9, 0
	v_lshl_add_u64 v[14:15], v[8:9], 2, s[48:49]
	v_pk_mul_f32 v[8:9], v[6:7], v[10:11] op_sel_hi:[0,1]
	v_pk_mul_f32 v[10:11], v[6:7], v[12:13] op_sel_hi:[0,1]
	global_store_dwordx4 v[14:15], v[8:11], off
.LBB37_53:
	s_or_b64 exec, exec, s[6:7]
	s_and_saveexec_b64 s[6:7], s[4:5]
	s_cbranch_execz .LBB37_55
; %bb.54:
	v_ashrrev_i32_e32 v1, 31, v0
	v_lshl_add_u64 v[0:1], v[0:1], 3, s[50:51]
	v_mov_b32_e32 v6, v2
	v_mov_b32_e32 v7, v4
	global_store_dwordx2 v[0:1], v[6:7], off
.LBB37_55:
	s_or_b64 exec, exec, s[6:7]
	v_lshrrev_b32_e32 v0, 1, v69
	v_add_u32_e32 v1, s33, v0
	v_cmp_gt_i32_e32 vcc, s30, v1
	s_and_b64 exec, exec, vcc
	s_cbranch_execz .LBB37_62
; %bb.56:
	s_and_b64 vcc, exec, s[0:1]
	v_mov_b32_e32 v2, 1.0
	s_cbranch_vccnz .LBB37_58
; %bb.57:
	v_div_scale_f32 v1, s[0:1], v5, v5, 1.0
	v_rcp_f32_e32 v2, v1
	v_div_scale_f32 v4, vcc, 1.0, v5, 1.0
	v_fma_f32 v6, -v1, v2, 1.0
	v_fmac_f32_e32 v2, v6, v2
	v_mul_f32_e32 v6, v4, v2
	v_fma_f32 v7, -v1, v6, v4
	v_fmac_f32_e32 v6, v7, v2
	v_fma_f32 v1, -v1, v6, v4
	v_div_fmas_f32 v1, v1, v2, v6
	v_div_fixup_f32 v2, v1, v5, 1.0
.LBB37_58:
	v_add_u32_e32 v0, s8, v0
	v_mul_lo_u32 v0, v0, s31
	v_add_u32_e32 v0, s9, v0
	v_mul_lo_u32 v0, s2, v0
	v_add_u32_e32 v0, s3, v0
	s_and_saveexec_b64 s[0:1], s[26:27]
	s_cbranch_execz .LBB37_60
; %bb.59:
	v_cvt_f32_f16_sdwa v9, v100 dst_sel:DWORD dst_unused:UNUSED_PAD src0_sel:WORD_1
	v_cvt_f32_f16_e32 v8, v100
	v_cvt_f32_f16_sdwa v11, v99 dst_sel:DWORD dst_unused:UNUSED_PAD src0_sel:WORD_1
	v_cvt_f32_f16_e32 v10, v99
	s_movk_i32 s2, 0x50
	v_mad_u64_u32 v[6:7], s[2:3], v0, s2, v[68:69]
	v_mov_b32_e32 v7, 0
	v_lshl_add_u64 v[12:13], v[6:7], 2, s[48:49]
	v_pk_mul_f32 v[6:7], v[2:3], v[8:9] op_sel_hi:[0,1]
	v_pk_mul_f32 v[8:9], v[2:3], v[10:11] op_sel_hi:[0,1]
	global_store_dwordx4 v[12:13], v[6:9], off
.LBB37_60:
	s_or_b64 exec, exec, s[0:1]
	s_and_b64 exec, exec, s[4:5]
	s_cbranch_execz .LBB37_62
; %bb.61:
	v_ashrrev_i32_e32 v1, 31, v0
	v_lshl_add_u64 v[0:1], v[0:1], 3, s[50:51]
	v_mov_b32_e32 v4, v3
	global_store_dwordx2 v[0:1], v[4:5], off
.LBB37_62:
	s_endpgm
	.section	.rodata,"a",@progbits
	.p2align	6, 0x0
	.amdhsa_kernel _ZL15flash_attn_tileILi80ELi80ELi16ELi2ELb0EEvPKcS1_S1_S1_S1_PKiPfP15HIP_vector_typeIfLj2EEffffjfiS5_IjLj3EEiiiiiiiiiiiliiliiiiil
		.amdhsa_group_segment_fixed_size 10432
		.amdhsa_private_segment_fixed_size 0
		.amdhsa_kernarg_size 464
		.amdhsa_user_sgpr_count 2
		.amdhsa_user_sgpr_dispatch_ptr 0
		.amdhsa_user_sgpr_queue_ptr 0
		.amdhsa_user_sgpr_kernarg_segment_ptr 1
		.amdhsa_user_sgpr_dispatch_id 0
		.amdhsa_user_sgpr_kernarg_preload_length 0
		.amdhsa_user_sgpr_kernarg_preload_offset 0
		.amdhsa_user_sgpr_private_segment_size 0
		.amdhsa_uses_dynamic_stack 0
		.amdhsa_enable_private_segment 0
		.amdhsa_system_sgpr_workgroup_id_x 1
		.amdhsa_system_sgpr_workgroup_id_y 1
		.amdhsa_system_sgpr_workgroup_id_z 1
		.amdhsa_system_sgpr_workgroup_info 0
		.amdhsa_system_vgpr_workitem_id 1
		.amdhsa_next_free_vgpr 134
		.amdhsa_next_free_sgpr 59
		.amdhsa_accum_offset 136
		.amdhsa_reserve_vcc 1
		.amdhsa_float_round_mode_32 0
		.amdhsa_float_round_mode_16_64 0
		.amdhsa_float_denorm_mode_32 3
		.amdhsa_float_denorm_mode_16_64 3
		.amdhsa_dx10_clamp 1
		.amdhsa_ieee_mode 1
		.amdhsa_fp16_overflow 0
		.amdhsa_tg_split 0
		.amdhsa_exception_fp_ieee_invalid_op 0
		.amdhsa_exception_fp_denorm_src 0
		.amdhsa_exception_fp_ieee_div_zero 0
		.amdhsa_exception_fp_ieee_overflow 0
		.amdhsa_exception_fp_ieee_underflow 0
		.amdhsa_exception_fp_ieee_inexact 0
		.amdhsa_exception_int_div_zero 0
	.end_amdhsa_kernel
	.section	.text._ZL15flash_attn_tileILi80ELi80ELi16ELi2ELb0EEvPKcS1_S1_S1_S1_PKiPfP15HIP_vector_typeIfLj2EEffffjfiS5_IjLj3EEiiiiiiiiiiiliiliiiiil,"axG",@progbits,_ZL15flash_attn_tileILi80ELi80ELi16ELi2ELb0EEvPKcS1_S1_S1_S1_PKiPfP15HIP_vector_typeIfLj2EEffffjfiS5_IjLj3EEiiiiiiiiiiiliiliiiiil,comdat
.Lfunc_end37:
	.size	_ZL15flash_attn_tileILi80ELi80ELi16ELi2ELb0EEvPKcS1_S1_S1_S1_PKiPfP15HIP_vector_typeIfLj2EEffffjfiS5_IjLj3EEiiiiiiiiiiiliiliiiiil, .Lfunc_end37-_ZL15flash_attn_tileILi80ELi80ELi16ELi2ELb0EEvPKcS1_S1_S1_S1_PKiPfP15HIP_vector_typeIfLj2EEffffjfiS5_IjLj3EEiiiiiiiiiiiliiliiiiil
                                        ; -- End function
	.section	.AMDGPU.csdata,"",@progbits
; Kernel info:
; codeLenInByte = 11068
; NumSgprs: 65
; NumVgprs: 134
; NumAgprs: 0
; TotalNumVgprs: 134
; ScratchSize: 0
; MemoryBound: 0
; FloatMode: 240
; IeeeMode: 1
; LDSByteSize: 10432 bytes/workgroup (compile time only)
; SGPRBlocks: 8
; VGPRBlocks: 16
; NumSGPRsForWavesPerEU: 65
; NumVGPRsForWavesPerEU: 134
; AccumOffset: 136
; Occupancy: 3
; WaveLimiterHint : 1
; COMPUTE_PGM_RSRC2:SCRATCH_EN: 0
; COMPUTE_PGM_RSRC2:USER_SGPR: 2
; COMPUTE_PGM_RSRC2:TRAP_HANDLER: 0
; COMPUTE_PGM_RSRC2:TGID_X_EN: 1
; COMPUTE_PGM_RSRC2:TGID_Y_EN: 1
; COMPUTE_PGM_RSRC2:TGID_Z_EN: 1
; COMPUTE_PGM_RSRC2:TIDIG_COMP_CNT: 1
; COMPUTE_PGM_RSRC3_GFX90A:ACCUM_OFFSET: 33
; COMPUTE_PGM_RSRC3_GFX90A:TG_SPLIT: 0
	.section	.text._ZL33flash_attn_stream_k_fixup_uniformILi80ELi16ELi2EEvPfPK15HIP_vector_typeIfLj2EEiiiiiiS1_IjLj3EES5_S5_,"axG",@progbits,_ZL33flash_attn_stream_k_fixup_uniformILi80ELi16ELi2EEvPfPK15HIP_vector_typeIfLj2EEiiiiiiS1_IjLj3EES5_S5_,comdat
	.globl	_ZL33flash_attn_stream_k_fixup_uniformILi80ELi16ELi2EEvPfPK15HIP_vector_typeIfLj2EEiiiiiiS1_IjLj3EES5_S5_ ; -- Begin function _ZL33flash_attn_stream_k_fixup_uniformILi80ELi16ELi2EEvPfPK15HIP_vector_typeIfLj2EEiiiiiiS1_IjLj3EES5_S5_
	.p2align	8
	.type	_ZL33flash_attn_stream_k_fixup_uniformILi80ELi16ELi2EEvPfPK15HIP_vector_typeIfLj2EEiiiiiiS1_IjLj3EES5_S5_,@function
_ZL33flash_attn_stream_k_fixup_uniformILi80ELi16ELi2EEvPfPK15HIP_vector_typeIfLj2EEiiiiiiS1_IjLj3EES5_S5_: ; @_ZL33flash_attn_stream_k_fixup_uniformILi80ELi16ELi2EEvPfPK15HIP_vector_typeIfLj2EEiiiiiiS1_IjLj3EES5_S5_
; %bb.0:
	s_load_dwordx8 s[8:15], s[0:1], 0x1c
	s_load_dwordx2 s[6:7], s[0:1], 0x10
	s_load_dwordx4 s[16:19], s[0:1], 0x3c
	s_waitcnt lgkmcnt(0)
	s_mul_hi_u32 s5, s11, s2
	s_add_i32 s5, s2, s5
	s_lshr_b32 s5, s5, s12
	s_mul_i32 s11, s5, s13
	s_sub_i32 s12, s2, s11
	s_mul_hi_u32 s11, s12, s14
	s_add_i32 s11, s12, s11
	s_lshr_b32 s11, s11, s15
	s_mul_i32 s13, s11, s16
	s_sub_i32 s12, s12, s13
	;; [unrolled: 5-line block ×3, first 2 shown]
	s_lshl_b32 s12, s16, 4
	s_lshl_b32 s17, s13, 1
	s_add_i32 s12, s12, s3
	s_cmp_lt_i32 s12, s6
	s_cselect_b64 s[12:13], -1, 0
	s_add_i32 s17, s17, s4
	s_cmp_lt_i32 s17, s9
	s_cselect_b64 s[14:15], -1, 0
	s_and_b64 s[12:13], s[12:13], s[14:15]
	s_andn2_b64 vcc, exec, s[12:13]
	s_cbranch_vccnz .LBB38_6
; %bb.1:
	s_load_dwordx4 s[12:15], s[0:1], 0x0
	s_mul_i32 s0, s5, s6
	s_mul_i32 s11, s11, s9
	s_add_i32 s0, s0, s3
	s_mul_i32 s0, s0, s7
	s_add_i32 s5, s17, s11
	;; [unrolled: 2-line block ×3, first 2 shown]
	s_mulk_i32 s1, 0x500
	s_mulk_i32 s0, 0x50
	s_add_i32 s0, s0, s1
	v_add_u32_e32 v4, s0, v0
	s_waitcnt lgkmcnt(0)
	v_mov_b32_e32 v2, s12
	v_mov_b32_e32 v3, s13
	v_ashrrev_i32_e32 v5, 31, v4
	v_lshl_add_u64 v[2:3], v[4:5], 2, v[2:3]
	global_load_dword v7, v[2:3], off
	s_mul_i32 s5, s2, s10
	s_lshl_b32 s11, s3, 1
	s_add_i32 s9, s5, s10
	s_add_i32 s0, s11, s4
	s_lshl_b32 s1, s9, 5
	s_add_i32 s0, s0, s1
	s_sub_i32 s0, s0, 32
	s_ashr_i32 s1, s0, 31
	s_lshl_b64 s[0:1], s[0:1], 3
	s_add_u32 s0, s14, s0
	s_addc_u32 s1, s15, s1
	s_load_dword s12, s[0:1], 0x4
	s_add_i32 s6, s9, -2
	s_cmp_lt_i32 s6, s5
	s_cbranch_scc1 .LBB38_4
; %bb.2:
	s_lshl_b32 s6, s8, 7
	s_ashr_i32 s7, s6, 31
	s_lshl_b64 s[6:7], s[6:7], 2
	s_add_u32 s6, s14, s6
	s_addc_u32 s7, s15, s7
	s_add_i32 s2, s2, 1
	s_load_dword s0, s[0:1], 0x0
	s_mul_i32 s1, s10, s2
	s_lshl_b32 s2, s1, 5
	s_add_i32 s2, s4, s2
	s_mulk_i32 s3, 0xa0
	s_mulk_i32 s4, 0x50
	s_lshl_b32 s8, s8, 5
	s_mulk_i32 s1, 0xa00
	s_add_i32 s3, s4, s3
	s_add_i32 s2, s2, s8
	;; [unrolled: 1-line block ×4, first 2 shown]
	v_add_u32_e32 v0, s3, v0
	s_add_i32 s9, s9, -1
	s_sub_i32 s2, s2, 64
	v_add_u32_e32 v0, 0xffffec00, v0
	s_waitcnt lgkmcnt(0)
	v_mov_b32_e32 v6, s12
	v_mov_b32_e32 v5, s0
	s_mov_b32 s4, 0x3fb8aa3b
	s_mov_b32 s8, 0xc2ce8ed0
	;; [unrolled: 1-line block ×3, first 2 shown]
	v_mov_b32_e32 v4, 0x7f800000
	s_mov_b32 s11, 0xc1a00000
.LBB38_3:                               ; =>This Inner Loop Header: Depth=1
	v_ashrrev_i32_e32 v1, 31, v0
	v_lshl_add_u64 v[8:9], v[0:1], 2, s[6:7]
	global_load_dword v1, v[8:9], off
	s_ashr_i32 s3, s2, 31
	s_lshl_b64 s[0:1], s[2:3], 3
	s_add_u32 s0, s14, s0
	s_addc_u32 s1, s15, s1
	s_load_dwordx2 s[12:13], s[0:1], 0x0
	s_waitcnt vmcnt(1)
	v_mov_b32_e32 v8, v7
	v_max_f32_e32 v7, v5, v5
	v_mov_b32_e32 v9, v6
	s_add_i32 s9, s9, -1
	s_waitcnt lgkmcnt(0)
	v_max_f32_e64 v6, s12, s12
	v_max_f32_e32 v6, v7, v6
	v_sub_f32_e32 v10, s12, v6
	v_sub_f32_e32 v7, v5, v6
	v_mul_f32_e32 v11, 0x3fb8aa3b, v10
	v_mov_b32_e32 v5, v6
	v_mul_f32_e32 v6, 0x3fb8aa3b, v7
	v_fma_f32 v14, v10, s4, -v11
	v_rndne_f32_e32 v15, v11
	v_fma_f32 v12, v7, s4, -v6
	v_rndne_f32_e32 v13, v6
	v_fmac_f32_e32 v14, 0x32a5705f, v10
	v_sub_f32_e32 v11, v11, v15
	v_fmac_f32_e32 v12, 0x32a5705f, v7
	v_sub_f32_e32 v6, v6, v13
	v_add_f32_e32 v11, v11, v14
	v_cvt_i32_f32_e32 v15, v15
	v_add_f32_e32 v6, v6, v12
	v_exp_f32_e32 v11, v11
	v_cvt_i32_f32_e32 v13, v13
	v_exp_f32_e32 v6, v6
	v_cmp_ngt_f32_e32 vcc, s8, v10
	v_ldexp_f32 v11, v11, v15
	v_cmp_ngt_f32_e64 s[0:1], s8, v7
	v_ldexp_f32 v6, v6, v13
	v_cndmask_b32_e32 v11, 0, v11, vcc
	v_cmp_nlt_f32_e32 vcc, s10, v10
	v_cndmask_b32_e64 v6, 0, v6, s[0:1]
	v_cmp_nlt_f32_e64 s[0:1], s10, v7
	v_cndmask_b32_e32 v11, v4, v11, vcc
	v_cmp_le_f32_e32 vcc, s11, v10
	v_cndmask_b32_e64 v6, v4, v6, s[0:1]
	v_cmp_le_f32_e64 s[0:1], s11, v7
	v_cndmask_b32_e32 v7, 0, v11, vcc
	s_sub_i32 s2, s2, 32
	v_cndmask_b32_e64 v10, 0, v6, s[0:1]
	v_mul_f32_e32 v6, s13, v7
	v_add_u32_e32 v0, 0xfffff600, v0
	s_cmp_le_i32 s9, s5
	v_fmac_f32_e32 v6, v9, v10
	s_waitcnt vmcnt(0)
	v_mul_f32_e32 v7, v1, v7
	v_fmac_f32_e32 v7, v8, v10
	s_cbranch_scc0 .LBB38_3
	s_branch .LBB38_5
.LBB38_4:
	s_waitcnt lgkmcnt(0)
	v_mov_b32_e32 v6, s12
.LBB38_5:
	s_waitcnt vmcnt(0)
	v_div_scale_f32 v0, s[0:1], v6, v6, v7
	v_rcp_f32_e32 v1, v0
	v_div_scale_f32 v4, vcc, v7, v6, v7
	v_fma_f32 v5, -v0, v1, 1.0
	v_fmac_f32_e32 v1, v5, v1
	v_mul_f32_e32 v5, v4, v1
	v_fma_f32 v8, -v0, v5, v4
	v_fmac_f32_e32 v5, v8, v1
	v_fma_f32 v0, -v0, v5, v4
	v_div_fmas_f32 v0, v0, v1, v5
	v_div_fixup_f32 v0, v0, v6, v7
	global_store_dword v[2:3], v0, off
.LBB38_6:
	s_endpgm
	.section	.rodata,"a",@progbits
	.p2align	6, 0x0
	.amdhsa_kernel _ZL33flash_attn_stream_k_fixup_uniformILi80ELi16ELi2EEvPfPK15HIP_vector_typeIfLj2EEiiiiiiS1_IjLj3EES5_S5_
		.amdhsa_group_segment_fixed_size 0
		.amdhsa_private_segment_fixed_size 0
		.amdhsa_kernarg_size 76
		.amdhsa_user_sgpr_count 2
		.amdhsa_user_sgpr_dispatch_ptr 0
		.amdhsa_user_sgpr_queue_ptr 0
		.amdhsa_user_sgpr_kernarg_segment_ptr 1
		.amdhsa_user_sgpr_dispatch_id 0
		.amdhsa_user_sgpr_kernarg_preload_length 0
		.amdhsa_user_sgpr_kernarg_preload_offset 0
		.amdhsa_user_sgpr_private_segment_size 0
		.amdhsa_uses_dynamic_stack 0
		.amdhsa_enable_private_segment 0
		.amdhsa_system_sgpr_workgroup_id_x 1
		.amdhsa_system_sgpr_workgroup_id_y 1
		.amdhsa_system_sgpr_workgroup_id_z 1
		.amdhsa_system_sgpr_workgroup_info 0
		.amdhsa_system_vgpr_workitem_id 0
		.amdhsa_next_free_vgpr 16
		.amdhsa_next_free_sgpr 20
		.amdhsa_accum_offset 16
		.amdhsa_reserve_vcc 1
		.amdhsa_float_round_mode_32 0
		.amdhsa_float_round_mode_16_64 0
		.amdhsa_float_denorm_mode_32 3
		.amdhsa_float_denorm_mode_16_64 3
		.amdhsa_dx10_clamp 1
		.amdhsa_ieee_mode 1
		.amdhsa_fp16_overflow 0
		.amdhsa_tg_split 0
		.amdhsa_exception_fp_ieee_invalid_op 0
		.amdhsa_exception_fp_denorm_src 0
		.amdhsa_exception_fp_ieee_div_zero 0
		.amdhsa_exception_fp_ieee_overflow 0
		.amdhsa_exception_fp_ieee_underflow 0
		.amdhsa_exception_fp_ieee_inexact 0
		.amdhsa_exception_int_div_zero 0
	.end_amdhsa_kernel
	.section	.text._ZL33flash_attn_stream_k_fixup_uniformILi80ELi16ELi2EEvPfPK15HIP_vector_typeIfLj2EEiiiiiiS1_IjLj3EES5_S5_,"axG",@progbits,_ZL33flash_attn_stream_k_fixup_uniformILi80ELi16ELi2EEvPfPK15HIP_vector_typeIfLj2EEiiiiiiS1_IjLj3EES5_S5_,comdat
.Lfunc_end38:
	.size	_ZL33flash_attn_stream_k_fixup_uniformILi80ELi16ELi2EEvPfPK15HIP_vector_typeIfLj2EEiiiiiiS1_IjLj3EES5_S5_, .Lfunc_end38-_ZL33flash_attn_stream_k_fixup_uniformILi80ELi16ELi2EEvPfPK15HIP_vector_typeIfLj2EEiiiiiiS1_IjLj3EES5_S5_
                                        ; -- End function
	.section	.AMDGPU.csdata,"",@progbits
; Kernel info:
; codeLenInByte = 836
; NumSgprs: 26
; NumVgprs: 16
; NumAgprs: 0
; TotalNumVgprs: 16
; ScratchSize: 0
; MemoryBound: 0
; FloatMode: 240
; IeeeMode: 1
; LDSByteSize: 0 bytes/workgroup (compile time only)
; SGPRBlocks: 3
; VGPRBlocks: 1
; NumSGPRsForWavesPerEU: 26
; NumVGPRsForWavesPerEU: 16
; AccumOffset: 16
; Occupancy: 8
; WaveLimiterHint : 0
; COMPUTE_PGM_RSRC2:SCRATCH_EN: 0
; COMPUTE_PGM_RSRC2:USER_SGPR: 2
; COMPUTE_PGM_RSRC2:TRAP_HANDLER: 0
; COMPUTE_PGM_RSRC2:TGID_X_EN: 1
; COMPUTE_PGM_RSRC2:TGID_Y_EN: 1
; COMPUTE_PGM_RSRC2:TGID_Z_EN: 1
; COMPUTE_PGM_RSRC2:TIDIG_COMP_CNT: 0
; COMPUTE_PGM_RSRC3_GFX90A:ACCUM_OFFSET: 3
; COMPUTE_PGM_RSRC3_GFX90A:TG_SPLIT: 0
	.section	.text._ZL33flash_attn_stream_k_fixup_generalILi80ELi16ELi2EEvPfPK15HIP_vector_typeIfLj2EEiiiiS1_IjLj3EES5_S5_S5_,"axG",@progbits,_ZL33flash_attn_stream_k_fixup_generalILi80ELi16ELi2EEvPfPK15HIP_vector_typeIfLj2EEiiiiS1_IjLj3EES5_S5_S5_,comdat
	.globl	_ZL33flash_attn_stream_k_fixup_generalILi80ELi16ELi2EEvPfPK15HIP_vector_typeIfLj2EEiiiiS1_IjLj3EES5_S5_S5_ ; -- Begin function _ZL33flash_attn_stream_k_fixup_generalILi80ELi16ELi2EEvPfPK15HIP_vector_typeIfLj2EEiiiiS1_IjLj3EES5_S5_S5_
	.p2align	8
	.type	_ZL33flash_attn_stream_k_fixup_generalILi80ELi16ELi2EEvPfPK15HIP_vector_typeIfLj2EEiiiiS1_IjLj3EES5_S5_S5_,@function
_ZL33flash_attn_stream_k_fixup_generalILi80ELi16ELi2EEvPfPK15HIP_vector_typeIfLj2EEiiiiS1_IjLj3EES5_S5_S5_: ; @_ZL33flash_attn_stream_k_fixup_generalILi80ELi16ELi2EEvPfPK15HIP_vector_typeIfLj2EEiiiiS1_IjLj3EES5_S5_S5_
; %bb.0:
	s_load_dwordx4 s[12:15], s[0:1], 0x10
	s_load_dword s22, s[0:1], 0x50
	s_mov_b32 s8, 0
	s_waitcnt lgkmcnt(0)
	s_mul_hi_i32 s9, s15, s2
	s_cmp_lg_u64 s[8:9], 0
	s_mul_i32 s5, s15, s2
	s_cbranch_scc0 .LBB39_21
; %bb.1:
	v_cvt_f32_u32_e32 v1, s22
	v_cvt_f32_ubyte0_e32 v2, 0
	s_sub_u32 s8, 0, s22
	s_subb_u32 s10, 0, 0
	v_fmamk_f32 v1, v2, 0x4f800000, v1
	v_rcp_f32_e32 v1, v1
	s_nop 0
	v_mul_f32_e32 v1, 0x5f7ffffc, v1
	v_mul_f32_e32 v2, 0x2f800000, v1
	v_trunc_f32_e32 v2, v2
	v_fmamk_f32 v1, v2, 0xcf800000, v1
	v_cvt_u32_f32_e32 v2, v2
	v_cvt_u32_f32_e32 v1, v1
	v_readfirstlane_b32 s11, v2
	v_readfirstlane_b32 s16, v1
	s_mul_i32 s17, s8, s11
	s_mul_hi_u32 s19, s8, s16
	s_mul_i32 s18, s10, s16
	s_add_i32 s17, s19, s17
	s_add_i32 s17, s17, s18
	s_mul_i32 s20, s8, s16
	s_mul_hi_u32 s18, s16, s17
	s_mul_i32 s19, s16, s17
	s_mul_hi_u32 s16, s16, s20
	s_add_u32 s16, s16, s19
	s_addc_u32 s18, 0, s18
	s_mul_hi_u32 s21, s11, s20
	s_mul_i32 s20, s11, s20
	s_add_u32 s16, s16, s20
	s_mul_hi_u32 s19, s11, s17
	s_addc_u32 s16, s18, s21
	s_addc_u32 s18, s19, 0
	s_mul_i32 s17, s11, s17
	s_add_u32 s16, s16, s17
	s_addc_u32 s17, 0, s18
	v_add_co_u32_e32 v1, vcc, s16, v1
	s_cmp_lg_u64 vcc, 0
	s_addc_u32 s11, s11, s17
	v_readfirstlane_b32 s17, v1
	s_mul_i32 s16, s8, s11
	s_mul_hi_u32 s18, s8, s17
	s_add_i32 s16, s18, s16
	s_mul_i32 s10, s10, s17
	s_add_i32 s16, s16, s10
	s_mul_i32 s8, s8, s17
	s_mul_hi_u32 s18, s11, s8
	s_mul_i32 s19, s11, s8
	s_mul_i32 s21, s17, s16
	s_mul_hi_u32 s8, s17, s8
	s_mul_hi_u32 s20, s17, s16
	s_add_u32 s8, s8, s21
	s_addc_u32 s17, 0, s20
	s_add_u32 s8, s8, s19
	s_mul_hi_u32 s10, s11, s16
	s_addc_u32 s8, s17, s18
	s_addc_u32 s10, s10, 0
	s_mul_i32 s16, s11, s16
	s_add_u32 s8, s8, s16
	s_addc_u32 s10, 0, s10
	v_add_co_u32_e32 v1, vcc, s8, v1
	s_cmp_lg_u64 vcc, 0
	s_addc_u32 s16, s11, s10
	s_ashr_i32 s10, s9, 31
	s_add_u32 s8, s5, s10
	s_mov_b32 s11, s10
	s_addc_u32 s9, s9, s10
	s_xor_b64 s[8:9], s[8:9], s[10:11]
	v_readfirstlane_b32 s19, v1
	s_mul_i32 s18, s8, s16
	s_mul_hi_u32 s20, s8, s19
	s_mul_hi_u32 s17, s8, s16
	s_add_u32 s18, s20, s18
	s_addc_u32 s17, 0, s17
	s_mul_hi_u32 s21, s9, s19
	s_mul_i32 s19, s9, s19
	s_add_u32 s18, s18, s19
	s_mul_hi_u32 s20, s9, s16
	s_addc_u32 s17, s17, s21
	s_addc_u32 s18, s20, 0
	s_mul_i32 s16, s9, s16
	s_add_u32 s16, s17, s16
	s_addc_u32 s17, 0, s18
	s_add_u32 s18, s16, 1
	s_addc_u32 s19, s17, 0
	s_add_u32 s20, s16, 2
	s_mul_i32 s23, s22, s17
	s_mul_hi_u32 s24, s22, s16
	s_addc_u32 s21, s17, 0
	s_add_i32 s24, s24, s23
	s_mul_i32 s23, s22, s16
	v_mov_b32_e32 v1, s23
	v_sub_co_u32_e32 v1, vcc, s8, v1
	s_cmp_lg_u64 vcc, 0
	s_subb_u32 s8, s9, s24
	v_subrev_co_u32_e32 v2, vcc, s22, v1
	s_cmp_lg_u64 vcc, 0
	s_subb_u32 s9, s8, 0
	v_readfirstlane_b32 s23, v2
	s_cmp_ge_u32 s23, s22
	s_cselect_b32 s23, -1, 0
	s_cmp_eq_u32 s9, 0
	s_cselect_b32 s9, s23, -1
	s_cmp_lg_u32 s9, 0
	s_cselect_b32 s9, s21, s19
	v_readfirstlane_b32 s19, v1
	s_cselect_b32 s18, s20, s18
	s_cmp_ge_u32 s19, s22
	s_cselect_b32 s19, -1, 0
	s_cmp_eq_u32 s8, 0
	s_cselect_b32 s8, s19, -1
	s_cmp_lg_u32 s8, 0
	s_cselect_b32 s9, s9, s17
	s_cselect_b32 s8, s18, s16
	s_xor_b64 s[8:9], s[8:9], s[10:11]
	s_sub_u32 s20, s8, s10
	s_load_dwordx4 s[16:19], s[0:1], 0x44
	s_cbranch_execnz .LBB39_3
.LBB39_2:
	v_cvt_f32_u32_e32 v1, s22
	s_sub_i32 s6, 0, s22
	v_rcp_iflag_f32_e32 v1, v1
	s_nop 0
	v_mul_f32_e32 v1, 0x4f7ffffe, v1
	v_cvt_u32_f32_e32 v1, v1
	s_nop 0
	v_readfirstlane_b32 s7, v1
	s_mul_i32 s6, s6, s7
	s_mul_hi_u32 s6, s7, s6
	s_add_i32 s7, s7, s6
	s_mul_hi_u32 s6, s5, s7
	s_mul_i32 s8, s6, s22
	s_sub_i32 s5, s5, s8
	s_add_i32 s7, s6, 1
	s_sub_i32 s8, s5, s22
	s_cmp_ge_u32 s5, s22
	s_cselect_b32 s6, s7, s6
	s_cselect_b32 s5, s8, s5
	s_add_i32 s7, s6, 1
	s_cmp_ge_u32 s5, s22
	s_cselect_b32 s20, s7, s6
.LBB39_3:
	s_add_i32 s5, s2, 1
	s_mul_hi_i32 s9, s15, s5
	s_mov_b32 s8, 0
	s_cmp_lg_u64 s[8:9], 0
	s_mul_i32 s5, s15, s5
	s_cbranch_scc0 .LBB39_22
; %bb.4:
	v_cvt_f32_u32_e32 v1, s22
	v_cvt_f32_ubyte0_e32 v2, 0
	s_sub_u32 s8, 0, s22
	s_subb_u32 s10, 0, 0
	v_fmamk_f32 v1, v2, 0x4f800000, v1
	v_rcp_f32_e32 v1, v1
	s_nop 0
	v_mul_f32_e32 v1, 0x5f7ffffc, v1
	v_mul_f32_e32 v2, 0x2f800000, v1
	v_trunc_f32_e32 v2, v2
	v_fmamk_f32 v1, v2, 0xcf800000, v1
	v_cvt_u32_f32_e32 v2, v2
	v_cvt_u32_f32_e32 v1, v1
	v_readfirstlane_b32 s11, v2
	s_waitcnt lgkmcnt(0)
	v_readfirstlane_b32 s19, v1
	s_mul_i32 s21, s8, s11
	s_mul_hi_u32 s24, s8, s19
	s_mul_i32 s23, s10, s19
	s_add_i32 s21, s24, s21
	s_add_i32 s21, s21, s23
	s_mul_i32 s25, s8, s19
	s_mul_hi_u32 s23, s19, s21
	s_mul_i32 s24, s19, s21
	s_mul_hi_u32 s19, s19, s25
	s_add_u32 s19, s19, s24
	s_addc_u32 s23, 0, s23
	s_mul_hi_u32 s26, s11, s25
	s_mul_i32 s25, s11, s25
	s_add_u32 s19, s19, s25
	s_mul_hi_u32 s24, s11, s21
	s_addc_u32 s19, s23, s26
	s_addc_u32 s23, s24, 0
	s_mul_i32 s21, s11, s21
	s_add_u32 s19, s19, s21
	s_addc_u32 s21, 0, s23
	v_add_co_u32_e32 v1, vcc, s19, v1
	s_cmp_lg_u64 vcc, 0
	s_addc_u32 s11, s11, s21
	v_readfirstlane_b32 s21, v1
	s_mul_i32 s19, s8, s11
	s_mul_hi_u32 s23, s8, s21
	s_add_i32 s19, s23, s19
	s_mul_i32 s10, s10, s21
	s_add_i32 s19, s19, s10
	s_mul_i32 s8, s8, s21
	s_mul_hi_u32 s23, s11, s8
	s_mul_i32 s24, s11, s8
	s_mul_i32 s26, s21, s19
	s_mul_hi_u32 s8, s21, s8
	s_mul_hi_u32 s25, s21, s19
	s_add_u32 s8, s8, s26
	s_addc_u32 s21, 0, s25
	s_add_u32 s8, s8, s24
	s_mul_hi_u32 s10, s11, s19
	s_addc_u32 s8, s21, s23
	s_addc_u32 s10, s10, 0
	s_mul_i32 s19, s11, s19
	s_add_u32 s8, s8, s19
	s_addc_u32 s10, 0, s10
	v_add_co_u32_e32 v1, vcc, s8, v1
	s_cmp_lg_u64 vcc, 0
	s_addc_u32 s19, s11, s10
	s_ashr_i32 s10, s9, 31
	s_add_u32 s8, s5, s10
	s_mov_b32 s11, s10
	s_addc_u32 s9, s9, s10
	s_xor_b64 s[8:9], s[8:9], s[10:11]
	v_readfirstlane_b32 s23, v1
	s_mul_i32 s21, s8, s19
	s_mul_hi_u32 s24, s8, s23
	s_mul_hi_u32 s11, s8, s19
	s_add_u32 s21, s24, s21
	s_addc_u32 s11, 0, s11
	s_mul_hi_u32 s25, s9, s23
	s_mul_i32 s23, s9, s23
	s_add_u32 s21, s21, s23
	s_mul_hi_u32 s24, s9, s19
	s_addc_u32 s11, s11, s25
	s_addc_u32 s21, s24, 0
	s_mul_i32 s19, s9, s19
	s_add_u32 s11, s11, s19
	s_addc_u32 s19, 0, s21
	s_mul_i32 s19, s22, s19
	s_mul_hi_u32 s24, s22, s11
	s_add_i32 s24, s24, s19
	s_mul_i32 s19, s22, s11
	v_mov_b32_e32 v1, s19
	s_add_u32 s21, s11, 1
	s_add_u32 s23, s11, 2
	v_sub_co_u32_e32 v1, vcc, s8, v1
	s_cmp_lg_u64 vcc, 0
	s_subb_u32 s8, s9, s24
	v_subrev_co_u32_e32 v2, vcc, s22, v1
	s_cmp_lg_u64 vcc, 0
	s_subb_u32 s9, s8, 0
	v_cmp_le_u32_e32 vcc, s22, v2
	s_cmp_eq_u32 s9, 0
	v_mov_b32_e32 v3, s21
	v_cndmask_b32_e64 v2, 0, -1, vcc
	s_cselect_b64 vcc, -1, 0
	v_cndmask_b32_e32 v2, -1, v2, vcc
	v_mov_b32_e32 v4, s23
	v_cmp_ne_u32_e32 vcc, 0, v2
	s_cmp_eq_u32 s8, 0
	s_nop 0
	v_cndmask_b32_e32 v2, v3, v4, vcc
	v_cmp_le_u32_e32 vcc, s22, v1
	v_mov_b32_e32 v3, s11
	s_nop 0
	v_cndmask_b32_e64 v1, 0, -1, vcc
	s_cselect_b64 vcc, -1, 0
	v_cndmask_b32_e32 v1, -1, v1, vcc
	v_cmp_ne_u32_e32 vcc, 0, v1
	s_nop 1
	v_cndmask_b32_e32 v1, v3, v2, vcc
	v_xor_b32_e32 v1, s10, v1
	v_subrev_co_u32_e32 v2, vcc, s10, v1
	s_cbranch_execnz .LBB39_6
.LBB39_5:
	v_cvt_f32_u32_e32 v1, s22
	s_sub_i32 s6, 0, s22
	s_mov_b32 s7, 0
	v_rcp_iflag_f32_e32 v1, v1
	s_nop 0
	v_mul_f32_e32 v1, 0x4f7ffffe, v1
	v_cvt_u32_f32_e32 v1, v1
	s_nop 0
	v_readfirstlane_b32 s8, v1
	s_mul_i32 s6, s6, s8
	s_mul_hi_u32 s6, s8, s6
	s_add_i32 s8, s8, s6
	s_mul_hi_u32 s6, s5, s8
	s_mul_i32 s9, s6, s22
	s_sub_i32 s5, s5, s9
	s_add_i32 s8, s6, 1
	s_sub_i32 s9, s5, s22
	s_cmp_ge_u32 s5, s22
	s_cselect_b32 s6, s8, s6
	s_cselect_b32 s5, s9, s5
	s_add_i32 s8, s6, 1
	s_cmp_ge_u32 s5, s22
	s_cselect_b32 s6, s8, s6
	v_mov_b64_e32 v[2:3], s[6:7]
.LBB39_6:
	s_waitcnt lgkmcnt(0)
	s_mul_hi_u32 s5, s20, s16
	s_add_i32 s5, s5, s20
	v_mul_hi_u32 v1, v2, s16
	s_lshr_b32 s19, s5, s17
	v_add_u32_e32 v1, v1, v2
	s_mul_i32 s5, s19, s18
	v_lshrrev_b32_e32 v1, s17, v1
	s_cmp_eq_u32 s5, s20
	v_cmp_eq_u32_e64 s[6:7], s19, v1
	v_mul_lo_u32 v1, v1, s18
	v_cmp_eq_u32_e32 vcc, s20, v2
	s_cselect_b64 s[10:11], -1, 0
	v_cmp_ne_u32_e64 s[8:9], v1, v2
	s_and_b64 s[6:7], s[6:7], s[8:9]
	s_or_b64 s[8:9], vcc, s[10:11]
	s_or_b64 s[6:7], s[8:9], s[6:7]
	s_and_b64 vcc, exec, s[6:7]
	s_cbranch_vccnz .LBB39_24
; %bb.7:
	s_load_dwordx8 s[24:31], s[0:1], 0x20
	s_load_dword s5, s[0:1], 0x40
	s_waitcnt lgkmcnt(0)
	s_mul_hi_u32 s6, s20, s24
	s_add_i32 s6, s6, s20
	s_lshr_b32 s7, s6, s25
	s_mul_i32 s6, s7, s26
	s_sub_i32 s6, s20, s6
	s_mul_hi_u32 s8, s6, s27
	s_add_i32 s8, s6, s8
	s_lshr_b32 s23, s8, s28
	s_mul_i32 s8, s23, s29
	s_sub_i32 s6, s6, s8
	;; [unrolled: 5-line block ×3, first 2 shown]
	s_mul_hi_u32 s6, s5, s16
	s_add_i32 s5, s5, s6
	s_lshr_b32 s24, s5, s17
	s_lshl_b32 s5, s24, 4
	s_lshl_b32 s25, s8, 1
	s_add_i32 s5, s5, s3
	s_cmp_lt_i32 s5, s12
	s_cselect_b64 s[8:9], -1, 0
	s_add_i32 s25, s25, s4
	s_cmp_lt_i32 s25, s14
	s_cselect_b64 s[10:11], -1, 0
	s_and_b64 s[8:9], s[8:9], s[10:11]
	s_andn2_b64 vcc, exec, s[8:9]
	s_mov_b32 s6, 0
	s_cbranch_vccnz .LBB39_24
; %bb.8:
	s_load_dwordx4 s[8:11], s[0:1], 0x0
	s_lshl_b32 s21, s3, 1
	s_lshl_b32 s0, s22, 7
	s_mov_b32 s1, s6
	s_add_i32 s21, s21, s4
	s_lshl_b64 s[0:1], s[0:1], 2
	s_waitcnt lgkmcnt(0)
	s_add_u32 s4, s10, s0
	s_mul_i32 s0, s7, s12
	s_addc_u32 s5, s11, s1
	s_mul_i32 s23, s23, s14
	s_add_i32 s0, s0, s3
	s_mul_i32 s0, s0, s13
	s_add_i32 s3, s25, s23
	;; [unrolled: 2-line block ×3, first 2 shown]
	s_mulk_i32 s1, 0x500
	s_mulk_i32 s0, 0x50
	s_add_i32 s1, s1, s0
	v_add_u32_e32 v4, s1, v0
	v_mov_b32_e32 v2, s8
	v_mov_b32_e32 v3, s9
	v_ashrrev_i32_e32 v5, 31, v4
	v_lshl_add_u64 v[2:3], v[4:5], 2, v[2:3]
	global_load_dword v5, v[2:3], off
	s_lshl_b32 s0, s2, 5
	s_add_i32 s0, s21, s0
	s_ashr_i32 s1, s0, 31
	s_lshl_b64 s[0:1], s[0:1], 3
	s_add_u32 s0, s10, s0
	s_addc_u32 s1, s11, s1
	s_add_i32 s12, s2, -1
	s_mul_i32 s2, s21, 0x50
	v_add_u32_e32 v4, s2, v0
	v_cvt_f32_u32_e32 v0, s22
	v_cvt_f32_ubyte0_e32 v1, 0
	s_load_dwordx2 s[0:1], s[0:1], 0x0
	v_mov_b32_e32 v8, s20
	v_fmac_f32_e32 v0, 0x4f800000, v1
	v_rcp_f32_e32 v0, v0
	v_cvt_f32_u32_e32 v1, s22
	s_waitcnt lgkmcnt(0)
	v_mov_b32_e32 v6, s1
	v_mov_b32_e32 v7, s0
	v_mul_f32_e32 v0, 0x5f7ffffc, v0
	v_rcp_iflag_f32_e32 v1, v1
	v_mul_f32_e32 v9, 0x2f800000, v0
	v_trunc_f32_e32 v10, v9
	v_fmac_f32_e32 v0, 0xcf800000, v10
	v_cvt_u32_f32_e32 v9, v0
	v_mul_f32_e32 v0, 0x4f7ffffe, v1
	v_cvt_u32_f32_e32 v10, v10
	v_cvt_u32_f32_e32 v11, v0
	s_mov_b32 s8, 0x3fb8aa3b
	s_mov_b32 s9, 0xc2ce8ed0
	;; [unrolled: 1-line block ×4, first 2 shown]
	v_mov_b32_e32 v12, 0x7f800000
	s_mul_hi_i32 s7, s12, s15
	s_cmp_lg_u64 s[6:7], 0
	s_mul_i32 s2, s12, s15
	s_cbranch_scc0 .LBB39_15
.LBB39_9:
	s_sub_u32 s0, 0, s22
	v_readfirstlane_b32 s3, v9
	v_readfirstlane_b32 s24, v10
	s_subb_u32 s1, 0, 0
	s_mul_hi_u32 s23, s0, s3
	s_mul_i32 s25, s0, s24
	s_mul_i32 s20, s1, s3
	s_add_i32 s23, s23, s25
	s_add_i32 s23, s23, s20
	s_mul_i32 s26, s0, s3
	s_mul_hi_u32 s20, s3, s23
	s_mul_i32 s25, s3, s23
	s_mul_hi_u32 s3, s3, s26
	s_add_u32 s3, s3, s25
	s_addc_u32 s20, 0, s20
	s_mul_hi_u32 s27, s24, s26
	s_mul_i32 s26, s24, s26
	s_add_u32 s3, s3, s26
	s_mul_hi_u32 s25, s24, s23
	s_addc_u32 s3, s20, s27
	s_addc_u32 s20, s25, 0
	s_mul_i32 s23, s24, s23
	s_add_u32 s3, s3, s23
	s_addc_u32 s20, 0, s20
	v_add_co_u32_e32 v0, vcc, s3, v9
	s_cmp_lg_u64 vcc, 0
	s_addc_u32 s3, s24, s20
	v_readfirstlane_b32 s23, v0
	s_mul_i32 s20, s0, s3
	s_mul_hi_u32 s24, s0, s23
	s_add_i32 s20, s24, s20
	s_mul_i32 s1, s1, s23
	s_add_i32 s20, s20, s1
	s_mul_i32 s0, s0, s23
	s_mul_hi_u32 s24, s3, s0
	s_mul_i32 s25, s3, s0
	s_mul_i32 s27, s23, s20
	s_mul_hi_u32 s0, s23, s0
	s_mul_hi_u32 s26, s23, s20
	s_add_u32 s0, s0, s27
	s_addc_u32 s23, 0, s26
	s_add_u32 s0, s0, s25
	s_mul_hi_u32 s1, s3, s20
	s_addc_u32 s0, s23, s24
	s_addc_u32 s1, s1, 0
	s_mul_i32 s20, s3, s20
	s_add_u32 s0, s0, s20
	s_addc_u32 s1, 0, s1
	v_add_co_u32_e32 v0, vcc, s0, v0
	s_cmp_lg_u64 vcc, 0
	s_addc_u32 s3, s3, s1
	s_ashr_i32 s0, s7, 31
	s_add_u32 s24, s2, s0
	s_mov_b32 s1, s0
	s_addc_u32 s25, s7, s0
	s_xor_b64 s[24:25], s[24:25], s[0:1]
	v_readfirstlane_b32 s20, v0
	s_mul_i32 s7, s24, s3
	s_mul_hi_u32 s23, s24, s20
	s_mul_hi_u32 s1, s24, s3
	s_add_u32 s7, s23, s7
	s_addc_u32 s1, 0, s1
	s_mul_hi_u32 s26, s25, s20
	s_mul_i32 s20, s25, s20
	s_add_u32 s7, s7, s20
	s_mul_hi_u32 s23, s25, s3
	s_addc_u32 s1, s1, s26
	s_addc_u32 s7, s23, 0
	s_mul_i32 s3, s25, s3
	s_add_u32 s1, s1, s3
	s_addc_u32 s3, 0, s7
	s_mul_i32 s3, s22, s3
	s_mul_hi_u32 s23, s22, s1
	s_add_i32 s23, s23, s3
	s_mul_i32 s3, s22, s1
	v_mov_b32_e32 v0, s3
	s_add_u32 s7, s1, 1
	s_add_u32 s20, s1, 2
	v_sub_co_u32_e32 v0, vcc, s24, v0
	s_cmp_lg_u64 vcc, 0
	s_subb_u32 s3, s25, s23
	v_subrev_co_u32_e32 v1, vcc, s22, v0
	s_cmp_lg_u64 vcc, 0
	s_subb_u32 s23, s3, 0
	v_cmp_le_u32_e32 vcc, s22, v1
	s_cmp_eq_u32 s23, 0
	v_mov_b32_e32 v13, s7
	v_cndmask_b32_e64 v1, 0, -1, vcc
	s_cselect_b64 vcc, -1, 0
	v_cndmask_b32_e32 v1, -1, v1, vcc
	v_mov_b32_e32 v14, s20
	v_cmp_ne_u32_e32 vcc, 0, v1
	s_cmp_eq_u32 s3, 0
	s_nop 0
	v_cndmask_b32_e32 v1, v13, v14, vcc
	v_cmp_le_u32_e32 vcc, s22, v0
	v_mov_b32_e32 v13, s1
	s_nop 0
	v_cndmask_b32_e64 v0, 0, -1, vcc
	s_cselect_b64 vcc, -1, 0
	v_cndmask_b32_e32 v0, -1, v0, vcc
	v_cmp_ne_u32_e32 vcc, 0, v0
	s_nop 1
	v_cndmask_b32_e32 v0, v13, v1, vcc
	v_xor_b32_e32 v0, s0, v0
	v_subrev_co_u32_e32 v0, vcc, s0, v0
	s_cbranch_execnz .LBB39_11
.LBB39_10:
	s_sub_i32 s0, 0, s22
	v_mul_lo_u32 v0, s0, v11
	v_mul_hi_u32 v0, v11, v0
	v_add_u32_e32 v0, v11, v0
	v_mul_hi_u32 v0, s2, v0
	v_mul_lo_u32 v13, v0, s22
	v_sub_u32_e32 v13, s2, v13
	v_add_u32_e32 v1, 1, v0
	v_subrev_u32_e32 v14, s22, v13
	v_cmp_le_u32_e32 vcc, s22, v13
	s_nop 1
	v_cndmask_b32_e32 v13, v13, v14, vcc
	v_cndmask_b32_e32 v0, v0, v1, vcc
	v_add_u32_e32 v1, 1, v0
	v_cmp_le_u32_e32 vcc, s22, v13
	s_nop 1
	v_cndmask_b32_e32 v0, v0, v1, vcc
.LBB39_11:
	v_cmp_ne_u32_e32 vcc, v8, v0
	s_cbranch_vccz .LBB39_14
; %bb.12:
	s_add_i32 s0, s12, s22
	s_lshl_b32 s0, s0, 5
	v_mul_hi_u32 v1, v0, s16
	s_add_i32 s0, s0, s21
	s_mov_b32 s1, s6
	v_add_u32_e32 v1, v1, v0
	s_lshl_b64 s[0:1], s[0:1], 3
	v_lshrrev_b32_e32 v1, s17, v1
	s_add_u32 s2, s10, s0
	v_mul_lo_u32 v13, v1, s18
	s_addc_u32 s3, s11, s1
	v_cmp_eq_u32_e32 vcc, v13, v0
	v_cmp_gt_u32_e64 s[0:1], s19, v1
	s_or_b64 s[0:1], s[0:1], vcc
	s_and_b64 vcc, exec, s[0:1]
	s_cbranch_vccnz .LBB39_16
; %bb.13:
	s_add_i32 s7, s12, -1
	s_mov_b64 s[0:1], 0
	s_branch .LBB39_17
.LBB39_14:
                                        ; implicit-def: $sgpr0_sgpr1
                                        ; implicit-def: $vgpr14
                                        ; implicit-def: $vgpr1
                                        ; implicit-def: $vgpr13
                                        ; implicit-def: $sgpr7
                                        ; implicit-def: $vgpr0
	s_branch .LBB39_18
.LBB39_15:
                                        ; implicit-def: $vgpr0_vgpr1
	s_branch .LBB39_10
.LBB39_16:
	s_mov_b64 s[0:1], -1
	s_mov_b32 s7, s12
	v_mov_b32_e32 v0, v8
.LBB39_17:
	s_mul_i32 s20, s12, 0xa00
	v_add_u32_e32 v14, s20, v4
	v_ashrrev_i32_e32 v15, 31, v14
	v_lshl_add_u64 v[14:15], v[14:15], 2, s[4:5]
	global_load_dword v14, v[14:15], off
	s_load_dwordx2 s[2:3], s[2:3], 0x0
	v_max_f32_e32 v1, v7, v7
	s_waitcnt lgkmcnt(0)
	v_max_f32_e64 v13, s2, s2
	v_max_f32_e32 v1, v1, v13
	v_sub_f32_e32 v13, v7, v1
	v_sub_f32_e32 v15, s2, v1
	v_mul_f32_e32 v16, 0x3fb8aa3b, v13
	v_mul_f32_e32 v17, 0x3fb8aa3b, v15
	v_fma_f32 v18, v13, s8, -v16
	v_rndne_f32_e32 v19, v16
	v_fma_f32 v20, v15, s8, -v17
	v_rndne_f32_e32 v21, v17
	v_fmac_f32_e32 v18, 0x32a5705f, v13
	v_sub_f32_e32 v16, v16, v19
	v_fmac_f32_e32 v20, 0x32a5705f, v15
	v_sub_f32_e32 v17, v17, v21
	v_add_f32_e32 v16, v16, v18
	v_cvt_i32_f32_e32 v19, v19
	v_add_f32_e32 v17, v17, v20
	v_exp_f32_e32 v16, v16
	v_cvt_i32_f32_e32 v21, v21
	v_exp_f32_e32 v17, v17
	v_cmp_ngt_f32_e32 vcc, s9, v13
	v_ldexp_f32 v16, v16, v19
	v_ldexp_f32 v17, v17, v21
	v_cndmask_b32_e32 v16, 0, v16, vcc
	v_cmp_ngt_f32_e32 vcc, s9, v15
	s_nop 1
	v_cndmask_b32_e32 v17, 0, v17, vcc
	v_cmp_nlt_f32_e32 vcc, s13, v13
	s_nop 1
	v_cndmask_b32_e32 v16, v12, v16, vcc
	v_cmp_nlt_f32_e32 vcc, s13, v15
	s_nop 1
	v_cndmask_b32_e32 v17, v12, v17, vcc
	v_cmp_le_f32_e32 vcc, s14, v13
	s_nop 1
	v_cndmask_b32_e32 v16, 0, v16, vcc
	v_cmp_le_f32_e32 vcc, s14, v15
	s_nop 1
	v_cndmask_b32_e32 v15, 0, v17, vcc
	v_mul_f32_e32 v13, s3, v15
	v_fmac_f32_e32 v13, v6, v16
	s_waitcnt vmcnt(0)
	v_mul_f32_e32 v14, v14, v15
	v_fmac_f32_e32 v14, v5, v16
	s_cbranch_execnz .LBB39_19
.LBB39_18:
	s_add_i32 s7, s12, -1
	s_mov_b64 s[0:1], 0
	v_mov_b32_e32 v0, v8
	v_mov_b32_e32 v13, v6
	;; [unrolled: 1-line block ×3, first 2 shown]
	s_waitcnt vmcnt(0)
	v_mov_b32_e32 v14, v5
.LBB39_19:
	s_andn2_b64 vcc, exec, s[0:1]
	s_cbranch_vccz .LBB39_23
; %bb.20:
	v_mov_b32_e32 v8, v0
	s_mov_b32 s12, s7
	v_mov_b32_e32 v6, v13
	v_mov_b32_e32 v7, v1
	s_waitcnt vmcnt(0)
	v_mov_b32_e32 v5, v14
	s_mul_hi_i32 s7, s12, s15
	s_cmp_lg_u64 s[6:7], 0
	s_mul_i32 s2, s12, s15
	s_cbranch_scc1 .LBB39_9
	s_branch .LBB39_15
.LBB39_21:
                                        ; implicit-def: $sgpr20_sgpr21
	s_load_dwordx4 s[16:19], s[0:1], 0x44
	s_branch .LBB39_2
.LBB39_22:
                                        ; implicit-def: $vgpr2_vgpr3
	s_branch .LBB39_5
.LBB39_23:
	v_div_scale_f32 v0, s[0:1], v13, v13, v14
	v_rcp_f32_e32 v1, v0
	v_div_scale_f32 v4, vcc, v14, v13, v14
	s_waitcnt vmcnt(0)
	v_fma_f32 v5, -v0, v1, 1.0
	v_fmac_f32_e32 v1, v5, v1
	v_mul_f32_e32 v5, v4, v1
	v_fma_f32 v6, -v0, v5, v4
	v_fmac_f32_e32 v5, v6, v1
	v_fma_f32 v0, -v0, v5, v4
	v_div_fmas_f32 v0, v0, v1, v5
	v_div_fixup_f32 v0, v0, v13, v14
	global_store_dword v[2:3], v0, off
.LBB39_24:
	s_endpgm
	.section	.rodata,"a",@progbits
	.p2align	6, 0x0
	.amdhsa_kernel _ZL33flash_attn_stream_k_fixup_generalILi80ELi16ELi2EEvPfPK15HIP_vector_typeIfLj2EEiiiiS1_IjLj3EES5_S5_S5_
		.amdhsa_group_segment_fixed_size 0
		.amdhsa_private_segment_fixed_size 0
		.amdhsa_kernarg_size 336
		.amdhsa_user_sgpr_count 2
		.amdhsa_user_sgpr_dispatch_ptr 0
		.amdhsa_user_sgpr_queue_ptr 0
		.amdhsa_user_sgpr_kernarg_segment_ptr 1
		.amdhsa_user_sgpr_dispatch_id 0
		.amdhsa_user_sgpr_kernarg_preload_length 0
		.amdhsa_user_sgpr_kernarg_preload_offset 0
		.amdhsa_user_sgpr_private_segment_size 0
		.amdhsa_uses_dynamic_stack 0
		.amdhsa_enable_private_segment 0
		.amdhsa_system_sgpr_workgroup_id_x 1
		.amdhsa_system_sgpr_workgroup_id_y 1
		.amdhsa_system_sgpr_workgroup_id_z 1
		.amdhsa_system_sgpr_workgroup_info 0
		.amdhsa_system_vgpr_workitem_id 0
		.amdhsa_next_free_vgpr 22
		.amdhsa_next_free_sgpr 32
		.amdhsa_accum_offset 24
		.amdhsa_reserve_vcc 1
		.amdhsa_float_round_mode_32 0
		.amdhsa_float_round_mode_16_64 0
		.amdhsa_float_denorm_mode_32 3
		.amdhsa_float_denorm_mode_16_64 3
		.amdhsa_dx10_clamp 1
		.amdhsa_ieee_mode 1
		.amdhsa_fp16_overflow 0
		.amdhsa_tg_split 0
		.amdhsa_exception_fp_ieee_invalid_op 0
		.amdhsa_exception_fp_denorm_src 0
		.amdhsa_exception_fp_ieee_div_zero 0
		.amdhsa_exception_fp_ieee_overflow 0
		.amdhsa_exception_fp_ieee_underflow 0
		.amdhsa_exception_fp_ieee_inexact 0
		.amdhsa_exception_int_div_zero 0
	.end_amdhsa_kernel
	.section	.text._ZL33flash_attn_stream_k_fixup_generalILi80ELi16ELi2EEvPfPK15HIP_vector_typeIfLj2EEiiiiS1_IjLj3EES5_S5_S5_,"axG",@progbits,_ZL33flash_attn_stream_k_fixup_generalILi80ELi16ELi2EEvPfPK15HIP_vector_typeIfLj2EEiiiiS1_IjLj3EES5_S5_S5_,comdat
.Lfunc_end39:
	.size	_ZL33flash_attn_stream_k_fixup_generalILi80ELi16ELi2EEvPfPK15HIP_vector_typeIfLj2EEiiiiS1_IjLj3EES5_S5_S5_, .Lfunc_end39-_ZL33flash_attn_stream_k_fixup_generalILi80ELi16ELi2EEvPfPK15HIP_vector_typeIfLj2EEiiiiS1_IjLj3EES5_S5_S5_
                                        ; -- End function
	.section	.AMDGPU.csdata,"",@progbits
; Kernel info:
; codeLenInByte = 2868
; NumSgprs: 38
; NumVgprs: 22
; NumAgprs: 0
; TotalNumVgprs: 22
; ScratchSize: 0
; MemoryBound: 0
; FloatMode: 240
; IeeeMode: 1
; LDSByteSize: 0 bytes/workgroup (compile time only)
; SGPRBlocks: 4
; VGPRBlocks: 2
; NumSGPRsForWavesPerEU: 38
; NumVGPRsForWavesPerEU: 22
; AccumOffset: 24
; Occupancy: 8
; WaveLimiterHint : 0
; COMPUTE_PGM_RSRC2:SCRATCH_EN: 0
; COMPUTE_PGM_RSRC2:USER_SGPR: 2
; COMPUTE_PGM_RSRC2:TRAP_HANDLER: 0
; COMPUTE_PGM_RSRC2:TGID_X_EN: 1
; COMPUTE_PGM_RSRC2:TGID_Y_EN: 1
; COMPUTE_PGM_RSRC2:TGID_Z_EN: 1
; COMPUTE_PGM_RSRC2:TIDIG_COMP_CNT: 0
; COMPUTE_PGM_RSRC3_GFX90A:ACCUM_OFFSET: 5
; COMPUTE_PGM_RSRC3_GFX90A:TG_SPLIT: 0
	.section	.text._ZL15flash_attn_tileILi80ELi80ELi8ELi2ELb0EEvPKcS1_S1_S1_S1_PKiPfP15HIP_vector_typeIfLj2EEffffjfiS5_IjLj3EEiiiiiiiiiiiliiliiiiil,"axG",@progbits,_ZL15flash_attn_tileILi80ELi80ELi8ELi2ELb0EEvPKcS1_S1_S1_S1_PKiPfP15HIP_vector_typeIfLj2EEffffjfiS5_IjLj3EEiiiiiiiiiiiliiliiiiil,comdat
	.globl	_ZL15flash_attn_tileILi80ELi80ELi8ELi2ELb0EEvPKcS1_S1_S1_S1_PKiPfP15HIP_vector_typeIfLj2EEffffjfiS5_IjLj3EEiiiiiiiiiiiliiliiiiil ; -- Begin function _ZL15flash_attn_tileILi80ELi80ELi8ELi2ELb0EEvPKcS1_S1_S1_S1_PKiPfP15HIP_vector_typeIfLj2EEffffjfiS5_IjLj3EEiiiiiiiiiiiliiliiiiil
	.p2align	8
	.type	_ZL15flash_attn_tileILi80ELi80ELi8ELi2ELb0EEvPKcS1_S1_S1_S1_PKiPfP15HIP_vector_typeIfLj2EEffffjfiS5_IjLj3EEiiiiiiiiiiiliiliiiiil,@function
_ZL15flash_attn_tileILi80ELi80ELi8ELi2ELb0EEvPKcS1_S1_S1_S1_PKiPfP15HIP_vector_typeIfLj2EEffffjfiS5_IjLj3EEiiiiiiiiiiiliiliiiiil: ; @_ZL15flash_attn_tileILi80ELi80ELi8ELi2ELb0EEvPKcS1_S1_S1_S1_PKiPfP15HIP_vector_typeIfLj2EEffffjfiS5_IjLj3EEiiiiiiiiiiiliiliiiiil
; %bb.0:
	s_load_dwordx4 s[28:31], s[0:1], 0x5c
	s_load_dwordx2 s[36:37], s[0:1], 0x80
	s_load_dwordx16 s[12:27], s[0:1], 0x0
	s_mov_b64 s[38:39], 0
	s_waitcnt lgkmcnt(0)
	s_lshr_b32 s5, s31, 31
	s_add_i32 s5, s31, s5
	s_ashr_i32 s5, s5, 1
	v_cvt_f32_u32_e32 v1, s5
	s_sub_i32 s6, 0, s5
	v_rcp_iflag_f32_e32 v1, v1
	s_nop 0
	v_mul_f32_e32 v1, 0x4f7ffffe, v1
	v_cvt_u32_f32_e32 v1, v1
	s_nop 0
	v_readfirstlane_b32 s7, v1
	s_mul_i32 s6, s6, s7
	s_mul_hi_u32 s6, s7, s6
	s_add_i32 s7, s7, s6
	s_mul_hi_u32 s6, s4, s7
	s_mul_i32 s7, s6, s5
	s_sub_i32 s7, s4, s7
	s_add_i32 s8, s6, 1
	s_sub_i32 s9, s7, s5
	s_cmp_ge_u32 s7, s5
	s_cselect_b32 s6, s8, s6
	s_cselect_b32 s7, s9, s7
	s_add_i32 s8, s6, 1
	s_cmp_ge_u32 s7, s5
	s_cselect_b32 s33, s8, s6
	s_abs_i32 s5, s37
	v_cvt_f32_u32_e32 v1, s5
	s_sub_i32 s8, 0, s5
	s_abs_i32 s7, s31
	s_xor_b32 s6, s31, s37
	v_rcp_iflag_f32_e32 v1, v1
	s_lshl_b32 s4, s4, 1
	s_ashr_i32 s6, s6, 31
	v_mul_f32_e32 v1, 0x4f7ffffe, v1
	v_cvt_u32_f32_e32 v1, v1
	s_nop 0
	v_readfirstlane_b32 s9, v1
	s_mul_i32 s8, s8, s9
	s_mul_hi_u32 s8, s9, s8
	s_add_i32 s9, s9, s8
	s_mul_hi_u32 s8, s7, s9
	s_mul_i32 s9, s8, s5
	s_sub_i32 s7, s7, s9
	s_add_i32 s10, s8, 1
	s_sub_i32 s9, s7, s5
	s_cmp_ge_u32 s7, s5
	s_cselect_b32 s8, s10, s8
	s_cselect_b32 s7, s9, s7
	s_add_i32 s9, s8, 1
	s_cmp_ge_u32 s7, s5
	s_cselect_b32 s5, s9, s8
	s_xor_b32 s5, s5, s6
	s_sub_i32 s37, s5, s6
	s_abs_i32 s40, s37
	v_cvt_f32_u32_e32 v1, s40
	s_load_dwordx2 s[8:9], s[0:1], 0xb8
	s_mul_i32 s5, s33, s31
	s_cmp_eq_u64 s[18:19], 0
	v_rcp_iflag_f32_e32 v1, v1
	s_nop 0
	v_mul_f32_e32 v1, 0x4f7ffffe, v1
	v_cvt_u32_f32_e32 v1, v1
	s_nop 0
	v_readfirstlane_b32 s41, v1
	s_cbranch_scc1 .LBB40_2
; %bb.1:
	s_waitcnt lgkmcnt(0)
	s_abs_i32 s8, s8
	v_cvt_f32_u32_e32 v1, s8
	s_sub_i32 s34, 0, s8
	s_abs_i32 s11, s33
	s_ashr_i32 s10, s33, 31
	v_rcp_iflag_f32_e32 v1, v1
	s_load_dwordx2 s[6:7], s[0:1], 0xc8
	v_mul_f32_e32 v1, 0x4f7ffffe, v1
	v_cvt_u32_f32_e32 v1, v1
	s_nop 0
	v_readfirstlane_b32 s35, v1
	s_mul_i32 s34, s34, s35
	s_mul_hi_u32 s34, s35, s34
	s_add_i32 s35, s35, s34
	s_mul_hi_u32 s34, s11, s35
	s_mul_i32 s34, s34, s8
	s_sub_i32 s11, s11, s34
	s_sub_i32 s34, s11, s8
	s_cmp_ge_u32 s11, s8
	s_cselect_b32 s11, s34, s11
	s_sub_i32 s34, s11, s8
	s_cmp_ge_u32 s11, s8
	s_cselect_b32 s8, s34, s11
	s_xor_b32 s8, s8, s10
	s_sub_i32 s8, s8, s10
	s_ashr_i32 s10, s8, 31
	s_waitcnt lgkmcnt(0)
	s_mul_i32 s7, s8, s7
	s_mul_hi_u32 s11, s8, s6
	s_add_i32 s7, s11, s7
	s_mul_i32 s10, s10, s6
	s_add_i32 s7, s7, s10
	s_mul_i32 s8, s8, s6
	s_add_u32 s38, s18, s8
	s_addc_u32 s39, s19, s7
.LBB40_2:
	v_bfe_u32 v1, v0, 10, 10
	v_lshl_add_u32 v49, s2, 3, v1
	v_and_b32_e32 v50, 0x3ff, v0
	v_mul_hi_u32 v0, s28, v49
	v_add_u32_e32 v0, v49, v0
	v_lshrrev_b32_e32 v0, s29, v0
	v_mul_lo_u32 v0, v0, s30
	s_sub_i32 s34, s4, s5
	v_cmp_gt_u32_e64 s[18:19], 20, v50
	v_sub_u32_e32 v2, v49, v0
	v_lshlrev_b32_e32 v48, 2, v50
	v_lshlrev_b32_e32 v0, 1, v50
	s_and_saveexec_b64 s[10:11], s[18:19]
	s_cbranch_execz .LBB40_4
; %bb.3:
	s_load_dwordx4 s[4:7], s[0:1], 0x70
	s_waitcnt lgkmcnt(0)
	s_mul_i32 s6, s33, s6
	s_ashr_i32 s8, s6, 31
	s_mul_i32 s7, s34, s5
	s_add_u32 s6, s12, s6
	s_addc_u32 s8, s13, s8
	s_ashr_i32 s12, s7, 31
	s_add_u32 s6, s6, s7
	v_mov_b32_e32 v3, s4
	s_addc_u32 s7, s8, s12
	s_ashr_i32 s4, s4, 31
	v_alignbit_b32 v3, s4, v3, 2
	v_mad_u64_u32 v[4:5], s[12:13], v3, v2, 0
	v_mov_b32_e32 v6, v5
	s_lshr_b32 s4, s4, 2
	v_mad_u64_u32 v[6:7], s[12:13], s4, v2, v[6:7]
	v_mov_b32_e32 v5, v6
	v_lshl_add_u64 v[4:5], v[4:5], 2, s[6:7]
	v_lshlrev_b32_e32 v6, 2, v48
	v_mov_b32_e32 v7, 0
	v_lshl_add_u64 v[8:9], v[4:5], 0, v[6:7]
	s_ashr_i32 s7, s5, 31
	s_and_b32 s6, s5, -4
	global_load_dwordx4 v[4:7], v[8:9], off
	v_lshl_add_u64 v[8:9], v[8:9], 0, s[6:7]
	global_load_dwordx4 v[8:11], v[8:9], off
	s_load_dword s4, s[0:1], 0x40
	v_mul_u32_u24_e32 v3, 0x50, v1
	v_add_lshl_u32 v3, v3, v0, 2
	v_add_u32_e32 v3, 0x800, v3
	s_waitcnt vmcnt(1) lgkmcnt(0)
	v_pk_mul_f32 v[4:5], v[4:5], s[4:5] op_sel_hi:[1,0]
	v_pk_mul_f32 v[6:7], v[6:7], s[4:5] op_sel_hi:[1,0]
	v_cvt_f16_f32_e32 v12, v5
	v_cvt_f16_f32_e32 v13, v4
	;; [unrolled: 1-line block ×4, first 2 shown]
	s_waitcnt vmcnt(0)
	v_pk_mul_f32 v[4:5], v[8:9], s[4:5] op_sel_hi:[1,0]
	v_pk_mul_f32 v[6:7], v[10:11], s[4:5] op_sel_hi:[1,0]
	v_cvt_f16_f32_e32 v8, v5
	v_cvt_f16_f32_e32 v7, v7
	;; [unrolled: 1-line block ×4, first 2 shown]
	v_pack_b32_f16 v5, v15, v14
	v_pack_b32_f16 v4, v13, v12
	;; [unrolled: 1-line block ×4, first 2 shown]
	ds_write2_b64 v3, v[4:5], v[6:7] offset0:152 offset1:172
.LBB40_4:
	s_or_b64 exec, exec, s[10:11]
	s_cmp_eq_u64 s[22:23], 0
	s_waitcnt lgkmcnt(0)
	s_barrier
	s_cbranch_scc1 .LBB40_6
; %bb.5:
	s_load_dword s4, s[0:1], 0xd0
	s_mov_b32 s5, 0
	s_waitcnt lgkmcnt(0)
	s_mul_i32 s4, s4, s33
	s_add_i32 s4, s4, s2
	s_lshl_b64 s[4:5], s[4:5], 2
	s_add_u32 s4, s22, s4
	s_addc_u32 s5, s23, s5
	s_load_dword s36, s[4:5], 0x0
.LBB40_6:
	s_lshl_b32 s35, s3, 5
	s_waitcnt lgkmcnt(0)
	s_cmp_lt_i32 s35, s36
	v_mbcnt_lo_u32_b32 v3, -1, 0
	s_cbranch_scc1 .LBB40_8
; %bb.7:
	v_mbcnt_hi_u32_b32 v59, -1, v3
	v_and_b32_e32 v4, 0x60, v59
	s_mov_b32 s4, 0xfeffffff
	s_mov_b32 s2, 0
	v_add_u32_e32 v94, 32, v4
	v_xor_b32_e32 v95, 16, v59
	v_xor_b32_e32 v93, 8, v59
	;; [unrolled: 1-line block ×5, first 2 shown]
	s_mov_b32 s5, s4
	s_mov_b64 s[6:7], 0
	s_branch .LBB40_9
.LBB40_8:
	s_mov_b64 s[6:7], -1
                                        ; implicit-def: $sgpr2
                                        ; implicit-def: $sgpr4_sgpr5
                                        ; implicit-def: $vgpr59
                                        ; implicit-def: $vgpr94
                                        ; implicit-def: $vgpr95
                                        ; implicit-def: $vgpr93
                                        ; implicit-def: $vgpr92
                                        ; implicit-def: $vgpr91
                                        ; implicit-def: $vgpr90
.LBB40_9:
	s_andn2_b64 vcc, exec, s[6:7]
	v_mov_b32_e32 v55, s2
	v_mov_b32_e32 v51, s2
	v_mov_b64_e32 v[74:75], s[4:5]
	v_mov_b32_e32 v65, s2
	v_mov_b32_e32 v54, s2
	;; [unrolled: 1-line block ×4, first 2 shown]
	s_cbranch_vccnz .LBB40_29
; %bb.10:
	s_load_dwordx2 s[10:11], s[0:1], 0x8c
	s_load_dwordx4 s[4:7], s[0:1], 0x98
	s_sub_i32 s2, 0, s40
	s_mul_i32 s2, s2, s41
	s_mul_hi_u32 s2, s41, s2
	s_ashr_i32 s23, s37, 31
	s_waitcnt lgkmcnt(0)
	s_ashr_i32 s37, s6, 2
	s_ashr_i32 s6, s9, 1
	;; [unrolled: 1-line block ×4, first 2 shown]
	s_mul_i32 s5, s33, s5
	s_mul_hi_u32 s10, s33, s4
	s_abs_i32 s8, s34
	s_add_i32 s41, s41, s2
	s_add_i32 s5, s10, s5
	s_mul_i32 s10, s9, s4
	s_mul_hi_u32 s2, s8, s41
	s_ashr_i32 s22, s34, 31
	s_add_i32 s5, s5, s10
	s_mul_i32 s4, s33, s4
	s_add_u32 s4, s14, s4
	s_mul_i32 s14, s2, s40
	s_addc_u32 s5, s15, s5
	s_sub_i32 s8, s8, s14
	s_xor_b32 s10, s22, s23
	s_add_i32 s14, s2, 1
	s_sub_i32 s15, s8, s40
	s_cmp_ge_u32 s8, s40
	s_cselect_b32 s2, s14, s2
	s_cselect_b32 s8, s15, s8
	s_add_i32 s14, s2, 1
	s_cmp_ge_u32 s8, s40
	s_cselect_b32 s2, s14, s2
	s_load_dwordx2 s[12:13], s[0:1], 0xa8
	s_xor_b32 s2, s2, s10
	s_sub_i32 s2, s2, s10
	s_mul_i32 s8, s2, s11
	s_ashr_i32 s10, s8, 31
	s_add_u32 s43, s4, s8
	s_addc_u32 s44, s5, s10
	s_waitcnt lgkmcnt(0)
	s_mul_i32 s4, s33, s13
	s_mul_hi_u32 s5, s33, s12
	s_add_i32 s4, s5, s4
	s_mul_i32 s9, s9, s12
	s_add_i32 s4, s4, s9
	s_mul_i32 s5, s33, s12
	s_add_u32 s5, s16, s5
	s_mul_i32 s2, s2, s7
	s_addc_u32 s4, s17, s4
	s_ashr_i32 s7, s2, 31
	s_add_u32 s45, s5, s2
	s_addc_u32 s46, s4, s7
	v_mad_u64_u32 v[64:65], s[6:7], v2, s6, v[50:51]
	v_mov_b32_e32 v2, 0x16c0
	v_lshl_add_u32 v84, v1, 7, v2
	v_lshrrev_b32_e32 v2, 1, v50
	v_lshl_add_u32 v4, v1, 5, v50
	v_lshrrev_b32_e32 v5, 2, v50
	s_movk_i32 s2, 0x60
	v_and_b32_e32 v58, 12, v48
	v_lshl_add_u32 v2, v1, 4, v2
	v_cmp_gt_u32_e32 vcc, 32, v4
	v_lshl_add_u32 v5, v1, 3, v5
	v_mad_u32_u24 v82, v4, s2, 64
	v_mul_lo_u32 v56, s42, v4
	v_lshlrev_b32_e32 v4, 2, v58
	v_lshl_add_u32 v85, v0, 1, v84
	v_lshlrev_b32_e32 v86, 2, v0
	v_and_b32_e32 v66, 4, v48
	v_mul_u32_u24_e32 v0, 0xa0, v2
	v_mad_u32_u24 v83, v5, s2, v4
	v_lshrrev_b32_e32 v4, 3, v50
	v_lshl_or_b32 v0, v66, 2, v0
	v_and_b32_e32 v70, 28, v48
	v_mul_u32_u24_e32 v71, 0x140, v1
	v_lshl_add_u32 v1, v1, 2, v4
	s_movk_i32 s2, 0xa0
	v_add_u32_e32 v87, 0x80, v0
	v_lshlrev_b32_e32 v0, 2, v70
	v_mov_b32_e32 v61, 0
	v_mul_lo_u32 v62, s42, v5
	v_mul_lo_u32 v68, s37, v2
	v_mad_u32_u24 v88, v1, s2, v0
	v_mul_lo_u32 v72, s37, v1
	s_add_u32 s22, s0, 0xd0
	v_mov_b32_e32 v0, 0xfeffffff
	v_cmp_gt_u32_e64 s[4:5], 32, v5
	v_mul_u32_u24_e32 v67, 0x60, v50
	v_ashrrev_i32_e32 v57, 31, v56
	v_ashrrev_i32_e32 v63, 31, v62
	v_cmp_gt_u32_e64 s[6:7], 16, v2
	v_cmp_gt_u32_e64 s[8:9], 16, v1
	v_ashrrev_i32_e32 v69, 31, v68
	v_ashrrev_i32_e32 v73, 31, v72
	s_addc_u32 s23, s1, 0
	v_mbcnt_hi_u32_b32 v59, -1, v3
	s_mov_b32 s2, 0x40051340
	s_mov_b32 s47, 0x3fb8aa3b
	;; [unrolled: 1-line block ×4, first 2 shown]
	v_mov_b32_e32 v89, 0x7f800000
	v_mov_b32_e32 v53, 0
	;; [unrolled: 1-line block ×8, first 2 shown]
.LBB40_11:                              ; =>This Inner Loop Header: Depth=1
	s_mul_hi_i32 s11, s35, s42
	s_mul_i32 s10, s35, s42
	s_lshl_b64 s[10:11], s[10:11], 2
	s_add_u32 s10, s43, s10
	s_addc_u32 s11, s44, s11
	v_lshl_add_u64 v[6:7], v[56:57], 2, s[10:11]
	s_and_saveexec_b64 s[12:13], vcc
	s_cbranch_execz .LBB40_13
; %bb.12:                               ;   in Loop: Header=BB40_11 Depth=1
	global_load_dwordx4 v[2:5], v[6:7], off offset:64
	s_waitcnt vmcnt(0)
	ds_write_b128 v82, v[2:5]
.LBB40_13:                              ;   in Loop: Header=BB40_11 Depth=1
	s_or_b64 exec, exec, s[12:13]
	v_lshl_add_u64 v[4:5], v[62:63], 2, s[10:11]
	v_lshlrev_b32_e32 v60, 2, v58
	s_and_saveexec_b64 s[10:11], s[4:5]
	s_cbranch_execz .LBB40_15
; %bb.14:                               ;   in Loop: Header=BB40_11 Depth=1
	v_lshl_add_u64 v[2:3], v[4:5], 0, v[60:61]
	global_load_dwordx4 v[8:11], v[2:3], off
	s_waitcnt vmcnt(0)
	ds_write_b128 v83, v[8:11]
.LBB40_15:                              ;   in Loop: Header=BB40_11 Depth=1
	s_or_b64 exec, exec, s[10:11]
	s_waitcnt lgkmcnt(0)
	s_barrier
	ds_read_b128 v[8:11], v67
	ds_read_b128 v[12:15], v71 offset:3264
	ds_read_b128 v[16:19], v71 offset:3424
	v_mov_b32_e32 v2, 0
	s_waitcnt lgkmcnt(1)
	;;#ASMSTART
	v_dot2_f32_f16 v2, v8, v12, v2
	;;#ASMEND
	s_nop 0
	;;#ASMSTART
	v_dot2_f32_f16 v2, v9, v13, v2
	;;#ASMEND
	v_mov_b32_e32 v3, 0
	;;#ASMSTART
	v_dot2_f32_f16 v2, v10, v14, v2
	;;#ASMEND
	s_nop 0
	;;#ASMSTART
	v_dot2_f32_f16 v2, v11, v15, v2
	;;#ASMEND
	s_waitcnt lgkmcnt(0)
	;;#ASMSTART
	v_dot2_f32_f16 v3, v8, v16, v3
	;;#ASMEND
	s_nop 0
	;;#ASMSTART
	v_dot2_f32_f16 v3, v9, v17, v3
	;;#ASMEND
	s_nop 0
	;;#ASMSTART
	v_dot2_f32_f16 v3, v10, v18, v3
	;;#ASMEND
	s_nop 0
	;;#ASMSTART
	v_dot2_f32_f16 v3, v11, v19, v3
	;;#ASMEND
	ds_read_b128 v[8:11], v67 offset:16
	ds_read_b128 v[12:15], v71 offset:3280
	ds_read_b128 v[16:19], v71 offset:3440
	s_waitcnt lgkmcnt(1)
	;;#ASMSTART
	v_dot2_f32_f16 v2, v8, v12, v2
	;;#ASMEND
	s_nop 0
	;;#ASMSTART
	v_dot2_f32_f16 v2, v9, v13, v2
	;;#ASMEND
	s_nop 0
	;;#ASMSTART
	v_dot2_f32_f16 v2, v10, v14, v2
	;;#ASMEND
	s_nop 0
	;;#ASMSTART
	v_dot2_f32_f16 v2, v11, v15, v2
	;;#ASMEND
	s_waitcnt lgkmcnt(0)
	;;#ASMSTART
	v_dot2_f32_f16 v3, v8, v16, v3
	;;#ASMEND
	s_nop 0
	;;#ASMSTART
	v_dot2_f32_f16 v3, v9, v17, v3
	;;#ASMEND
	s_nop 0
	;;#ASMSTART
	v_dot2_f32_f16 v3, v10, v18, v3
	;;#ASMEND
	s_nop 0
	;;#ASMSTART
	v_dot2_f32_f16 v3, v11, v19, v3
	;;#ASMEND
	ds_read_b128 v[8:11], v67 offset:32
	ds_read_b128 v[12:15], v71 offset:3296
	ds_read_b128 v[16:19], v71 offset:3456
	s_waitcnt lgkmcnt(1)
	;;#ASMSTART
	v_dot2_f32_f16 v2, v8, v12, v2
	;;#ASMEND
	s_nop 0
	;;#ASMSTART
	v_dot2_f32_f16 v2, v9, v13, v2
	;;#ASMEND
	s_nop 0
	;; [unrolled: 35-line block ×4, first 2 shown]
	;;#ASMSTART
	v_dot2_f32_f16 v2, v10, v14, v2
	;;#ASMEND
	s_nop 0
	;;#ASMSTART
	v_dot2_f32_f16 v2, v11, v15, v2
	;;#ASMEND
	s_waitcnt lgkmcnt(0)
	;;#ASMSTART
	v_dot2_f32_f16 v3, v8, v16, v3
	;;#ASMEND
	s_nop 0
	;;#ASMSTART
	v_dot2_f32_f16 v3, v9, v17, v3
	;;#ASMEND
	s_nop 0
	;; [unrolled: 4-line block ×3, first 2 shown]
	;;#ASMSTART
	v_dot2_f32_f16 v3, v11, v19, v3
	;;#ASMEND
	s_barrier
	s_and_saveexec_b64 s[10:11], vcc
	s_cbranch_execz .LBB40_17
; %bb.16:                               ;   in Loop: Header=BB40_11 Depth=1
	global_load_dwordx4 v[6:9], v[6:7], off offset:144
	s_waitcnt vmcnt(0)
	ds_write_b128 v82, v[6:9]
.LBB40_17:                              ;   in Loop: Header=BB40_11 Depth=1
	s_or_b64 exec, exec, s[10:11]
	s_and_saveexec_b64 s[10:11], s[4:5]
	s_cbranch_execz .LBB40_19
; %bb.18:                               ;   in Loop: Header=BB40_11 Depth=1
	v_lshl_add_u64 v[4:5], v[4:5], 0, v[60:61]
	global_load_dwordx4 v[4:7], v[4:5], off offset:80
	s_waitcnt vmcnt(0)
	ds_write_b128 v83, v[4:7]
.LBB40_19:                              ;   in Loop: Header=BB40_11 Depth=1
	s_or_b64 exec, exec, s[10:11]
	s_waitcnt lgkmcnt(0)
	s_barrier
	ds_read_b128 v[4:7], v67
	ds_read_b128 v[8:11], v71 offset:3344
	ds_read_b128 v[12:15], v71 offset:3504
	s_waitcnt lgkmcnt(1)
	;;#ASMSTART
	v_dot2_f32_f16 v2, v4, v8, v2
	;;#ASMEND
	s_nop 0
	;;#ASMSTART
	v_dot2_f32_f16 v2, v5, v9, v2
	;;#ASMEND
	v_xor_b32_e32 v95, 16, v59
	;;#ASMSTART
	v_dot2_f32_f16 v2, v6, v10, v2
	;;#ASMEND
	v_xor_b32_e32 v93, 8, v59
	;;#ASMSTART
	v_dot2_f32_f16 v2, v7, v11, v2
	;;#ASMEND
	s_waitcnt lgkmcnt(0)
	;;#ASMSTART
	v_dot2_f32_f16 v3, v4, v12, v3
	;;#ASMEND
	v_xor_b32_e32 v92, 4, v59
	;;#ASMSTART
	v_dot2_f32_f16 v3, v5, v13, v3
	;;#ASMEND
	v_xor_b32_e32 v91, 2, v59
	;; [unrolled: 4-line block ×3, first 2 shown]
	;;#ASMSTART
	v_dot2_f32_f16 v3, v7, v15, v3
	;;#ASMEND
	ds_read_b128 v[4:7], v67 offset:16
	ds_read_b128 v[8:11], v71 offset:3360
	;; [unrolled: 1-line block ×3, first 2 shown]
	s_waitcnt lgkmcnt(1)
	;;#ASMSTART
	v_dot2_f32_f16 v2, v4, v8, v2
	;;#ASMEND
	s_nop 0
	;;#ASMSTART
	v_dot2_f32_f16 v2, v5, v9, v2
	;;#ASMEND
	v_lshlrev_b32_e32 v60, 2, v66
	;;#ASMSTART
	v_dot2_f32_f16 v2, v6, v10, v2
	;;#ASMEND
	s_nop 0
	;;#ASMSTART
	v_dot2_f32_f16 v2, v7, v11, v2
	;;#ASMEND
	s_waitcnt lgkmcnt(0)
	;;#ASMSTART
	v_dot2_f32_f16 v3, v4, v12, v3
	;;#ASMEND
	s_nop 0
	;;#ASMSTART
	v_dot2_f32_f16 v3, v5, v13, v3
	;;#ASMEND
	s_nop 0
	;;#ASMSTART
	v_dot2_f32_f16 v3, v6, v14, v3
	;;#ASMEND
	s_nop 0
	;;#ASMSTART
	v_dot2_f32_f16 v3, v7, v15, v3
	;;#ASMEND
	ds_read_b128 v[4:7], v67 offset:32
	ds_read_b128 v[8:11], v71 offset:3376
	ds_read_b128 v[12:15], v71 offset:3536
	s_waitcnt lgkmcnt(1)
	;;#ASMSTART
	v_dot2_f32_f16 v2, v4, v8, v2
	;;#ASMEND
	s_nop 0
	;;#ASMSTART
	v_dot2_f32_f16 v2, v5, v9, v2
	;;#ASMEND
	s_nop 0
	;;#ASMSTART
	v_dot2_f32_f16 v2, v6, v10, v2
	;;#ASMEND
	s_nop 0
	;;#ASMSTART
	v_dot2_f32_f16 v2, v7, v11, v2
	;;#ASMEND
	s_waitcnt lgkmcnt(0)
	;;#ASMSTART
	v_dot2_f32_f16 v3, v4, v12, v3
	;;#ASMEND
	s_nop 0
	;;#ASMSTART
	v_dot2_f32_f16 v3, v5, v13, v3
	;;#ASMEND
	s_nop 0
	;;#ASMSTART
	v_dot2_f32_f16 v3, v6, v14, v3
	;;#ASMEND
	s_nop 0
	;;#ASMSTART
	v_dot2_f32_f16 v3, v7, v15, v3
	;;#ASMEND
	ds_read_b128 v[4:7], v67 offset:48
	ds_read_b128 v[8:11], v71 offset:3392
	ds_read_b128 v[12:15], v71 offset:3552
	s_waitcnt lgkmcnt(1)
	;;#ASMSTART
	v_dot2_f32_f16 v2, v4, v8, v2
	;;#ASMEND
	s_nop 0
	;;#ASMSTART
	v_dot2_f32_f16 v2, v5, v9, v2
	;;#ASMEND
	s_nop 0
	;; [unrolled: 35-line block ×3, first 2 shown]
	;;#ASMSTART
	v_dot2_f32_f16 v2, v6, v10, v2
	;;#ASMEND
	s_nop 0
	;;#ASMSTART
	v_dot2_f32_f16 v2, v7, v11, v2
	;;#ASMEND
	s_waitcnt lgkmcnt(0)
	;;#ASMSTART
	v_dot2_f32_f16 v3, v4, v12, v3
	;;#ASMEND
	v_add_u32_e32 v4, s35, v64
	;;#ASMSTART
	v_dot2_f32_f16 v3, v5, v13, v3
	;;#ASMEND
	v_ashrrev_i32_e32 v5, 31, v4
	;;#ASMSTART
	v_dot2_f32_f16 v3, v6, v14, v3
	;;#ASMEND
	v_lshl_add_u64 v[4:5], v[4:5], 1, s[38:39]
	;;#ASMSTART
	v_dot2_f32_f16 v3, v7, v15, v3
	;;#ASMEND
	flat_load_ushort v4, v[4:5]
	v_and_b32_e32 v5, 0x60, v59
	v_add_u32_e32 v94, 32, v5
	v_cmp_lt_i32_e64 s[10:11], v95, v94
	v_max_f32_e32 v6, v1, v1
	v_max_f32_e32 v7, v0, v0
	v_cndmask_b32_e64 v5, v59, v95, s[10:11]
	v_lshlrev_b32_e32 v8, 2, v5
	v_cmp_lt_i32_e64 s[10:11], v93, v94
	s_waitcnt lgkmcnt(0)
	s_barrier
	s_waitcnt vmcnt(0)
	v_cvt_f32_f16_e32 v4, v4
	v_pk_add_f32 v[2:3], v[2:3], v[4:5] op_sel_hi:[1,0]
	s_nop 0
	v_pk_add_f32 v[4:5], v[2:3], s[2:3] op_sel_hi:[1,0]
	s_nop 0
	v_max_f32_e32 v5, v6, v5
	v_max_f32_e32 v4, v7, v4
	ds_bpermute_b32 v6, v8, v5
	ds_bpermute_b32 v7, v8, v4
	v_cndmask_b32_e64 v8, v59, v93, s[10:11]
	v_lshlrev_b32_e32 v8, 2, v8
	v_cmp_lt_i32_e64 s[10:11], v92, v94
	s_waitcnt lgkmcnt(1)
	v_max_f32_e32 v6, v6, v6
	s_waitcnt lgkmcnt(0)
	v_max_f32_e32 v7, v7, v7
	v_max_f32_e32 v5, v5, v6
	v_max_f32_e32 v4, v4, v7
	ds_bpermute_b32 v6, v8, v5
	ds_bpermute_b32 v7, v8, v4
	v_cndmask_b32_e64 v8, v59, v92, s[10:11]
	v_lshlrev_b32_e32 v8, 2, v8
	v_cmp_lt_i32_e64 s[10:11], v91, v94
	s_waitcnt lgkmcnt(1)
	v_max_f32_e32 v6, v6, v6
	s_waitcnt lgkmcnt(0)
	v_max_f32_e32 v7, v7, v7
	;; [unrolled: 11-line block ×3, first 2 shown]
	v_max_f32_e32 v5, v5, v6
	v_max_f32_e32 v4, v4, v7
	ds_bpermute_b32 v6, v8, v5
	ds_bpermute_b32 v7, v8, v4
	v_cndmask_b32_e64 v8, v59, v90, s[10:11]
	v_lshlrev_b32_e32 v8, 2, v8
	s_mul_hi_i32 s11, s35, s37
	s_waitcnt lgkmcnt(1)
	v_max_f32_e32 v6, v6, v6
	s_waitcnt lgkmcnt(0)
	v_max_f32_e32 v7, v7, v7
	v_max_f32_e32 v5, v5, v6
	;; [unrolled: 1-line block ×3, first 2 shown]
	ds_bpermute_b32 v6, v8, v5
	ds_bpermute_b32 v7, v8, v4
	s_mul_i32 s10, s35, s37
	s_lshl_b64 s[10:11], s[10:11], 2
	s_add_u32 s12, s45, s10
	s_waitcnt lgkmcnt(1)
	v_max_f32_e32 v6, v6, v6
	s_waitcnt lgkmcnt(0)
	v_max_f32_e32 v7, v7, v7
	v_max_f32_e32 v75, v5, v6
	;; [unrolled: 1-line block ×3, first 2 shown]
	v_pk_add_f32 v[2:3], v[2:3], v[74:75] neg_lo:[0,1] neg_hi:[0,1]
	s_addc_u32 s13, s46, s11
	v_mul_f32_e32 v4, 0x3fb8aa3b, v3
	v_mul_f32_e32 v5, 0x3fb8aa3b, v2
	v_fma_f32 v6, v3, s47, -v4
	v_rndne_f32_e32 v7, v4
	v_fma_f32 v8, v2, s47, -v5
	v_rndne_f32_e32 v9, v5
	v_fmac_f32_e32 v6, 0x32a5705f, v3
	v_sub_f32_e32 v4, v4, v7
	v_fmac_f32_e32 v8, 0x32a5705f, v2
	v_sub_f32_e32 v5, v5, v9
	v_add_f32_e32 v4, v4, v6
	v_cvt_i32_f32_e32 v7, v7
	v_add_f32_e32 v5, v5, v8
	v_exp_f32_e32 v4, v4
	v_cvt_i32_f32_e32 v9, v9
	v_exp_f32_e32 v5, v5
	v_cmp_ngt_f32_e64 s[10:11], s48, v3
	v_ldexp_f32 v4, v4, v7
	v_ldexp_f32 v5, v5, v9
	v_cndmask_b32_e64 v4, 0, v4, s[10:11]
	v_cmp_ngt_f32_e64 s[10:11], s48, v2
	s_nop 1
	v_cndmask_b32_e64 v5, 0, v5, s[10:11]
	v_cmp_nlt_f32_e64 s[10:11], s49, v3
	s_nop 1
	v_cndmask_b32_e64 v77, v89, v4, s[10:11]
	v_cmp_nlt_f32_e64 s[10:11], s49, v2
	v_cvt_f16_f32_e32 v2, v77
	s_nop 0
	v_cndmask_b32_e64 v76, v89, v5, s[10:11]
	v_cvt_f16_f32_e32 v3, v76
	v_pack_b32_f16 v2, v3, v2
	ds_write_b32 v85, v2
	s_and_saveexec_b64 s[10:11], s[6:7]
	s_cbranch_execz .LBB40_21
; %bb.20:                               ;   in Loop: Header=BB40_11 Depth=1
	v_lshl_add_u64 v[2:3], v[68:69], 2, s[12:13]
	v_lshl_add_u64 v[2:3], v[2:3], 0, v[60:61]
	global_load_dwordx4 v[2:5], v[2:3], off offset:128
	s_waitcnt vmcnt(0)
	ds_write_b128 v87, v[2:5]
.LBB40_21:                              ;   in Loop: Header=BB40_11 Depth=1
	s_or_b64 exec, exec, s[10:11]
	v_lshlrev_b32_e32 v78, 2, v70
	s_and_saveexec_b64 s[10:11], s[8:9]
	s_cbranch_execz .LBB40_23
; %bb.22:                               ;   in Loop: Header=BB40_11 Depth=1
	v_lshl_add_u64 v[2:3], v[72:73], 2, s[12:13]
	v_mov_b32_e32 v79, v61
	v_lshl_add_u64 v[2:3], v[2:3], 0, v[78:79]
	global_load_dwordx4 v[2:5], v[2:3], off
	s_waitcnt vmcnt(0)
	ds_write_b128 v88, v[2:5]
.LBB40_23:                              ;   in Loop: Header=BB40_11 Depth=1
	s_or_b64 exec, exec, s[10:11]
	v_pk_add_f32 v[80:81], v[0:1], v[74:75] neg_lo:[0,1] neg_hi:[0,1]
	s_waitcnt lgkmcnt(0)
	s_barrier
	ds_read2_b64 v[44:47], v86 offset1:20
	ds_read_b128 v[36:39], v84
	ds_read_b128 v[20:23], v84 offset:16
	ds_read_b128 v[4:7], v84 offset:32
	;; [unrolled: 1-line block ×3, first 2 shown]
	ds_read2_b64 v[40:43], v86 offset0:40 offset1:60
	ds_read2_b64 v[32:35], v86 offset0:80 offset1:100
	;; [unrolled: 1-line block ×5, first 2 shown]
	v_add_u32_e32 v97, 0x400, v86
	v_add_u32_e32 v96, 0x800, v86
	ds_read2_b64 v[12:15], v97 offset0:112 offset1:132
	ds_read2_b64 v[8:11], v96 offset0:24 offset1:44
	s_or_b32 s28, s35, 16
	s_mul_hi_i32 s29, s28, s37
	s_mul_i32 s28, s28, s37
	s_lshl_b64 s[28:29], s[28:29], 2
	s_add_u32 s28, s45, s28
	v_cmp_ngt_f32_e64 s[14:15], s48, v81
	v_cmp_nlt_f32_e64 s[16:17], s49, v81
	v_cmp_ngt_f32_e64 s[10:11], s48, v80
	v_cmp_nlt_f32_e64 s[12:13], s49, v80
	s_addc_u32 s29, s46, s29
	s_waitcnt lgkmcnt(0)
	s_barrier
	s_and_saveexec_b64 s[40:41], s[6:7]
	s_cbranch_execz .LBB40_25
; %bb.24:                               ;   in Loop: Header=BB40_11 Depth=1
	v_lshl_add_u64 v[98:99], v[68:69], 2, s[28:29]
	v_lshl_add_u64 v[98:99], v[98:99], 0, v[60:61]
	global_load_dwordx4 v[98:101], v[98:99], off offset:128
	s_waitcnt vmcnt(0)
	ds_write_b128 v87, v[98:101]
.LBB40_25:                              ;   in Loop: Header=BB40_11 Depth=1
	s_or_b64 exec, exec, s[40:41]
	v_mul_f32_e32 v60, 0x3fb8aa3b, v81
	v_fma_f32 v79, v81, s47, -v60
	v_fmac_f32_e32 v79, 0x32a5705f, v81
	v_rndne_f32_e32 v81, v60
	v_sub_f32_e32 v60, v60, v81
	v_add_f32_e32 v60, v60, v79
	v_cvt_i32_f32_e32 v79, v81
	v_mul_f32_e32 v81, 0x3fb8aa3b, v80
	v_fma_f32 v98, v80, s47, -v81
	v_fmac_f32_e32 v98, 0x32a5705f, v80
	v_rndne_f32_e32 v80, v81
	v_exp_f32_e32 v60, v60
	v_sub_f32_e32 v81, v81, v80
	v_add_f32_e32 v81, v81, v98
	v_exp_f32_e32 v98, v81
	v_cvt_i32_f32_e32 v80, v80
	v_ldexp_f32 v60, v60, v79
	v_cndmask_b32_e64 v60, 0, v60, s[14:15]
	v_cndmask_b32_e64 v81, v89, v60, s[16:17]
	v_ldexp_f32 v60, v98, v80
	v_cndmask_b32_e64 v60, 0, v60, s[10:11]
	v_cndmask_b32_e64 v80, v89, v60, s[12:13]
	s_and_saveexec_b64 s[10:11], s[8:9]
	s_cbranch_execz .LBB40_27
; %bb.26:                               ;   in Loop: Header=BB40_11 Depth=1
	v_lshl_add_u64 v[98:99], v[72:73], 2, s[28:29]
	v_mov_b32_e32 v79, v61
	v_lshl_add_u64 v[78:79], v[98:99], 0, v[78:79]
	global_load_dwordx4 v[98:101], v[78:79], off
	s_waitcnt vmcnt(0)
	ds_write_b128 v88, v[98:101]
.LBB40_27:                              ;   in Loop: Header=BB40_11 Depth=1
	s_or_b64 exec, exec, s[10:11]
	v_cvt_f16_f32_e32 v60, v81
	v_cvt_f16_f32_e32 v78, v80
	v_pk_mul_f16 v79, v44, v36 op_sel_hi:[1,0]
	v_pk_mul_f16 v44, v44, v36 op_sel:[0,1]
	v_pk_mul_f16 v53, v60, v53 op_sel_hi:[0,1]
	v_pk_fma_f16 v44, v60, v51, v44 op_sel_hi:[0,1,1]
	v_pk_mul_f16 v51, v45, v36 op_sel_hi:[1,0]
	v_pk_fma_f16 v65, v78, v65, v79 op_sel_hi:[0,1,1]
	v_pk_fma_f16 v51, v78, v52, v51 op_sel_hi:[0,1,1]
	v_pk_fma_f16 v36, v45, v36, v53 op_sel:[0,1,0]
	v_pk_fma_f16 v45, v46, v37, v65 op_sel_hi:[1,0,1]
	v_pk_fma_f16 v44, v46, v37, v44 op_sel:[0,1,0]
	;; [unrolled: 2-line block ×31, first 2 shown]
	s_waitcnt lgkmcnt(0)
	s_barrier
	ds_read2_b64 v[0:3], v86 offset1:20
	ds_read_b128 v[4:7], v84 offset:64
	ds_read_b128 v[8:11], v84 offset:80
	;; [unrolled: 1-line block ×4, first 2 shown]
	v_pk_fma_f32 v[54:55], v[54:55], v[80:81], v[76:77]
	s_waitcnt lgkmcnt(3)
	v_pk_fma_f16 v24, v0, v4, v20 op_sel_hi:[1,0,1]
	v_pk_fma_f16 v0, v0, v4, v21 op_sel:[0,1,0]
	v_pk_fma_f16 v25, v1, v4, v22 op_sel_hi:[1,0,1]
	v_pk_fma_f16 v1, v1, v4, v23 op_sel:[0,1,0]
	ds_read2_b64 v[20:23], v86 offset0:40 offset1:60
	v_pk_fma_f16 v4, v2, v5, v24 op_sel_hi:[1,0,1]
	v_pk_fma_f16 v0, v2, v5, v0 op_sel:[0,1,0]
	v_pk_fma_f16 v2, v3, v5, v25 op_sel_hi:[1,0,1]
	v_pk_fma_f16 v1, v3, v5, v1 op_sel:[0,1,0]
	s_waitcnt lgkmcnt(0)
	v_pk_fma_f16 v4, v20, v6, v4 op_sel_hi:[1,0,1]
	v_pk_fma_f16 v5, v20, v6, v0 op_sel:[0,1,0]
	v_pk_fma_f16 v20, v21, v6, v2 op_sel_hi:[1,0,1]
	v_pk_fma_f16 v6, v21, v6, v1 op_sel:[0,1,0]
	ds_read2_b64 v[0:3], v86 offset0:80 offset1:100
	v_pk_fma_f16 v4, v22, v7, v4 op_sel_hi:[1,0,1]
	v_pk_fma_f16 v5, v22, v7, v5 op_sel:[0,1,0]
	v_pk_fma_f16 v20, v23, v7, v20 op_sel_hi:[1,0,1]
	v_pk_fma_f16 v6, v23, v7, v6 op_sel:[0,1,0]
	;; [unrolled: 10-line block ×6, first 2 shown]
	s_waitcnt lgkmcnt(0)
	v_pk_fma_f16 v8, v0, v16, v8 op_sel_hi:[1,0,1]
	v_pk_fma_f16 v0, v0, v16, v4 op_sel:[0,1,0]
	v_pk_fma_f16 v9, v1, v16, v6 op_sel_hi:[1,0,1]
	v_pk_fma_f16 v1, v1, v16, v5 op_sel:[0,1,0]
	ds_read2_b64 v[4:7], v96 offset0:24 offset1:44
	s_waitcnt lgkmcnt(0)
	s_barrier
	s_load_dword s10, s[22:23], 0x4
	v_pk_fma_f16 v8, v2, v17, v8 op_sel_hi:[1,0,1]
	v_pk_fma_f16 v0, v2, v17, v0 op_sel:[0,1,0]
	v_pk_fma_f16 v2, v3, v17, v9 op_sel_hi:[1,0,1]
	v_pk_fma_f16 v1, v3, v17, v1 op_sel:[0,1,0]
	s_waitcnt lgkmcnt(0)
	s_lshl_b32 s10, s10, 5
	v_pk_fma_f16 v3, v4, v18, v8 op_sel_hi:[1,0,1]
	v_pk_fma_f16 v0, v4, v18, v0 op_sel:[0,1,0]
	v_pk_fma_f16 v2, v5, v18, v2 op_sel_hi:[1,0,1]
	v_pk_fma_f16 v1, v5, v18, v1 op_sel:[0,1,0]
	s_add_i32 s35, s10, s35
	v_pk_fma_f16 v65, v6, v19, v3 op_sel_hi:[1,0,1]
	v_pk_fma_f16 v51, v6, v19, v0 op_sel:[0,1,0]
	v_pk_fma_f16 v52, v7, v19, v2 op_sel_hi:[1,0,1]
	s_cmp_ge_i32 s35, s36
	v_pk_fma_f16 v53, v7, v19, v1 op_sel:[0,1,0]
	s_cbranch_scc1 .LBB40_29
; %bb.28:                               ;   in Loop: Header=BB40_11 Depth=1
	v_mov_b32_e32 v0, v74
	v_mov_b32_e32 v1, v75
	s_branch .LBB40_11
.LBB40_29:
	v_cmp_lt_i32_e32 vcc, v95, v94
	s_cmp_lg_u64 s[20:21], 0
	s_cselect_b64 s[4:5], -1, 0
	v_cndmask_b32_e32 v0, v59, v95, vcc
	v_lshlrev_b32_e32 v1, 2, v0
	ds_bpermute_b32 v0, v1, v54
	ds_bpermute_b32 v1, v1, v55
	v_cmp_lt_i32_e32 vcc, v93, v94
	s_cmp_eq_u32 s3, 0
	s_cselect_b64 s[6:7], -1, 0
	v_cndmask_b32_e32 v2, v59, v93, vcc
	v_lshlrev_b32_e32 v3, 2, v2
	s_waitcnt lgkmcnt(0)
	v_pk_add_f32 v[0:1], v[54:55], v[0:1]
	ds_bpermute_b32 v2, v3, v0
	ds_bpermute_b32 v3, v3, v1
	v_cmp_lt_i32_e32 vcc, v92, v94
	s_and_b64 s[4:5], s[6:7], s[4:5]
	s_waitcnt lgkmcnt(0)
	v_pk_add_f32 v[0:1], v[0:1], v[2:3]
	v_cndmask_b32_e32 v4, v59, v92, vcc
	v_lshlrev_b32_e32 v4, 2, v4
	ds_bpermute_b32 v2, v4, v0
	ds_bpermute_b32 v3, v4, v1
	v_cmp_lt_i32_e32 vcc, v91, v94
	s_waitcnt lgkmcnt(0)
	v_pk_add_f32 v[0:1], v[0:1], v[2:3]
	v_cndmask_b32_e32 v4, v59, v91, vcc
	v_lshlrev_b32_e32 v4, 2, v4
	ds_bpermute_b32 v2, v4, v0
	ds_bpermute_b32 v3, v4, v1
	v_cmp_lt_i32_e32 vcc, v90, v94
	s_waitcnt lgkmcnt(0)
	v_pk_add_f32 v[0:1], v[0:1], v[2:3]
	v_cndmask_b32_e32 v4, v59, v90, vcc
	v_lshlrev_b32_e32 v4, 2, v4
	ds_bpermute_b32 v2, v4, v0
	ds_bpermute_b32 v3, v4, v1
	s_and_b64 vcc, exec, s[4:5]
	s_waitcnt lgkmcnt(0)
	v_pk_add_f32 v[0:1], v[0:1], v[2:3]
	s_cbranch_vccz .LBB40_31
; %bb.30:
	s_ashr_i32 s35, s34, 31
	s_lshl_b64 s[4:5], s[34:35], 2
	s_add_u32 s4, s20, s4
	s_addc_u32 s5, s21, s5
	v_mov_b32_e32 v2, 0
	global_load_dwordx2 v[2:3], v2, s[4:5]
	v_max_f32_e32 v4, v75, v75
	v_max_f32_e32 v6, v74, v74
	s_mov_b32 s2, 0x3fb8aa3b
	s_mov_b32 s4, 0xc2ce8ed0
	;; [unrolled: 1-line block ×3, first 2 shown]
	v_mov_b32_e32 v8, 0x7f800000
	s_waitcnt vmcnt(0)
	v_max_f32_e32 v5, v3, v3
	v_max_f32_e32 v7, v2, v2
	;; [unrolled: 1-line block ×4, first 2 shown]
	v_pk_add_f32 v[6:7], v[74:75], v[4:5] neg_lo:[0,1] neg_hi:[0,1]
	v_pk_add_f32 v[2:3], v[2:3], v[4:5] neg_lo:[0,1] neg_hi:[0,1]
	v_mul_f32_e32 v9, 0x3fb8aa3b, v7
	v_mul_f32_e32 v10, 0x3fb8aa3b, v6
	v_fma_f32 v13, v7, s2, -v9
	v_rndne_f32_e32 v14, v9
	v_mul_f32_e32 v11, 0x3fb8aa3b, v3
	v_fma_f32 v15, v6, s2, -v10
	v_rndne_f32_e32 v16, v10
	v_fmac_f32_e32 v13, 0x32a5705f, v7
	v_sub_f32_e32 v9, v9, v14
	v_mul_f32_e32 v12, 0x3fb8aa3b, v2
	v_fma_f32 v17, v3, s2, -v11
	v_rndne_f32_e32 v18, v11
	v_fmac_f32_e32 v15, 0x32a5705f, v6
	v_sub_f32_e32 v10, v10, v16
	v_add_f32_e32 v9, v9, v13
	v_fma_f32 v19, v2, s2, -v12
	v_rndne_f32_e32 v20, v12
	v_cvt_i32_f32_e32 v14, v14
	v_fmac_f32_e32 v17, 0x32a5705f, v3
	v_sub_f32_e32 v11, v11, v18
	v_add_f32_e32 v10, v10, v15
	v_exp_f32_e32 v9, v9
	v_cvt_i32_f32_e32 v16, v16
	v_fmac_f32_e32 v19, 0x32a5705f, v2
	v_sub_f32_e32 v12, v12, v20
	v_add_f32_e32 v11, v11, v17
	v_exp_f32_e32 v10, v10
	v_cvt_i32_f32_e32 v18, v18
	v_add_f32_e32 v12, v12, v19
	v_exp_f32_e32 v11, v11
	v_cvt_i32_f32_e32 v20, v20
	v_exp_f32_e32 v12, v12
	v_ldexp_f32 v9, v9, v14
	v_cmp_ngt_f32_e32 vcc, s4, v7
	v_ldexp_f32 v10, v10, v16
	v_ldexp_f32 v11, v11, v18
	v_cndmask_b32_e32 v9, 0, v9, vcc
	v_cmp_ngt_f32_e32 vcc, s4, v6
	v_ldexp_f32 v12, v12, v20
	v_mov_b64_e32 v[74:75], v[4:5]
	v_cndmask_b32_e32 v10, 0, v10, vcc
	v_cmp_ngt_f32_e32 vcc, s4, v3
	s_nop 1
	v_cndmask_b32_e32 v11, 0, v11, vcc
	v_cmp_ngt_f32_e32 vcc, s4, v2
	s_nop 1
	v_cndmask_b32_e32 v12, 0, v12, vcc
	v_cmp_nlt_f32_e32 vcc, s5, v7
	s_nop 1
	v_cndmask_b32_e32 v7, v8, v9, vcc
	v_cmp_nlt_f32_e32 vcc, s5, v6
	;; [unrolled: 3-line block ×3, first 2 shown]
	v_cvt_f16_f32_e32 v9, v6
	v_pk_mul_f16 v65, v9, v65 op_sel_hi:[0,1]
	v_cndmask_b32_e32 v3, v8, v11, vcc
	v_cmp_nlt_f32_e32 vcc, s5, v2
	v_pk_mul_f16 v52, v9, v52 op_sel_hi:[0,1]
	s_nop 0
	v_cndmask_b32_e32 v2, v8, v12, vcc
	v_cvt_f16_f32_e32 v8, v7
	v_pk_fma_f32 v[0:1], v[0:1], v[6:7], v[2:3]
	v_pk_mul_f16 v51, v8, v51 op_sel_hi:[0,1]
	v_pk_mul_f16 v53, v8, v53 op_sel_hi:[0,1]
.LBB40_31:
	v_cmp_gt_i32_e32 vcc, s30, v49
	s_and_saveexec_b64 s[4:5], vcc
	s_cbranch_execz .LBB40_41
; %bb.32:
	s_load_dword s6, s[0:1], 0xd4
	v_mov_b32_e32 v4, 1.0
	s_waitcnt lgkmcnt(0)
	s_cmp_lg_u32 s6, 1
	s_cselect_b64 s[4:5], -1, 0
	s_cmp_eq_u32 s6, 1
	s_cselect_b64 s[0:1], -1, 0
	s_and_b64 vcc, exec, s[4:5]
	s_cbranch_vccnz .LBB40_34
; %bb.33:
	v_div_scale_f32 v2, s[8:9], v0, v0, 1.0
	v_rcp_f32_e32 v3, v2
	v_div_scale_f32 v4, vcc, 1.0, v0, 1.0
	v_fma_f32 v5, -v2, v3, 1.0
	v_fmac_f32_e32 v3, v5, v3
	v_mul_f32_e32 v5, v4, v3
	v_fma_f32 v6, -v2, v5, v4
	v_fmac_f32_e32 v5, v6, v3
	v_fma_f32 v2, -v2, v5, v4
	v_div_fmas_f32 v2, v2, v3, v5
	v_div_fixup_f32 v4, v2, v0, 1.0
.LBB40_34:
	s_mul_i32 s33, s33, s30
	v_add_u32_e32 v2, s33, v49
	v_mul_lo_u32 v2, v2, s31
	v_add_u32_e32 v2, s34, v2
	v_mul_lo_u32 v2, s6, v2
	v_add_u32_e32 v2, s3, v2
	s_and_saveexec_b64 s[2:3], s[18:19]
	s_cbranch_execz .LBB40_36
; %bb.35:
	v_cvt_f32_f16_sdwa v9, v65 dst_sel:DWORD dst_unused:UNUSED_PAD src0_sel:WORD_1
	v_cvt_f32_f16_e32 v8, v65
	v_cvt_f32_f16_sdwa v11, v52 dst_sel:DWORD dst_unused:UNUSED_PAD src0_sel:WORD_1
	v_cvt_f32_f16_e32 v10, v52
	s_movk_i32 s7, 0x50
	v_mad_u64_u32 v[6:7], s[8:9], v2, s7, v[48:49]
	v_mov_b32_e32 v7, 0
	v_lshl_add_u64 v[12:13], v[6:7], 2, s[24:25]
	v_pk_mul_f32 v[6:7], v[4:5], v[8:9] op_sel_hi:[0,1]
	v_pk_mul_f32 v[8:9], v[4:5], v[10:11] op_sel_hi:[0,1]
	global_store_dwordx4 v[12:13], v[6:9], off
.LBB40_36:
	s_or_b64 exec, exec, s[2:3]
	v_cmp_eq_u32_e32 vcc, 0, v50
	s_and_b64 s[2:3], vcc, s[4:5]
	s_and_saveexec_b64 s[4:5], s[2:3]
	s_cbranch_execnz .LBB40_42
; %bb.37:
	s_or_b64 exec, exec, s[4:5]
	s_andn2_b64 vcc, exec, s[0:1]
	v_mov_b32_e32 v0, 1.0
	s_cbranch_vccz .LBB40_43
.LBB40_38:
	v_add_u32_e32 v2, s6, v2
	s_and_saveexec_b64 s[0:1], s[18:19]
	s_cbranch_execnz .LBB40_44
.LBB40_39:
	s_or_b64 exec, exec, s[0:1]
	s_and_b64 exec, exec, s[2:3]
	s_cbranch_execz .LBB40_41
.LBB40_40:
	v_ashrrev_i32_e32 v3, 31, v2
	v_lshl_add_u64 v[2:3], v[2:3], 3, s[26:27]
	v_mov_b32_e32 v0, v75
	global_store_dwordx2 v[2:3], v[0:1], off
.LBB40_41:
	s_endpgm
.LBB40_42:
	v_ashrrev_i32_e32 v3, 31, v2
	v_lshl_add_u64 v[4:5], v[2:3], 3, s[26:27]
	v_mov_b32_e32 v6, v74
	v_mov_b32_e32 v7, v0
	global_store_dwordx2 v[4:5], v[6:7], off
	s_or_b64 exec, exec, s[4:5]
	s_andn2_b64 vcc, exec, s[0:1]
	v_mov_b32_e32 v0, 1.0
	s_cbranch_vccnz .LBB40_38
.LBB40_43:
	v_div_scale_f32 v0, s[0:1], v1, v1, 1.0
	v_rcp_f32_e32 v3, v0
	v_div_scale_f32 v4, vcc, 1.0, v1, 1.0
	v_fma_f32 v5, -v0, v3, 1.0
	v_fmac_f32_e32 v3, v5, v3
	v_mul_f32_e32 v5, v4, v3
	v_fma_f32 v6, -v0, v5, v4
	v_fmac_f32_e32 v5, v6, v3
	v_fma_f32 v0, -v0, v5, v4
	v_div_fmas_f32 v0, v0, v3, v5
	v_div_fixup_f32 v0, v0, v1, 1.0
	v_add_u32_e32 v2, s6, v2
	s_and_saveexec_b64 s[0:1], s[18:19]
	s_cbranch_execz .LBB40_39
.LBB40_44:
	v_cvt_f32_f16_sdwa v7, v51 dst_sel:DWORD dst_unused:UNUSED_PAD src0_sel:WORD_1
	v_cvt_f32_f16_e32 v6, v51
	v_cvt_f32_f16_sdwa v9, v53 dst_sel:DWORD dst_unused:UNUSED_PAD src0_sel:WORD_1
	v_cvt_f32_f16_e32 v8, v53
	s_movk_i32 s4, 0x50
	v_mad_u64_u32 v[4:5], s[4:5], v2, s4, v[48:49]
	v_mov_b32_e32 v5, 0
	v_lshl_add_u64 v[10:11], v[4:5], 2, s[24:25]
	v_pk_mul_f32 v[4:5], v[0:1], v[6:7] op_sel_hi:[0,1]
	v_pk_mul_f32 v[6:7], v[0:1], v[8:9] op_sel_hi:[0,1]
	global_store_dwordx4 v[10:11], v[4:7], off
	s_or_b64 exec, exec, s[0:1]
	s_and_b64 exec, exec, s[2:3]
	s_cbranch_execnz .LBB40_40
	s_branch .LBB40_41
	.section	.rodata,"a",@progbits
	.p2align	6, 0x0
	.amdhsa_kernel _ZL15flash_attn_tileILi80ELi80ELi8ELi2ELb0EEvPKcS1_S1_S1_S1_PKiPfP15HIP_vector_typeIfLj2EEffffjfiS5_IjLj3EEiiiiiiiiiiiliiliiiiil
		.amdhsa_group_segment_fixed_size 6848
		.amdhsa_private_segment_fixed_size 0
		.amdhsa_kernarg_size 464
		.amdhsa_user_sgpr_count 2
		.amdhsa_user_sgpr_dispatch_ptr 0
		.amdhsa_user_sgpr_queue_ptr 0
		.amdhsa_user_sgpr_kernarg_segment_ptr 1
		.amdhsa_user_sgpr_dispatch_id 0
		.amdhsa_user_sgpr_kernarg_preload_length 0
		.amdhsa_user_sgpr_kernarg_preload_offset 0
		.amdhsa_user_sgpr_private_segment_size 0
		.amdhsa_uses_dynamic_stack 0
		.amdhsa_enable_private_segment 0
		.amdhsa_system_sgpr_workgroup_id_x 1
		.amdhsa_system_sgpr_workgroup_id_y 1
		.amdhsa_system_sgpr_workgroup_id_z 1
		.amdhsa_system_sgpr_workgroup_info 0
		.amdhsa_system_vgpr_workitem_id 1
		.amdhsa_next_free_vgpr 102
		.amdhsa_next_free_sgpr 50
		.amdhsa_accum_offset 104
		.amdhsa_reserve_vcc 1
		.amdhsa_float_round_mode_32 0
		.amdhsa_float_round_mode_16_64 0
		.amdhsa_float_denorm_mode_32 3
		.amdhsa_float_denorm_mode_16_64 3
		.amdhsa_dx10_clamp 1
		.amdhsa_ieee_mode 1
		.amdhsa_fp16_overflow 0
		.amdhsa_tg_split 0
		.amdhsa_exception_fp_ieee_invalid_op 0
		.amdhsa_exception_fp_denorm_src 0
		.amdhsa_exception_fp_ieee_div_zero 0
		.amdhsa_exception_fp_ieee_overflow 0
		.amdhsa_exception_fp_ieee_underflow 0
		.amdhsa_exception_fp_ieee_inexact 0
		.amdhsa_exception_int_div_zero 0
	.end_amdhsa_kernel
	.section	.text._ZL15flash_attn_tileILi80ELi80ELi8ELi2ELb0EEvPKcS1_S1_S1_S1_PKiPfP15HIP_vector_typeIfLj2EEffffjfiS5_IjLj3EEiiiiiiiiiiiliiliiiiil,"axG",@progbits,_ZL15flash_attn_tileILi80ELi80ELi8ELi2ELb0EEvPKcS1_S1_S1_S1_PKiPfP15HIP_vector_typeIfLj2EEffffjfiS5_IjLj3EEiiiiiiiiiiiliiliiiiil,comdat
.Lfunc_end40:
	.size	_ZL15flash_attn_tileILi80ELi80ELi8ELi2ELb0EEvPKcS1_S1_S1_S1_PKiPfP15HIP_vector_typeIfLj2EEffffjfiS5_IjLj3EEiiiiiiiiiiiliiliiiiil, .Lfunc_end40-_ZL15flash_attn_tileILi80ELi80ELi8ELi2ELb0EEvPKcS1_S1_S1_S1_PKiPfP15HIP_vector_typeIfLj2EEffffjfiS5_IjLj3EEiiiiiiiiiiiliiliiiiil
                                        ; -- End function
	.section	.AMDGPU.csdata,"",@progbits
; Kernel info:
; codeLenInByte = 6616
; NumSgprs: 56
; NumVgprs: 102
; NumAgprs: 0
; TotalNumVgprs: 102
; ScratchSize: 0
; MemoryBound: 0
; FloatMode: 240
; IeeeMode: 1
; LDSByteSize: 6848 bytes/workgroup (compile time only)
; SGPRBlocks: 6
; VGPRBlocks: 12
; NumSGPRsForWavesPerEU: 56
; NumVGPRsForWavesPerEU: 102
; AccumOffset: 104
; Occupancy: 4
; WaveLimiterHint : 1
; COMPUTE_PGM_RSRC2:SCRATCH_EN: 0
; COMPUTE_PGM_RSRC2:USER_SGPR: 2
; COMPUTE_PGM_RSRC2:TRAP_HANDLER: 0
; COMPUTE_PGM_RSRC2:TGID_X_EN: 1
; COMPUTE_PGM_RSRC2:TGID_Y_EN: 1
; COMPUTE_PGM_RSRC2:TGID_Z_EN: 1
; COMPUTE_PGM_RSRC2:TIDIG_COMP_CNT: 1
; COMPUTE_PGM_RSRC3_GFX90A:ACCUM_OFFSET: 25
; COMPUTE_PGM_RSRC3_GFX90A:TG_SPLIT: 0
	.section	.text._ZL33flash_attn_stream_k_fixup_uniformILi80ELi8ELi2EEvPfPK15HIP_vector_typeIfLj2EEiiiiiiS1_IjLj3EES5_S5_,"axG",@progbits,_ZL33flash_attn_stream_k_fixup_uniformILi80ELi8ELi2EEvPfPK15HIP_vector_typeIfLj2EEiiiiiiS1_IjLj3EES5_S5_,comdat
	.globl	_ZL33flash_attn_stream_k_fixup_uniformILi80ELi8ELi2EEvPfPK15HIP_vector_typeIfLj2EEiiiiiiS1_IjLj3EES5_S5_ ; -- Begin function _ZL33flash_attn_stream_k_fixup_uniformILi80ELi8ELi2EEvPfPK15HIP_vector_typeIfLj2EEiiiiiiS1_IjLj3EES5_S5_
	.p2align	8
	.type	_ZL33flash_attn_stream_k_fixup_uniformILi80ELi8ELi2EEvPfPK15HIP_vector_typeIfLj2EEiiiiiiS1_IjLj3EES5_S5_,@function
_ZL33flash_attn_stream_k_fixup_uniformILi80ELi8ELi2EEvPfPK15HIP_vector_typeIfLj2EEiiiiiiS1_IjLj3EES5_S5_: ; @_ZL33flash_attn_stream_k_fixup_uniformILi80ELi8ELi2EEvPfPK15HIP_vector_typeIfLj2EEiiiiiiS1_IjLj3EES5_S5_
; %bb.0:
	s_load_dwordx8 s[8:15], s[0:1], 0x1c
	s_load_dwordx2 s[6:7], s[0:1], 0x10
	s_load_dwordx4 s[16:19], s[0:1], 0x3c
	s_waitcnt lgkmcnt(0)
	s_mul_hi_u32 s5, s11, s2
	s_add_i32 s5, s2, s5
	s_lshr_b32 s5, s5, s12
	s_mul_i32 s11, s5, s13
	s_sub_i32 s12, s2, s11
	s_mul_hi_u32 s11, s12, s14
	s_add_i32 s11, s12, s11
	s_lshr_b32 s11, s11, s15
	s_mul_i32 s13, s11, s16
	s_sub_i32 s12, s12, s13
	;; [unrolled: 5-line block ×3, first 2 shown]
	s_lshl_b32 s12, s16, 3
	s_lshl_b32 s17, s13, 1
	s_add_i32 s12, s12, s3
	s_cmp_lt_i32 s12, s6
	s_cselect_b64 s[12:13], -1, 0
	s_add_i32 s17, s17, s4
	s_cmp_lt_i32 s17, s9
	s_cselect_b64 s[14:15], -1, 0
	s_and_b64 s[12:13], s[12:13], s[14:15]
	s_andn2_b64 vcc, exec, s[12:13]
	s_cbranch_vccnz .LBB41_6
; %bb.1:
	s_load_dwordx4 s[12:15], s[0:1], 0x0
	s_mul_i32 s0, s5, s6
	s_mul_i32 s11, s11, s9
	s_add_i32 s0, s0, s3
	s_mul_i32 s0, s0, s7
	s_add_i32 s5, s17, s11
	;; [unrolled: 2-line block ×3, first 2 shown]
	s_mulk_i32 s1, 0x280
	s_mulk_i32 s0, 0x50
	s_add_i32 s0, s0, s1
	v_add_u32_e32 v4, s0, v0
	s_waitcnt lgkmcnt(0)
	v_mov_b32_e32 v2, s12
	v_mov_b32_e32 v3, s13
	v_ashrrev_i32_e32 v5, 31, v4
	v_lshl_add_u64 v[2:3], v[4:5], 2, v[2:3]
	global_load_dword v7, v[2:3], off
	s_mul_i32 s5, s2, s10
	s_lshl_b32 s11, s3, 1
	s_add_i32 s9, s5, s10
	s_add_i32 s0, s11, s4
	s_lshl_b32 s1, s9, 4
	s_add_i32 s0, s0, s1
	s_add_i32 s0, s0, -16
	s_ashr_i32 s1, s0, 31
	s_lshl_b64 s[0:1], s[0:1], 3
	s_add_u32 s0, s14, s0
	s_addc_u32 s1, s15, s1
	s_load_dword s12, s[0:1], 0x4
	s_add_i32 s6, s9, -2
	s_cmp_lt_i32 s6, s5
	s_cbranch_scc1 .LBB41_4
; %bb.2:
	s_lshl_b32 s6, s8, 6
	s_ashr_i32 s7, s6, 31
	s_lshl_b64 s[6:7], s[6:7], 2
	s_add_u32 s6, s14, s6
	s_addc_u32 s7, s15, s7
	s_add_i32 s2, s2, 1
	s_load_dword s0, s[0:1], 0x0
	s_mul_i32 s1, s10, s2
	s_lshl_b32 s2, s1, 4
	s_add_i32 s2, s4, s2
	s_mulk_i32 s3, 0xa0
	s_mulk_i32 s4, 0x50
	s_lshl_b32 s8, s8, 4
	s_mulk_i32 s1, 0x500
	s_add_i32 s3, s4, s3
	s_add_i32 s2, s2, s8
	s_add_i32 s3, s3, s1
	s_add_i32 s2, s2, s11
	v_add_u32_e32 v0, s3, v0
	s_add_i32 s9, s9, -1
	s_sub_i32 s2, s2, 32
	v_add_u32_e32 v0, 0xfffff600, v0
	s_waitcnt lgkmcnt(0)
	v_mov_b32_e32 v6, s12
	v_mov_b32_e32 v5, s0
	s_mov_b32 s4, 0x3fb8aa3b
	s_mov_b32 s8, 0xc2ce8ed0
	s_mov_b32 s10, 0x42b17218
	v_mov_b32_e32 v4, 0x7f800000
	s_mov_b32 s11, 0xc1a00000
.LBB41_3:                               ; =>This Inner Loop Header: Depth=1
	v_ashrrev_i32_e32 v1, 31, v0
	v_lshl_add_u64 v[8:9], v[0:1], 2, s[6:7]
	global_load_dword v1, v[8:9], off
	s_ashr_i32 s3, s2, 31
	s_lshl_b64 s[0:1], s[2:3], 3
	s_add_u32 s0, s14, s0
	s_addc_u32 s1, s15, s1
	s_load_dwordx2 s[12:13], s[0:1], 0x0
	s_waitcnt vmcnt(1)
	v_mov_b32_e32 v8, v7
	v_max_f32_e32 v7, v5, v5
	v_mov_b32_e32 v9, v6
	s_add_i32 s9, s9, -1
	s_waitcnt lgkmcnt(0)
	v_max_f32_e64 v6, s12, s12
	v_max_f32_e32 v6, v7, v6
	v_sub_f32_e32 v10, s12, v6
	v_sub_f32_e32 v7, v5, v6
	v_mul_f32_e32 v11, 0x3fb8aa3b, v10
	v_mov_b32_e32 v5, v6
	v_mul_f32_e32 v6, 0x3fb8aa3b, v7
	v_fma_f32 v14, v10, s4, -v11
	v_rndne_f32_e32 v15, v11
	v_fma_f32 v12, v7, s4, -v6
	v_rndne_f32_e32 v13, v6
	v_fmac_f32_e32 v14, 0x32a5705f, v10
	v_sub_f32_e32 v11, v11, v15
	v_fmac_f32_e32 v12, 0x32a5705f, v7
	v_sub_f32_e32 v6, v6, v13
	v_add_f32_e32 v11, v11, v14
	v_cvt_i32_f32_e32 v15, v15
	v_add_f32_e32 v6, v6, v12
	v_exp_f32_e32 v11, v11
	v_cvt_i32_f32_e32 v13, v13
	v_exp_f32_e32 v6, v6
	v_cmp_ngt_f32_e32 vcc, s8, v10
	v_ldexp_f32 v11, v11, v15
	v_cmp_ngt_f32_e64 s[0:1], s8, v7
	v_ldexp_f32 v6, v6, v13
	v_cndmask_b32_e32 v11, 0, v11, vcc
	v_cmp_nlt_f32_e32 vcc, s10, v10
	v_cndmask_b32_e64 v6, 0, v6, s[0:1]
	v_cmp_nlt_f32_e64 s[0:1], s10, v7
	v_cndmask_b32_e32 v11, v4, v11, vcc
	v_cmp_le_f32_e32 vcc, s11, v10
	v_cndmask_b32_e64 v6, v4, v6, s[0:1]
	v_cmp_le_f32_e64 s[0:1], s11, v7
	v_cndmask_b32_e32 v7, 0, v11, vcc
	s_add_i32 s2, s2, -16
	v_cndmask_b32_e64 v10, 0, v6, s[0:1]
	v_mul_f32_e32 v6, s13, v7
	v_add_u32_e32 v0, 0xfffffb00, v0
	s_cmp_le_i32 s9, s5
	v_fmac_f32_e32 v6, v9, v10
	s_waitcnt vmcnt(0)
	v_mul_f32_e32 v7, v1, v7
	v_fmac_f32_e32 v7, v8, v10
	s_cbranch_scc0 .LBB41_3
	s_branch .LBB41_5
.LBB41_4:
	s_waitcnt lgkmcnt(0)
	v_mov_b32_e32 v6, s12
.LBB41_5:
	s_waitcnt vmcnt(0)
	v_div_scale_f32 v0, s[0:1], v6, v6, v7
	v_rcp_f32_e32 v1, v0
	v_div_scale_f32 v4, vcc, v7, v6, v7
	v_fma_f32 v5, -v0, v1, 1.0
	v_fmac_f32_e32 v1, v5, v1
	v_mul_f32_e32 v5, v4, v1
	v_fma_f32 v8, -v0, v5, v4
	v_fmac_f32_e32 v5, v8, v1
	v_fma_f32 v0, -v0, v5, v4
	v_div_fmas_f32 v0, v0, v1, v5
	v_div_fixup_f32 v0, v0, v6, v7
	global_store_dword v[2:3], v0, off
.LBB41_6:
	s_endpgm
	.section	.rodata,"a",@progbits
	.p2align	6, 0x0
	.amdhsa_kernel _ZL33flash_attn_stream_k_fixup_uniformILi80ELi8ELi2EEvPfPK15HIP_vector_typeIfLj2EEiiiiiiS1_IjLj3EES5_S5_
		.amdhsa_group_segment_fixed_size 0
		.amdhsa_private_segment_fixed_size 0
		.amdhsa_kernarg_size 76
		.amdhsa_user_sgpr_count 2
		.amdhsa_user_sgpr_dispatch_ptr 0
		.amdhsa_user_sgpr_queue_ptr 0
		.amdhsa_user_sgpr_kernarg_segment_ptr 1
		.amdhsa_user_sgpr_dispatch_id 0
		.amdhsa_user_sgpr_kernarg_preload_length 0
		.amdhsa_user_sgpr_kernarg_preload_offset 0
		.amdhsa_user_sgpr_private_segment_size 0
		.amdhsa_uses_dynamic_stack 0
		.amdhsa_enable_private_segment 0
		.amdhsa_system_sgpr_workgroup_id_x 1
		.amdhsa_system_sgpr_workgroup_id_y 1
		.amdhsa_system_sgpr_workgroup_id_z 1
		.amdhsa_system_sgpr_workgroup_info 0
		.amdhsa_system_vgpr_workitem_id 0
		.amdhsa_next_free_vgpr 16
		.amdhsa_next_free_sgpr 20
		.amdhsa_accum_offset 16
		.amdhsa_reserve_vcc 1
		.amdhsa_float_round_mode_32 0
		.amdhsa_float_round_mode_16_64 0
		.amdhsa_float_denorm_mode_32 3
		.amdhsa_float_denorm_mode_16_64 3
		.amdhsa_dx10_clamp 1
		.amdhsa_ieee_mode 1
		.amdhsa_fp16_overflow 0
		.amdhsa_tg_split 0
		.amdhsa_exception_fp_ieee_invalid_op 0
		.amdhsa_exception_fp_denorm_src 0
		.amdhsa_exception_fp_ieee_div_zero 0
		.amdhsa_exception_fp_ieee_overflow 0
		.amdhsa_exception_fp_ieee_underflow 0
		.amdhsa_exception_fp_ieee_inexact 0
		.amdhsa_exception_int_div_zero 0
	.end_amdhsa_kernel
	.section	.text._ZL33flash_attn_stream_k_fixup_uniformILi80ELi8ELi2EEvPfPK15HIP_vector_typeIfLj2EEiiiiiiS1_IjLj3EES5_S5_,"axG",@progbits,_ZL33flash_attn_stream_k_fixup_uniformILi80ELi8ELi2EEvPfPK15HIP_vector_typeIfLj2EEiiiiiiS1_IjLj3EES5_S5_,comdat
.Lfunc_end41:
	.size	_ZL33flash_attn_stream_k_fixup_uniformILi80ELi8ELi2EEvPfPK15HIP_vector_typeIfLj2EEiiiiiiS1_IjLj3EES5_S5_, .Lfunc_end41-_ZL33flash_attn_stream_k_fixup_uniformILi80ELi8ELi2EEvPfPK15HIP_vector_typeIfLj2EEiiiiiiS1_IjLj3EES5_S5_
                                        ; -- End function
	.section	.AMDGPU.csdata,"",@progbits
; Kernel info:
; codeLenInByte = 836
; NumSgprs: 26
; NumVgprs: 16
; NumAgprs: 0
; TotalNumVgprs: 16
; ScratchSize: 0
; MemoryBound: 0
; FloatMode: 240
; IeeeMode: 1
; LDSByteSize: 0 bytes/workgroup (compile time only)
; SGPRBlocks: 3
; VGPRBlocks: 1
; NumSGPRsForWavesPerEU: 26
; NumVGPRsForWavesPerEU: 16
; AccumOffset: 16
; Occupancy: 8
; WaveLimiterHint : 0
; COMPUTE_PGM_RSRC2:SCRATCH_EN: 0
; COMPUTE_PGM_RSRC2:USER_SGPR: 2
; COMPUTE_PGM_RSRC2:TRAP_HANDLER: 0
; COMPUTE_PGM_RSRC2:TGID_X_EN: 1
; COMPUTE_PGM_RSRC2:TGID_Y_EN: 1
; COMPUTE_PGM_RSRC2:TGID_Z_EN: 1
; COMPUTE_PGM_RSRC2:TIDIG_COMP_CNT: 0
; COMPUTE_PGM_RSRC3_GFX90A:ACCUM_OFFSET: 3
; COMPUTE_PGM_RSRC3_GFX90A:TG_SPLIT: 0
	.section	.text._ZL33flash_attn_stream_k_fixup_generalILi80ELi8ELi2EEvPfPK15HIP_vector_typeIfLj2EEiiiiS1_IjLj3EES5_S5_S5_,"axG",@progbits,_ZL33flash_attn_stream_k_fixup_generalILi80ELi8ELi2EEvPfPK15HIP_vector_typeIfLj2EEiiiiS1_IjLj3EES5_S5_S5_,comdat
	.globl	_ZL33flash_attn_stream_k_fixup_generalILi80ELi8ELi2EEvPfPK15HIP_vector_typeIfLj2EEiiiiS1_IjLj3EES5_S5_S5_ ; -- Begin function _ZL33flash_attn_stream_k_fixup_generalILi80ELi8ELi2EEvPfPK15HIP_vector_typeIfLj2EEiiiiS1_IjLj3EES5_S5_S5_
	.p2align	8
	.type	_ZL33flash_attn_stream_k_fixup_generalILi80ELi8ELi2EEvPfPK15HIP_vector_typeIfLj2EEiiiiS1_IjLj3EES5_S5_S5_,@function
_ZL33flash_attn_stream_k_fixup_generalILi80ELi8ELi2EEvPfPK15HIP_vector_typeIfLj2EEiiiiS1_IjLj3EES5_S5_S5_: ; @_ZL33flash_attn_stream_k_fixup_generalILi80ELi8ELi2EEvPfPK15HIP_vector_typeIfLj2EEiiiiS1_IjLj3EES5_S5_S5_
; %bb.0:
	s_load_dwordx4 s[12:15], s[0:1], 0x10
	s_load_dword s22, s[0:1], 0x50
	s_mov_b32 s8, 0
	s_waitcnt lgkmcnt(0)
	s_mul_hi_i32 s9, s15, s2
	s_cmp_lg_u64 s[8:9], 0
	s_mul_i32 s5, s15, s2
	s_cbranch_scc0 .LBB42_21
; %bb.1:
	v_cvt_f32_u32_e32 v1, s22
	v_cvt_f32_ubyte0_e32 v2, 0
	s_sub_u32 s8, 0, s22
	s_subb_u32 s10, 0, 0
	v_fmamk_f32 v1, v2, 0x4f800000, v1
	v_rcp_f32_e32 v1, v1
	s_nop 0
	v_mul_f32_e32 v1, 0x5f7ffffc, v1
	v_mul_f32_e32 v2, 0x2f800000, v1
	v_trunc_f32_e32 v2, v2
	v_fmamk_f32 v1, v2, 0xcf800000, v1
	v_cvt_u32_f32_e32 v2, v2
	v_cvt_u32_f32_e32 v1, v1
	v_readfirstlane_b32 s11, v2
	v_readfirstlane_b32 s16, v1
	s_mul_i32 s17, s8, s11
	s_mul_hi_u32 s19, s8, s16
	s_mul_i32 s18, s10, s16
	s_add_i32 s17, s19, s17
	s_add_i32 s17, s17, s18
	s_mul_i32 s20, s8, s16
	s_mul_hi_u32 s18, s16, s17
	s_mul_i32 s19, s16, s17
	s_mul_hi_u32 s16, s16, s20
	s_add_u32 s16, s16, s19
	s_addc_u32 s18, 0, s18
	s_mul_hi_u32 s21, s11, s20
	s_mul_i32 s20, s11, s20
	s_add_u32 s16, s16, s20
	s_mul_hi_u32 s19, s11, s17
	s_addc_u32 s16, s18, s21
	s_addc_u32 s18, s19, 0
	s_mul_i32 s17, s11, s17
	s_add_u32 s16, s16, s17
	s_addc_u32 s17, 0, s18
	v_add_co_u32_e32 v1, vcc, s16, v1
	s_cmp_lg_u64 vcc, 0
	s_addc_u32 s11, s11, s17
	v_readfirstlane_b32 s17, v1
	s_mul_i32 s16, s8, s11
	s_mul_hi_u32 s18, s8, s17
	s_add_i32 s16, s18, s16
	s_mul_i32 s10, s10, s17
	s_add_i32 s16, s16, s10
	s_mul_i32 s8, s8, s17
	s_mul_hi_u32 s18, s11, s8
	s_mul_i32 s19, s11, s8
	s_mul_i32 s21, s17, s16
	s_mul_hi_u32 s8, s17, s8
	s_mul_hi_u32 s20, s17, s16
	s_add_u32 s8, s8, s21
	s_addc_u32 s17, 0, s20
	s_add_u32 s8, s8, s19
	s_mul_hi_u32 s10, s11, s16
	s_addc_u32 s8, s17, s18
	s_addc_u32 s10, s10, 0
	s_mul_i32 s16, s11, s16
	s_add_u32 s8, s8, s16
	s_addc_u32 s10, 0, s10
	v_add_co_u32_e32 v1, vcc, s8, v1
	s_cmp_lg_u64 vcc, 0
	s_addc_u32 s16, s11, s10
	s_ashr_i32 s10, s9, 31
	s_add_u32 s8, s5, s10
	s_mov_b32 s11, s10
	s_addc_u32 s9, s9, s10
	s_xor_b64 s[8:9], s[8:9], s[10:11]
	v_readfirstlane_b32 s19, v1
	s_mul_i32 s18, s8, s16
	s_mul_hi_u32 s20, s8, s19
	s_mul_hi_u32 s17, s8, s16
	s_add_u32 s18, s20, s18
	s_addc_u32 s17, 0, s17
	s_mul_hi_u32 s21, s9, s19
	s_mul_i32 s19, s9, s19
	s_add_u32 s18, s18, s19
	s_mul_hi_u32 s20, s9, s16
	s_addc_u32 s17, s17, s21
	s_addc_u32 s18, s20, 0
	s_mul_i32 s16, s9, s16
	s_add_u32 s16, s17, s16
	s_addc_u32 s17, 0, s18
	s_add_u32 s18, s16, 1
	s_addc_u32 s19, s17, 0
	s_add_u32 s20, s16, 2
	s_mul_i32 s23, s22, s17
	s_mul_hi_u32 s24, s22, s16
	s_addc_u32 s21, s17, 0
	s_add_i32 s24, s24, s23
	s_mul_i32 s23, s22, s16
	v_mov_b32_e32 v1, s23
	v_sub_co_u32_e32 v1, vcc, s8, v1
	s_cmp_lg_u64 vcc, 0
	s_subb_u32 s8, s9, s24
	v_subrev_co_u32_e32 v2, vcc, s22, v1
	s_cmp_lg_u64 vcc, 0
	s_subb_u32 s9, s8, 0
	v_readfirstlane_b32 s23, v2
	s_cmp_ge_u32 s23, s22
	s_cselect_b32 s23, -1, 0
	s_cmp_eq_u32 s9, 0
	s_cselect_b32 s9, s23, -1
	s_cmp_lg_u32 s9, 0
	s_cselect_b32 s9, s21, s19
	v_readfirstlane_b32 s19, v1
	s_cselect_b32 s18, s20, s18
	s_cmp_ge_u32 s19, s22
	s_cselect_b32 s19, -1, 0
	s_cmp_eq_u32 s8, 0
	s_cselect_b32 s8, s19, -1
	s_cmp_lg_u32 s8, 0
	s_cselect_b32 s9, s9, s17
	s_cselect_b32 s8, s18, s16
	s_xor_b64 s[8:9], s[8:9], s[10:11]
	s_sub_u32 s20, s8, s10
	s_load_dwordx4 s[16:19], s[0:1], 0x44
	s_cbranch_execnz .LBB42_3
.LBB42_2:
	v_cvt_f32_u32_e32 v1, s22
	s_sub_i32 s6, 0, s22
	v_rcp_iflag_f32_e32 v1, v1
	s_nop 0
	v_mul_f32_e32 v1, 0x4f7ffffe, v1
	v_cvt_u32_f32_e32 v1, v1
	s_nop 0
	v_readfirstlane_b32 s7, v1
	s_mul_i32 s6, s6, s7
	s_mul_hi_u32 s6, s7, s6
	s_add_i32 s7, s7, s6
	s_mul_hi_u32 s6, s5, s7
	s_mul_i32 s8, s6, s22
	s_sub_i32 s5, s5, s8
	s_add_i32 s7, s6, 1
	s_sub_i32 s8, s5, s22
	s_cmp_ge_u32 s5, s22
	s_cselect_b32 s6, s7, s6
	s_cselect_b32 s5, s8, s5
	s_add_i32 s7, s6, 1
	s_cmp_ge_u32 s5, s22
	s_cselect_b32 s20, s7, s6
.LBB42_3:
	s_add_i32 s5, s2, 1
	s_mul_hi_i32 s9, s15, s5
	s_mov_b32 s8, 0
	s_cmp_lg_u64 s[8:9], 0
	s_mul_i32 s5, s15, s5
	s_cbranch_scc0 .LBB42_22
; %bb.4:
	v_cvt_f32_u32_e32 v1, s22
	v_cvt_f32_ubyte0_e32 v2, 0
	s_sub_u32 s8, 0, s22
	s_subb_u32 s10, 0, 0
	v_fmamk_f32 v1, v2, 0x4f800000, v1
	v_rcp_f32_e32 v1, v1
	s_nop 0
	v_mul_f32_e32 v1, 0x5f7ffffc, v1
	v_mul_f32_e32 v2, 0x2f800000, v1
	v_trunc_f32_e32 v2, v2
	v_fmamk_f32 v1, v2, 0xcf800000, v1
	v_cvt_u32_f32_e32 v2, v2
	v_cvt_u32_f32_e32 v1, v1
	v_readfirstlane_b32 s11, v2
	s_waitcnt lgkmcnt(0)
	v_readfirstlane_b32 s19, v1
	s_mul_i32 s21, s8, s11
	s_mul_hi_u32 s24, s8, s19
	s_mul_i32 s23, s10, s19
	s_add_i32 s21, s24, s21
	s_add_i32 s21, s21, s23
	s_mul_i32 s25, s8, s19
	s_mul_hi_u32 s23, s19, s21
	s_mul_i32 s24, s19, s21
	s_mul_hi_u32 s19, s19, s25
	s_add_u32 s19, s19, s24
	s_addc_u32 s23, 0, s23
	s_mul_hi_u32 s26, s11, s25
	s_mul_i32 s25, s11, s25
	s_add_u32 s19, s19, s25
	s_mul_hi_u32 s24, s11, s21
	s_addc_u32 s19, s23, s26
	s_addc_u32 s23, s24, 0
	s_mul_i32 s21, s11, s21
	s_add_u32 s19, s19, s21
	s_addc_u32 s21, 0, s23
	v_add_co_u32_e32 v1, vcc, s19, v1
	s_cmp_lg_u64 vcc, 0
	s_addc_u32 s11, s11, s21
	v_readfirstlane_b32 s21, v1
	s_mul_i32 s19, s8, s11
	s_mul_hi_u32 s23, s8, s21
	s_add_i32 s19, s23, s19
	s_mul_i32 s10, s10, s21
	s_add_i32 s19, s19, s10
	s_mul_i32 s8, s8, s21
	s_mul_hi_u32 s23, s11, s8
	s_mul_i32 s24, s11, s8
	s_mul_i32 s26, s21, s19
	s_mul_hi_u32 s8, s21, s8
	s_mul_hi_u32 s25, s21, s19
	s_add_u32 s8, s8, s26
	s_addc_u32 s21, 0, s25
	s_add_u32 s8, s8, s24
	s_mul_hi_u32 s10, s11, s19
	s_addc_u32 s8, s21, s23
	s_addc_u32 s10, s10, 0
	s_mul_i32 s19, s11, s19
	s_add_u32 s8, s8, s19
	s_addc_u32 s10, 0, s10
	v_add_co_u32_e32 v1, vcc, s8, v1
	s_cmp_lg_u64 vcc, 0
	s_addc_u32 s19, s11, s10
	s_ashr_i32 s10, s9, 31
	s_add_u32 s8, s5, s10
	s_mov_b32 s11, s10
	s_addc_u32 s9, s9, s10
	s_xor_b64 s[8:9], s[8:9], s[10:11]
	v_readfirstlane_b32 s23, v1
	s_mul_i32 s21, s8, s19
	s_mul_hi_u32 s24, s8, s23
	s_mul_hi_u32 s11, s8, s19
	s_add_u32 s21, s24, s21
	s_addc_u32 s11, 0, s11
	s_mul_hi_u32 s25, s9, s23
	s_mul_i32 s23, s9, s23
	s_add_u32 s21, s21, s23
	s_mul_hi_u32 s24, s9, s19
	s_addc_u32 s11, s11, s25
	s_addc_u32 s21, s24, 0
	s_mul_i32 s19, s9, s19
	s_add_u32 s11, s11, s19
	s_addc_u32 s19, 0, s21
	s_mul_i32 s19, s22, s19
	s_mul_hi_u32 s24, s22, s11
	s_add_i32 s24, s24, s19
	s_mul_i32 s19, s22, s11
	v_mov_b32_e32 v1, s19
	s_add_u32 s21, s11, 1
	s_add_u32 s23, s11, 2
	v_sub_co_u32_e32 v1, vcc, s8, v1
	s_cmp_lg_u64 vcc, 0
	s_subb_u32 s8, s9, s24
	v_subrev_co_u32_e32 v2, vcc, s22, v1
	s_cmp_lg_u64 vcc, 0
	s_subb_u32 s9, s8, 0
	v_cmp_le_u32_e32 vcc, s22, v2
	s_cmp_eq_u32 s9, 0
	v_mov_b32_e32 v3, s21
	v_cndmask_b32_e64 v2, 0, -1, vcc
	s_cselect_b64 vcc, -1, 0
	v_cndmask_b32_e32 v2, -1, v2, vcc
	v_mov_b32_e32 v4, s23
	v_cmp_ne_u32_e32 vcc, 0, v2
	s_cmp_eq_u32 s8, 0
	s_nop 0
	v_cndmask_b32_e32 v2, v3, v4, vcc
	v_cmp_le_u32_e32 vcc, s22, v1
	v_mov_b32_e32 v3, s11
	s_nop 0
	v_cndmask_b32_e64 v1, 0, -1, vcc
	s_cselect_b64 vcc, -1, 0
	v_cndmask_b32_e32 v1, -1, v1, vcc
	v_cmp_ne_u32_e32 vcc, 0, v1
	s_nop 1
	v_cndmask_b32_e32 v1, v3, v2, vcc
	v_xor_b32_e32 v1, s10, v1
	v_subrev_co_u32_e32 v2, vcc, s10, v1
	s_cbranch_execnz .LBB42_6
.LBB42_5:
	v_cvt_f32_u32_e32 v1, s22
	s_sub_i32 s6, 0, s22
	s_mov_b32 s7, 0
	v_rcp_iflag_f32_e32 v1, v1
	s_nop 0
	v_mul_f32_e32 v1, 0x4f7ffffe, v1
	v_cvt_u32_f32_e32 v1, v1
	s_nop 0
	v_readfirstlane_b32 s8, v1
	s_mul_i32 s6, s6, s8
	s_mul_hi_u32 s6, s8, s6
	s_add_i32 s8, s8, s6
	s_mul_hi_u32 s6, s5, s8
	s_mul_i32 s9, s6, s22
	s_sub_i32 s5, s5, s9
	s_add_i32 s8, s6, 1
	s_sub_i32 s9, s5, s22
	s_cmp_ge_u32 s5, s22
	s_cselect_b32 s6, s8, s6
	s_cselect_b32 s5, s9, s5
	s_add_i32 s8, s6, 1
	s_cmp_ge_u32 s5, s22
	s_cselect_b32 s6, s8, s6
	v_mov_b64_e32 v[2:3], s[6:7]
.LBB42_6:
	s_waitcnt lgkmcnt(0)
	s_mul_hi_u32 s5, s20, s16
	s_add_i32 s5, s5, s20
	v_mul_hi_u32 v1, v2, s16
	s_lshr_b32 s19, s5, s17
	v_add_u32_e32 v1, v1, v2
	s_mul_i32 s5, s19, s18
	v_lshrrev_b32_e32 v1, s17, v1
	s_cmp_eq_u32 s5, s20
	v_cmp_eq_u32_e64 s[6:7], s19, v1
	v_mul_lo_u32 v1, v1, s18
	v_cmp_eq_u32_e32 vcc, s20, v2
	s_cselect_b64 s[10:11], -1, 0
	v_cmp_ne_u32_e64 s[8:9], v1, v2
	s_and_b64 s[6:7], s[6:7], s[8:9]
	s_or_b64 s[8:9], vcc, s[10:11]
	s_or_b64 s[6:7], s[8:9], s[6:7]
	s_and_b64 vcc, exec, s[6:7]
	s_cbranch_vccnz .LBB42_24
; %bb.7:
	s_load_dwordx8 s[24:31], s[0:1], 0x20
	s_load_dword s5, s[0:1], 0x40
	s_waitcnt lgkmcnt(0)
	s_mul_hi_u32 s6, s20, s24
	s_add_i32 s6, s6, s20
	s_lshr_b32 s7, s6, s25
	s_mul_i32 s6, s7, s26
	s_sub_i32 s6, s20, s6
	s_mul_hi_u32 s8, s6, s27
	s_add_i32 s8, s6, s8
	s_lshr_b32 s23, s8, s28
	s_mul_i32 s8, s23, s29
	s_sub_i32 s6, s6, s8
	;; [unrolled: 5-line block ×3, first 2 shown]
	s_mul_hi_u32 s6, s5, s16
	s_add_i32 s5, s5, s6
	s_lshr_b32 s24, s5, s17
	s_lshl_b32 s5, s24, 3
	s_lshl_b32 s25, s8, 1
	s_add_i32 s5, s5, s3
	s_cmp_lt_i32 s5, s12
	s_cselect_b64 s[8:9], -1, 0
	s_add_i32 s25, s25, s4
	s_cmp_lt_i32 s25, s14
	s_cselect_b64 s[10:11], -1, 0
	s_and_b64 s[8:9], s[8:9], s[10:11]
	s_andn2_b64 vcc, exec, s[8:9]
	s_mov_b32 s6, 0
	s_cbranch_vccnz .LBB42_24
; %bb.8:
	s_load_dwordx4 s[8:11], s[0:1], 0x0
	s_lshl_b32 s21, s3, 1
	s_lshl_b32 s0, s22, 6
	s_mov_b32 s1, s6
	s_add_i32 s21, s21, s4
	s_lshl_b64 s[0:1], s[0:1], 2
	s_waitcnt lgkmcnt(0)
	s_add_u32 s4, s10, s0
	s_mul_i32 s0, s7, s12
	s_addc_u32 s5, s11, s1
	s_mul_i32 s23, s23, s14
	s_add_i32 s0, s0, s3
	s_mul_i32 s0, s0, s13
	s_add_i32 s3, s25, s23
	;; [unrolled: 2-line block ×3, first 2 shown]
	s_mulk_i32 s1, 0x280
	s_mulk_i32 s0, 0x50
	s_add_i32 s1, s1, s0
	v_add_u32_e32 v4, s1, v0
	v_mov_b32_e32 v2, s8
	v_mov_b32_e32 v3, s9
	v_ashrrev_i32_e32 v5, 31, v4
	v_lshl_add_u64 v[2:3], v[4:5], 2, v[2:3]
	global_load_dword v5, v[2:3], off
	s_lshl_b32 s0, s2, 4
	s_add_i32 s0, s21, s0
	s_ashr_i32 s1, s0, 31
	s_lshl_b64 s[0:1], s[0:1], 3
	s_add_u32 s0, s10, s0
	s_addc_u32 s1, s11, s1
	s_add_i32 s12, s2, -1
	s_mul_i32 s2, s21, 0x50
	v_add_u32_e32 v4, s2, v0
	v_cvt_f32_u32_e32 v0, s22
	v_cvt_f32_ubyte0_e32 v1, 0
	s_load_dwordx2 s[0:1], s[0:1], 0x0
	v_mov_b32_e32 v8, s20
	v_fmac_f32_e32 v0, 0x4f800000, v1
	v_rcp_f32_e32 v0, v0
	v_cvt_f32_u32_e32 v1, s22
	s_waitcnt lgkmcnt(0)
	v_mov_b32_e32 v6, s1
	v_mov_b32_e32 v7, s0
	v_mul_f32_e32 v0, 0x5f7ffffc, v0
	v_rcp_iflag_f32_e32 v1, v1
	v_mul_f32_e32 v9, 0x2f800000, v0
	v_trunc_f32_e32 v10, v9
	v_fmac_f32_e32 v0, 0xcf800000, v10
	v_cvt_u32_f32_e32 v9, v0
	v_mul_f32_e32 v0, 0x4f7ffffe, v1
	v_cvt_u32_f32_e32 v10, v10
	v_cvt_u32_f32_e32 v11, v0
	s_mov_b32 s8, 0x3fb8aa3b
	s_mov_b32 s9, 0xc2ce8ed0
	;; [unrolled: 1-line block ×4, first 2 shown]
	v_mov_b32_e32 v12, 0x7f800000
	s_mul_hi_i32 s7, s12, s15
	s_cmp_lg_u64 s[6:7], 0
	s_mul_i32 s2, s12, s15
	s_cbranch_scc0 .LBB42_15
.LBB42_9:
	s_sub_u32 s0, 0, s22
	v_readfirstlane_b32 s3, v9
	v_readfirstlane_b32 s24, v10
	s_subb_u32 s1, 0, 0
	s_mul_hi_u32 s23, s0, s3
	s_mul_i32 s25, s0, s24
	s_mul_i32 s20, s1, s3
	s_add_i32 s23, s23, s25
	s_add_i32 s23, s23, s20
	s_mul_i32 s26, s0, s3
	s_mul_hi_u32 s20, s3, s23
	s_mul_i32 s25, s3, s23
	s_mul_hi_u32 s3, s3, s26
	s_add_u32 s3, s3, s25
	s_addc_u32 s20, 0, s20
	s_mul_hi_u32 s27, s24, s26
	s_mul_i32 s26, s24, s26
	s_add_u32 s3, s3, s26
	s_mul_hi_u32 s25, s24, s23
	s_addc_u32 s3, s20, s27
	s_addc_u32 s20, s25, 0
	s_mul_i32 s23, s24, s23
	s_add_u32 s3, s3, s23
	s_addc_u32 s20, 0, s20
	v_add_co_u32_e32 v0, vcc, s3, v9
	s_cmp_lg_u64 vcc, 0
	s_addc_u32 s3, s24, s20
	v_readfirstlane_b32 s23, v0
	s_mul_i32 s20, s0, s3
	s_mul_hi_u32 s24, s0, s23
	s_add_i32 s20, s24, s20
	s_mul_i32 s1, s1, s23
	s_add_i32 s20, s20, s1
	s_mul_i32 s0, s0, s23
	s_mul_hi_u32 s24, s3, s0
	s_mul_i32 s25, s3, s0
	s_mul_i32 s27, s23, s20
	s_mul_hi_u32 s0, s23, s0
	s_mul_hi_u32 s26, s23, s20
	s_add_u32 s0, s0, s27
	s_addc_u32 s23, 0, s26
	s_add_u32 s0, s0, s25
	s_mul_hi_u32 s1, s3, s20
	s_addc_u32 s0, s23, s24
	s_addc_u32 s1, s1, 0
	s_mul_i32 s20, s3, s20
	s_add_u32 s0, s0, s20
	s_addc_u32 s1, 0, s1
	v_add_co_u32_e32 v0, vcc, s0, v0
	s_cmp_lg_u64 vcc, 0
	s_addc_u32 s3, s3, s1
	s_ashr_i32 s0, s7, 31
	s_add_u32 s24, s2, s0
	s_mov_b32 s1, s0
	s_addc_u32 s25, s7, s0
	s_xor_b64 s[24:25], s[24:25], s[0:1]
	v_readfirstlane_b32 s20, v0
	s_mul_i32 s7, s24, s3
	s_mul_hi_u32 s23, s24, s20
	s_mul_hi_u32 s1, s24, s3
	s_add_u32 s7, s23, s7
	s_addc_u32 s1, 0, s1
	s_mul_hi_u32 s26, s25, s20
	s_mul_i32 s20, s25, s20
	s_add_u32 s7, s7, s20
	s_mul_hi_u32 s23, s25, s3
	s_addc_u32 s1, s1, s26
	s_addc_u32 s7, s23, 0
	s_mul_i32 s3, s25, s3
	s_add_u32 s1, s1, s3
	s_addc_u32 s3, 0, s7
	s_mul_i32 s3, s22, s3
	s_mul_hi_u32 s23, s22, s1
	s_add_i32 s23, s23, s3
	s_mul_i32 s3, s22, s1
	v_mov_b32_e32 v0, s3
	s_add_u32 s7, s1, 1
	s_add_u32 s20, s1, 2
	v_sub_co_u32_e32 v0, vcc, s24, v0
	s_cmp_lg_u64 vcc, 0
	s_subb_u32 s3, s25, s23
	v_subrev_co_u32_e32 v1, vcc, s22, v0
	s_cmp_lg_u64 vcc, 0
	s_subb_u32 s23, s3, 0
	v_cmp_le_u32_e32 vcc, s22, v1
	s_cmp_eq_u32 s23, 0
	v_mov_b32_e32 v13, s7
	v_cndmask_b32_e64 v1, 0, -1, vcc
	s_cselect_b64 vcc, -1, 0
	v_cndmask_b32_e32 v1, -1, v1, vcc
	v_mov_b32_e32 v14, s20
	v_cmp_ne_u32_e32 vcc, 0, v1
	s_cmp_eq_u32 s3, 0
	s_nop 0
	v_cndmask_b32_e32 v1, v13, v14, vcc
	v_cmp_le_u32_e32 vcc, s22, v0
	v_mov_b32_e32 v13, s1
	s_nop 0
	v_cndmask_b32_e64 v0, 0, -1, vcc
	s_cselect_b64 vcc, -1, 0
	v_cndmask_b32_e32 v0, -1, v0, vcc
	v_cmp_ne_u32_e32 vcc, 0, v0
	s_nop 1
	v_cndmask_b32_e32 v0, v13, v1, vcc
	v_xor_b32_e32 v0, s0, v0
	v_subrev_co_u32_e32 v0, vcc, s0, v0
	s_cbranch_execnz .LBB42_11
.LBB42_10:
	s_sub_i32 s0, 0, s22
	v_mul_lo_u32 v0, s0, v11
	v_mul_hi_u32 v0, v11, v0
	v_add_u32_e32 v0, v11, v0
	v_mul_hi_u32 v0, s2, v0
	v_mul_lo_u32 v13, v0, s22
	v_sub_u32_e32 v13, s2, v13
	v_add_u32_e32 v1, 1, v0
	v_subrev_u32_e32 v14, s22, v13
	v_cmp_le_u32_e32 vcc, s22, v13
	s_nop 1
	v_cndmask_b32_e32 v13, v13, v14, vcc
	v_cndmask_b32_e32 v0, v0, v1, vcc
	v_add_u32_e32 v1, 1, v0
	v_cmp_le_u32_e32 vcc, s22, v13
	s_nop 1
	v_cndmask_b32_e32 v0, v0, v1, vcc
.LBB42_11:
	v_cmp_ne_u32_e32 vcc, v8, v0
	s_cbranch_vccz .LBB42_14
; %bb.12:
	s_add_i32 s0, s12, s22
	s_lshl_b32 s0, s0, 4
	v_mul_hi_u32 v1, v0, s16
	s_add_i32 s0, s0, s21
	s_mov_b32 s1, s6
	v_add_u32_e32 v1, v1, v0
	s_lshl_b64 s[0:1], s[0:1], 3
	v_lshrrev_b32_e32 v1, s17, v1
	s_add_u32 s2, s10, s0
	v_mul_lo_u32 v13, v1, s18
	s_addc_u32 s3, s11, s1
	v_cmp_eq_u32_e32 vcc, v13, v0
	v_cmp_gt_u32_e64 s[0:1], s19, v1
	s_or_b64 s[0:1], s[0:1], vcc
	s_and_b64 vcc, exec, s[0:1]
	s_cbranch_vccnz .LBB42_16
; %bb.13:
	s_add_i32 s7, s12, -1
	s_mov_b64 s[0:1], 0
	s_branch .LBB42_17
.LBB42_14:
                                        ; implicit-def: $sgpr0_sgpr1
                                        ; implicit-def: $vgpr14
                                        ; implicit-def: $vgpr1
                                        ; implicit-def: $vgpr13
                                        ; implicit-def: $sgpr7
                                        ; implicit-def: $vgpr0
	s_branch .LBB42_18
.LBB42_15:
                                        ; implicit-def: $vgpr0_vgpr1
	s_branch .LBB42_10
.LBB42_16:
	s_mov_b64 s[0:1], -1
	s_mov_b32 s7, s12
	v_mov_b32_e32 v0, v8
.LBB42_17:
	s_mul_i32 s20, s12, 0x500
	v_add_u32_e32 v14, s20, v4
	v_ashrrev_i32_e32 v15, 31, v14
	v_lshl_add_u64 v[14:15], v[14:15], 2, s[4:5]
	global_load_dword v14, v[14:15], off
	s_load_dwordx2 s[2:3], s[2:3], 0x0
	v_max_f32_e32 v1, v7, v7
	s_waitcnt lgkmcnt(0)
	v_max_f32_e64 v13, s2, s2
	v_max_f32_e32 v1, v1, v13
	v_sub_f32_e32 v13, v7, v1
	v_sub_f32_e32 v15, s2, v1
	v_mul_f32_e32 v16, 0x3fb8aa3b, v13
	v_mul_f32_e32 v17, 0x3fb8aa3b, v15
	v_fma_f32 v18, v13, s8, -v16
	v_rndne_f32_e32 v19, v16
	v_fma_f32 v20, v15, s8, -v17
	v_rndne_f32_e32 v21, v17
	v_fmac_f32_e32 v18, 0x32a5705f, v13
	v_sub_f32_e32 v16, v16, v19
	v_fmac_f32_e32 v20, 0x32a5705f, v15
	v_sub_f32_e32 v17, v17, v21
	v_add_f32_e32 v16, v16, v18
	v_cvt_i32_f32_e32 v19, v19
	v_add_f32_e32 v17, v17, v20
	v_exp_f32_e32 v16, v16
	v_cvt_i32_f32_e32 v21, v21
	v_exp_f32_e32 v17, v17
	v_cmp_ngt_f32_e32 vcc, s9, v13
	v_ldexp_f32 v16, v16, v19
	v_ldexp_f32 v17, v17, v21
	v_cndmask_b32_e32 v16, 0, v16, vcc
	v_cmp_ngt_f32_e32 vcc, s9, v15
	s_nop 1
	v_cndmask_b32_e32 v17, 0, v17, vcc
	v_cmp_nlt_f32_e32 vcc, s13, v13
	s_nop 1
	v_cndmask_b32_e32 v16, v12, v16, vcc
	v_cmp_nlt_f32_e32 vcc, s13, v15
	s_nop 1
	v_cndmask_b32_e32 v17, v12, v17, vcc
	v_cmp_le_f32_e32 vcc, s14, v13
	s_nop 1
	v_cndmask_b32_e32 v16, 0, v16, vcc
	v_cmp_le_f32_e32 vcc, s14, v15
	s_nop 1
	v_cndmask_b32_e32 v15, 0, v17, vcc
	v_mul_f32_e32 v13, s3, v15
	v_fmac_f32_e32 v13, v6, v16
	s_waitcnt vmcnt(0)
	v_mul_f32_e32 v14, v14, v15
	v_fmac_f32_e32 v14, v5, v16
	s_cbranch_execnz .LBB42_19
.LBB42_18:
	s_add_i32 s7, s12, -1
	s_mov_b64 s[0:1], 0
	v_mov_b32_e32 v0, v8
	v_mov_b32_e32 v13, v6
	;; [unrolled: 1-line block ×3, first 2 shown]
	s_waitcnt vmcnt(0)
	v_mov_b32_e32 v14, v5
.LBB42_19:
	s_andn2_b64 vcc, exec, s[0:1]
	s_cbranch_vccz .LBB42_23
; %bb.20:
	v_mov_b32_e32 v8, v0
	s_mov_b32 s12, s7
	v_mov_b32_e32 v6, v13
	v_mov_b32_e32 v7, v1
	s_waitcnt vmcnt(0)
	v_mov_b32_e32 v5, v14
	s_mul_hi_i32 s7, s12, s15
	s_cmp_lg_u64 s[6:7], 0
	s_mul_i32 s2, s12, s15
	s_cbranch_scc1 .LBB42_9
	s_branch .LBB42_15
.LBB42_21:
                                        ; implicit-def: $sgpr20_sgpr21
	s_load_dwordx4 s[16:19], s[0:1], 0x44
	s_branch .LBB42_2
.LBB42_22:
                                        ; implicit-def: $vgpr2_vgpr3
	s_branch .LBB42_5
.LBB42_23:
	v_div_scale_f32 v0, s[0:1], v13, v13, v14
	v_rcp_f32_e32 v1, v0
	v_div_scale_f32 v4, vcc, v14, v13, v14
	s_waitcnt vmcnt(0)
	v_fma_f32 v5, -v0, v1, 1.0
	v_fmac_f32_e32 v1, v5, v1
	v_mul_f32_e32 v5, v4, v1
	v_fma_f32 v6, -v0, v5, v4
	v_fmac_f32_e32 v5, v6, v1
	v_fma_f32 v0, -v0, v5, v4
	v_div_fmas_f32 v0, v0, v1, v5
	v_div_fixup_f32 v0, v0, v13, v14
	global_store_dword v[2:3], v0, off
.LBB42_24:
	s_endpgm
	.section	.rodata,"a",@progbits
	.p2align	6, 0x0
	.amdhsa_kernel _ZL33flash_attn_stream_k_fixup_generalILi80ELi8ELi2EEvPfPK15HIP_vector_typeIfLj2EEiiiiS1_IjLj3EES5_S5_S5_
		.amdhsa_group_segment_fixed_size 0
		.amdhsa_private_segment_fixed_size 0
		.amdhsa_kernarg_size 336
		.amdhsa_user_sgpr_count 2
		.amdhsa_user_sgpr_dispatch_ptr 0
		.amdhsa_user_sgpr_queue_ptr 0
		.amdhsa_user_sgpr_kernarg_segment_ptr 1
		.amdhsa_user_sgpr_dispatch_id 0
		.amdhsa_user_sgpr_kernarg_preload_length 0
		.amdhsa_user_sgpr_kernarg_preload_offset 0
		.amdhsa_user_sgpr_private_segment_size 0
		.amdhsa_uses_dynamic_stack 0
		.amdhsa_enable_private_segment 0
		.amdhsa_system_sgpr_workgroup_id_x 1
		.amdhsa_system_sgpr_workgroup_id_y 1
		.amdhsa_system_sgpr_workgroup_id_z 1
		.amdhsa_system_sgpr_workgroup_info 0
		.amdhsa_system_vgpr_workitem_id 0
		.amdhsa_next_free_vgpr 22
		.amdhsa_next_free_sgpr 32
		.amdhsa_accum_offset 24
		.amdhsa_reserve_vcc 1
		.amdhsa_float_round_mode_32 0
		.amdhsa_float_round_mode_16_64 0
		.amdhsa_float_denorm_mode_32 3
		.amdhsa_float_denorm_mode_16_64 3
		.amdhsa_dx10_clamp 1
		.amdhsa_ieee_mode 1
		.amdhsa_fp16_overflow 0
		.amdhsa_tg_split 0
		.amdhsa_exception_fp_ieee_invalid_op 0
		.amdhsa_exception_fp_denorm_src 0
		.amdhsa_exception_fp_ieee_div_zero 0
		.amdhsa_exception_fp_ieee_overflow 0
		.amdhsa_exception_fp_ieee_underflow 0
		.amdhsa_exception_fp_ieee_inexact 0
		.amdhsa_exception_int_div_zero 0
	.end_amdhsa_kernel
	.section	.text._ZL33flash_attn_stream_k_fixup_generalILi80ELi8ELi2EEvPfPK15HIP_vector_typeIfLj2EEiiiiS1_IjLj3EES5_S5_S5_,"axG",@progbits,_ZL33flash_attn_stream_k_fixup_generalILi80ELi8ELi2EEvPfPK15HIP_vector_typeIfLj2EEiiiiS1_IjLj3EES5_S5_S5_,comdat
.Lfunc_end42:
	.size	_ZL33flash_attn_stream_k_fixup_generalILi80ELi8ELi2EEvPfPK15HIP_vector_typeIfLj2EEiiiiS1_IjLj3EES5_S5_S5_, .Lfunc_end42-_ZL33flash_attn_stream_k_fixup_generalILi80ELi8ELi2EEvPfPK15HIP_vector_typeIfLj2EEiiiiS1_IjLj3EES5_S5_S5_
                                        ; -- End function
	.section	.AMDGPU.csdata,"",@progbits
; Kernel info:
; codeLenInByte = 2868
; NumSgprs: 38
; NumVgprs: 22
; NumAgprs: 0
; TotalNumVgprs: 22
; ScratchSize: 0
; MemoryBound: 0
; FloatMode: 240
; IeeeMode: 1
; LDSByteSize: 0 bytes/workgroup (compile time only)
; SGPRBlocks: 4
; VGPRBlocks: 2
; NumSGPRsForWavesPerEU: 38
; NumVGPRsForWavesPerEU: 22
; AccumOffset: 24
; Occupancy: 8
; WaveLimiterHint : 0
; COMPUTE_PGM_RSRC2:SCRATCH_EN: 0
; COMPUTE_PGM_RSRC2:USER_SGPR: 2
; COMPUTE_PGM_RSRC2:TRAP_HANDLER: 0
; COMPUTE_PGM_RSRC2:TGID_X_EN: 1
; COMPUTE_PGM_RSRC2:TGID_Y_EN: 1
; COMPUTE_PGM_RSRC2:TGID_Z_EN: 1
; COMPUTE_PGM_RSRC2:TIDIG_COMP_CNT: 0
; COMPUTE_PGM_RSRC3_GFX90A:ACCUM_OFFSET: 5
; COMPUTE_PGM_RSRC3_GFX90A:TG_SPLIT: 0
	.section	.text._ZL15flash_attn_tileILi80ELi80ELi4ELi2ELb0EEvPKcS1_S1_S1_S1_PKiPfP15HIP_vector_typeIfLj2EEffffjfiS5_IjLj3EEiiiiiiiiiiiliiliiiiil,"axG",@progbits,_ZL15flash_attn_tileILi80ELi80ELi4ELi2ELb0EEvPKcS1_S1_S1_S1_PKiPfP15HIP_vector_typeIfLj2EEffffjfiS5_IjLj3EEiiiiiiiiiiiliiliiiiil,comdat
	.globl	_ZL15flash_attn_tileILi80ELi80ELi4ELi2ELb0EEvPKcS1_S1_S1_S1_PKiPfP15HIP_vector_typeIfLj2EEffffjfiS5_IjLj3EEiiiiiiiiiiiliiliiiiil ; -- Begin function _ZL15flash_attn_tileILi80ELi80ELi4ELi2ELb0EEvPKcS1_S1_S1_S1_PKiPfP15HIP_vector_typeIfLj2EEffffjfiS5_IjLj3EEiiiiiiiiiiiliiliiiiil
	.p2align	8
	.type	_ZL15flash_attn_tileILi80ELi80ELi4ELi2ELb0EEvPKcS1_S1_S1_S1_PKiPfP15HIP_vector_typeIfLj2EEffffjfiS5_IjLj3EEiiiiiiiiiiiliiliiiiil,@function
_ZL15flash_attn_tileILi80ELi80ELi4ELi2ELb0EEvPKcS1_S1_S1_S1_PKiPfP15HIP_vector_typeIfLj2EEffffjfiS5_IjLj3EEiiiiiiiiiiiliiliiiiil: ; @_ZL15flash_attn_tileILi80ELi80ELi4ELi2ELb0EEvPKcS1_S1_S1_S1_PKiPfP15HIP_vector_typeIfLj2EEffffjfiS5_IjLj3EEiiiiiiiiiiiliiliiiiil
; %bb.0:
	s_load_dwordx4 s[24:27], s[0:1], 0x5c
	s_load_dwordx2 s[28:29], s[0:1], 0x80
	s_mov_b64 s[30:31], 0
	s_waitcnt lgkmcnt(0)
	s_lshr_b32 s5, s27, 31
	s_add_i32 s5, s27, s5
	s_ashr_i32 s5, s5, 1
	v_cvt_f32_u32_e32 v1, s5
	s_sub_i32 s6, 0, s5
	v_rcp_iflag_f32_e32 v1, v1
	s_nop 0
	v_mul_f32_e32 v1, 0x4f7ffffe, v1
	v_cvt_u32_f32_e32 v1, v1
	s_nop 0
	v_readfirstlane_b32 s7, v1
	s_mul_i32 s6, s6, s7
	s_mul_hi_u32 s6, s7, s6
	s_add_i32 s7, s7, s6
	s_mul_hi_u32 s6, s4, s7
	s_mul_i32 s7, s6, s5
	s_sub_i32 s7, s4, s7
	s_add_i32 s8, s6, 1
	s_sub_i32 s9, s7, s5
	s_cmp_ge_u32 s7, s5
	s_cselect_b32 s6, s8, s6
	s_cselect_b32 s7, s9, s7
	s_add_i32 s8, s6, 1
	s_cmp_ge_u32 s7, s5
	s_cselect_b32 s33, s8, s6
	s_abs_i32 s5, s29
	v_cvt_f32_u32_e32 v1, s5
	s_sub_i32 s8, 0, s5
	s_abs_i32 s7, s27
	s_lshl_b32 s6, s4, 1
	v_rcp_iflag_f32_e32 v1, v1
	s_xor_b32 s4, s27, s29
	s_ashr_i32 s4, s4, 31
	v_mul_f32_e32 v1, 0x4f7ffffe, v1
	v_cvt_u32_f32_e32 v1, v1
	s_nop 0
	v_readfirstlane_b32 s9, v1
	s_mul_i32 s8, s8, s9
	s_mul_hi_u32 s8, s9, s8
	s_add_i32 s9, s9, s8
	s_mul_hi_u32 s8, s7, s9
	s_mul_i32 s9, s8, s5
	s_sub_i32 s7, s7, s9
	s_add_i32 s10, s8, 1
	s_sub_i32 s9, s7, s5
	s_cmp_ge_u32 s7, s5
	s_cselect_b32 s8, s10, s8
	s_cselect_b32 s7, s9, s7
	s_add_i32 s9, s8, 1
	s_cmp_ge_u32 s7, s5
	s_cselect_b32 s5, s9, s8
	s_xor_b32 s5, s5, s4
	s_sub_i32 s35, s5, s4
	s_abs_i32 s34, s35
	v_cvt_f32_u32_e32 v1, s34
	s_load_dwordx16 s[8:23], s[0:1], 0x0
	s_load_dwordx2 s[4:5], s[0:1], 0xb8
	s_mul_i32 s7, s33, s27
	v_rcp_iflag_f32_e32 v1, v1
	s_waitcnt lgkmcnt(0)
	s_cmp_eq_u64 s[14:15], 0
	v_mul_f32_e32 v1, 0x4f7ffffe, v1
	v_cvt_u32_f32_e32 v1, v1
	s_nop 0
	v_readfirstlane_b32 s36, v1
	s_cbranch_scc1 .LBB43_2
; %bb.1:
	s_abs_i32 s4, s4
	v_cvt_f32_u32_e32 v1, s4
	s_sub_i32 s38, 0, s4
	s_abs_i32 s37, s33
	s_ashr_i32 s29, s33, 31
	v_rcp_iflag_f32_e32 v1, v1
	s_load_dwordx2 s[30:31], s[0:1], 0xc8
	v_mul_f32_e32 v1, 0x4f7ffffe, v1
	v_cvt_u32_f32_e32 v1, v1
	s_nop 0
	v_readfirstlane_b32 s39, v1
	s_mul_i32 s38, s38, s39
	s_mul_hi_u32 s38, s39, s38
	s_add_i32 s39, s39, s38
	s_mul_hi_u32 s38, s37, s39
	s_mul_i32 s38, s38, s4
	s_sub_i32 s37, s37, s38
	s_sub_i32 s38, s37, s4
	s_cmp_ge_u32 s37, s4
	s_cselect_b32 s37, s38, s37
	s_sub_i32 s38, s37, s4
	s_cmp_ge_u32 s37, s4
	s_cselect_b32 s4, s38, s37
	s_xor_b32 s4, s4, s29
	s_sub_i32 s4, s4, s29
	s_ashr_i32 s29, s4, 31
	s_waitcnt lgkmcnt(0)
	s_mul_i32 s31, s4, s31
	s_mul_hi_u32 s37, s4, s30
	s_add_i32 s31, s37, s31
	s_mul_i32 s29, s29, s30
	s_add_i32 s31, s31, s29
	s_mul_i32 s4, s4, s30
	s_add_u32 s30, s14, s4
	s_addc_u32 s31, s15, s31
.LBB43_2:
	v_bfe_u32 v1, v0, 10, 10
	s_lshl_b32 s4, s2, 2
	v_lshrrev_b32_e32 v2, 1, v1
	v_and_b32_e32 v40, 0x3ff, v0
	v_add_u32_e32 v45, s4, v2
	s_sub_i32 s29, s6, s7
	v_and_b32_e32 v41, 1, v1
	v_cmp_gt_u32_e64 s[14:15], 20, v40
	v_mul_hi_u32 v0, s24, v45
	s_and_saveexec_b64 s[6:7], s[14:15]
	s_cbranch_execz .LBB43_4
; %bb.3:
	s_load_dwordx4 s[40:43], s[0:1], 0x70
	v_add_u32_e32 v4, v45, v0
	v_lshrrev_b32_e32 v4, s25, v4
	v_mul_lo_u32 v4, v4, s26
	v_sub_u32_e32 v7, v45, v4
	s_waitcnt lgkmcnt(0)
	s_mul_i32 s4, s33, s42
	s_ashr_i32 s37, s4, 31
	s_mul_i32 s24, s29, s41
	s_add_u32 s4, s8, s4
	s_addc_u32 s9, s9, s37
	s_ashr_i32 s37, s24, 31
	s_add_u32 s8, s4, s24
	v_mov_b32_e32 v2, s41
	s_addc_u32 s9, s9, s37
	s_ashr_i32 s4, s41, 31
	v_alignbit_b32 v2, s4, v2, 2
	s_lshr_b32 s4, s4, 2
	v_mul_lo_u32 v3, s4, v41
	s_ashr_i32 s4, s40, 31
	v_mov_b32_e32 v4, s40
	v_alignbit_b32 v4, s4, v4, 2
	v_mad_u64_u32 v[4:5], s[38:39], v4, v7, 0
	v_mov_b32_e32 v6, v5
	s_lshr_b32 s4, s4, 2
	v_mul_lo_u32 v2, v2, v41
	v_mad_u64_u32 v[6:7], s[38:39], s4, v7, v[6:7]
	v_mov_b32_e32 v5, v6
	v_lshl_add_u64 v[2:3], v[2:3], 2, s[8:9]
	v_lshl_add_u64 v[2:3], v[4:5], 2, v[2:3]
	v_lshlrev_b32_e32 v4, 4, v40
	v_mov_b32_e32 v5, 0
	v_lshl_add_u64 v[2:3], v[2:3], 0, v[4:5]
	global_load_dwordx4 v[2:5], v[2:3], off
	s_load_dword s4, s[0:1], 0x40
	v_mul_u32_u24_e32 v6, 40, v1
	s_waitcnt vmcnt(0) lgkmcnt(0)
	v_pk_mul_f32 v[2:3], v[2:3], s[4:5] op_sel_hi:[1,0]
	v_pk_mul_f32 v[4:5], v[4:5], s[4:5] op_sel_hi:[1,0]
	v_cvt_f16_f32_e32 v7, v3
	v_cvt_f16_f32_e32 v3, v5
	;; [unrolled: 1-line block ×4, first 2 shown]
	v_lshlrev_b32_e32 v5, 1, v40
	v_add_lshl_u32 v5, v6, v5, 2
	v_pack_b32_f16 v3, v4, v3
	v_pack_b32_f16 v2, v2, v7
	ds_write_b64 v5, v[2:3] offset:3264
.LBB43_4:
	s_or_b64 exec, exec, s[6:7]
	s_cmp_eq_u64 s[18:19], 0
	s_waitcnt lgkmcnt(0)
	s_barrier
	s_cbranch_scc1 .LBB43_6
; %bb.5:
	s_load_dword s4, s[0:1], 0xd0
	s_mov_b32 s7, 0
	s_waitcnt lgkmcnt(0)
	s_mul_i32 s4, s4, s33
	s_add_i32 s6, s4, s2
	s_lshl_b64 s[6:7], s[6:7], 2
	s_add_u32 s6, s18, s6
	s_addc_u32 s7, s19, s7
	s_load_dword s28, s[6:7], 0x0
.LBB43_6:
	s_lshl_b32 s2, s3, 5
	s_waitcnt lgkmcnt(0)
	s_cmp_lt_i32 s2, s28
	v_mbcnt_lo_u32_b32 v2, -1, 0
	s_cbranch_scc1 .LBB43_8
; %bb.7:
	v_mbcnt_hi_u32_b32 v51, -1, v2
	v_and_b32_e32 v3, 0x60, v51
	s_mov_b32 s4, 0
	v_add_u32_e32 v74, 32, v3
	v_xor_b32_e32 v75, 16, v51
	v_xor_b32_e32 v76, 8, v51
	v_xor_b32_e32 v77, 4, v51
	v_xor_b32_e32 v78, 2, v51
	v_xor_b32_e32 v79, 1, v51
	s_mov_b64 s[6:7], 0
	s_mov_b32 s8, 0xfeffffff
	s_branch .LBB43_9
.LBB43_8:
	s_mov_b64 s[6:7], -1
                                        ; implicit-def: $sgpr8
                                        ; implicit-def: $sgpr4
                                        ; implicit-def: $vgpr51
                                        ; implicit-def: $vgpr74
                                        ; implicit-def: $vgpr75
                                        ; implicit-def: $vgpr76
                                        ; implicit-def: $vgpr77
                                        ; implicit-def: $vgpr78
                                        ; implicit-def: $vgpr79
.LBB43_9:
	s_andn2_b64 vcc, exec, s[6:7]
	v_mov_b32_e32 v60, s8
	v_mov_b32_e32 v80, s4
	v_mov_b32_e32 v53, s4
	v_mov_b32_e32 v57, s4
	s_cbranch_vccnz .LBB43_29
; %bb.10:
	s_load_dwordx2 s[6:7], s[0:1], 0x8c
	s_load_dwordx4 s[40:43], s[0:1], 0x98
	s_sub_i32 s4, 0, s34
	s_mul_i32 s4, s4, s36
	s_mul_hi_u32 s4, s36, s4
	s_ashr_i32 s24, s35, 31
	s_waitcnt lgkmcnt(0)
	s_ashr_i32 s37, s6, 2
	s_ashr_i32 s6, s5, 1
	;; [unrolled: 1-line block ×3, first 2 shown]
	s_mul_i32 s35, s33, s41
	s_mul_hi_u32 s38, s33, s40
	s_abs_i32 s18, s29
	s_add_i32 s36, s36, s4
	s_add_i32 s35, s38, s35
	s_mul_i32 s38, s5, s40
	s_mul_hi_u32 s4, s18, s36
	s_ashr_i32 s19, s29, 31
	s_ashr_i32 s36, s42, 2
	s_add_i32 s35, s35, s38
	s_mul_i32 s38, s33, s40
	s_add_u32 s10, s10, s38
	s_addc_u32 s11, s11, s35
	s_xor_b32 s19, s19, s24
	s_mul_i32 s24, s4, s34
	s_sub_i32 s18, s18, s24
	s_add_i32 s24, s4, 1
	s_sub_i32 s35, s18, s34
	s_cmp_ge_u32 s18, s34
	s_cselect_b32 s4, s24, s4
	s_cselect_b32 s18, s35, s18
	s_add_i32 s24, s4, 1
	s_cmp_ge_u32 s18, s34
	s_load_dwordx2 s[8:9], s[0:1], 0xa8
	s_cselect_b32 s4, s24, s4
	s_xor_b32 s4, s4, s19
	s_sub_i32 s4, s4, s19
	s_mul_i32 s7, s4, s7
	s_ashr_i32 s18, s7, 31
	s_add_u32 s38, s10, s7
	s_waitcnt lgkmcnt(0)
	s_mul_i32 s7, s33, s9
	s_mul_hi_u32 s9, s33, s8
	s_addc_u32 s39, s11, s18
	s_add_i32 s7, s9, s7
	s_mul_i32 s5, s5, s8
	s_add_i32 s7, s7, s5
	s_mul_i32 s5, s33, s8
	s_add_u32 s5, s12, s5
	s_mul_i32 s4, s4, s43
	s_addc_u32 s7, s13, s7
	s_ashr_i32 s8, s4, 31
	s_add_u32 s40, s5, s4
	s_addc_u32 s41, s7, s8
	v_lshl_add_u32 v3, v1, 5, v40
	s_movk_i32 s7, 0x60
	v_add_u32_e32 v0, v45, v0
	v_cmp_gt_u32_e32 vcc, 32, v3
	v_mad_u32_u24 v65, v3, s7, 64
	v_mul_lo_u32 v42, s37, v3
	v_lshlrev_b32_e32 v3, 2, v40
	v_lshrrev_b32_e32 v0, s25, v0
	v_lshrrev_b32_e32 v4, 2, v40
	v_and_b32_e32 v44, 12, v3
	v_mul_lo_u32 v0, v0, s26
	v_lshl_add_u32 v4, v1, 3, v4
	v_lshlrev_b32_e32 v5, 2, v44
	v_sub_u32_e32 v0, v45, v0
	v_mad_u32_u24 v66, v4, s7, v5
	v_mad_u64_u32 v[50:51], s[6:7], v0, s6, v[40:41]
	v_mov_b32_e32 v0, 0x11c0
	v_lshl_add_u32 v67, v1, 6, v0
	v_lshrrev_b32_e32 v0, 1, v40
	v_cmp_gt_u32_e64 s[4:5], 32, v4
	v_mul_lo_u32 v48, s37, v4
	v_lshl_add_u32 v0, v1, 4, v0
	v_lshrrev_b32_e32 v4, 3, v40
	v_mul_u32_u24_e32 v64, 0xa0, v1
	v_lshl_add_u32 v1, v1, 2, v4
	v_and_b32_e32 v52, 4, v3
	v_mul_u32_u24_e32 v4, 0xa0, v0
	v_and_b32_e32 v56, 28, v3
	s_movk_i32 s10, 0xa0
	v_cmp_gt_u32_e64 s[6:7], 16, v0
	v_lshl_or_b32 v4, v52, 2, v4
	v_mul_lo_u32 v54, s36, v0
	v_lshlrev_b32_e32 v0, 2, v56
	v_mul_lo_u32 v58, s36, v1
	s_add_u32 s18, s0, 0xd0
	v_mul_u32_u24_e32 v61, 0x60, v40
	v_ashrrev_i32_e32 v43, 31, v42
	v_mov_b32_e32 v47, 0
	v_ashrrev_i32_e32 v49, 31, v48
	v_lshl_add_u32 v68, v40, 1, v67
	v_cmp_gt_u32_e64 s[8:9], 16, v1
	v_lshlrev_b32_e32 v69, 3, v40
	v_add_u32_e32 v70, 0x80, v4
	v_ashrrev_i32_e32 v55, 31, v54
	v_mad_u32_u24 v71, v1, s10, v0
	v_ashrrev_i32_e32 v59, 31, v58
	s_addc_u32 s19, s1, 0
	v_mov_b32_e32 v4, 0xfeffffff
	v_mbcnt_hi_u32_b32 v51, -1, v2
	s_mov_b32 s42, 0x3fb8aa3b
	s_mov_b32 s43, 0xc2ce8ed0
	;; [unrolled: 1-line block ×3, first 2 shown]
	v_mov_b32_e32 v72, 0x7f800000
	v_mov_b32_e32 v57, 0
	;; [unrolled: 1-line block ×4, first 2 shown]
.LBB43_11:                              ; =>This Inner Loop Header: Depth=1
	s_mul_hi_i32 s11, s2, s37
	s_mul_i32 s10, s2, s37
	s_lshl_b64 s[10:11], s[10:11], 2
	s_add_u32 s10, s38, s10
	s_addc_u32 s11, s39, s11
	v_lshl_add_u64 v[2:3], v[42:43], 2, s[10:11]
	s_and_saveexec_b64 s[12:13], vcc
	s_cbranch_execz .LBB43_13
; %bb.12:                               ;   in Loop: Header=BB43_11 Depth=1
	global_load_dwordx4 v[6:9], v[2:3], off offset:64
	s_waitcnt vmcnt(0)
	ds_write_b128 v65, v[6:9]
.LBB43_13:                              ;   in Loop: Header=BB43_11 Depth=1
	s_or_b64 exec, exec, s[12:13]
	v_lshl_add_u64 v[0:1], v[48:49], 2, s[10:11]
	v_lshlrev_b32_e32 v46, 2, v44
	s_and_saveexec_b64 s[10:11], s[4:5]
	s_cbranch_execz .LBB43_15
; %bb.14:                               ;   in Loop: Header=BB43_11 Depth=1
	v_lshl_add_u64 v[6:7], v[0:1], 0, v[46:47]
	global_load_dwordx4 v[6:9], v[6:7], off
	s_waitcnt vmcnt(0)
	ds_write_b128 v66, v[6:9]
.LBB43_15:                              ;   in Loop: Header=BB43_11 Depth=1
	s_or_b64 exec, exec, s[10:11]
	s_waitcnt lgkmcnt(0)
	s_barrier
	ds_read_b128 v[6:9], v61
	ds_read_b128 v[10:13], v64 offset:3264
	v_mov_b32_e32 v5, 0
	s_waitcnt lgkmcnt(0)
	;;#ASMSTART
	v_dot2_f32_f16 v5, v6, v10, v5
	;;#ASMEND
	s_nop 0
	;;#ASMSTART
	v_dot2_f32_f16 v5, v7, v11, v5
	;;#ASMEND
	s_nop 0
	;;#ASMSTART
	v_dot2_f32_f16 v5, v8, v12, v5
	;;#ASMEND
	s_nop 0
	;;#ASMSTART
	v_dot2_f32_f16 v5, v9, v13, v5
	;;#ASMEND
	ds_read_b128 v[6:9], v61 offset:16
	ds_read_b128 v[10:13], v64 offset:3280
	s_waitcnt lgkmcnt(0)
	;;#ASMSTART
	v_dot2_f32_f16 v5, v6, v10, v5
	;;#ASMEND
	s_nop 0
	;;#ASMSTART
	v_dot2_f32_f16 v5, v7, v11, v5
	;;#ASMEND
	s_nop 0
	;;#ASMSTART
	v_dot2_f32_f16 v5, v8, v12, v5
	;;#ASMEND
	s_nop 0
	;;#ASMSTART
	v_dot2_f32_f16 v5, v9, v13, v5
	;;#ASMEND
	ds_read_b128 v[6:9], v61 offset:32
	ds_read_b128 v[10:13], v64 offset:3296
	;; [unrolled: 18-line block ×4, first 2 shown]
	s_waitcnt lgkmcnt(0)
	;;#ASMSTART
	v_dot2_f32_f16 v5, v6, v10, v5
	;;#ASMEND
	s_nop 0
	;;#ASMSTART
	v_dot2_f32_f16 v5, v7, v11, v5
	;;#ASMEND
	s_nop 0
	;; [unrolled: 4-line block ×3, first 2 shown]
	;;#ASMSTART
	v_dot2_f32_f16 v5, v9, v13, v5
	;;#ASMEND
	s_barrier
	s_and_saveexec_b64 s[10:11], vcc
	s_cbranch_execz .LBB43_17
; %bb.16:                               ;   in Loop: Header=BB43_11 Depth=1
	global_load_dwordx4 v[6:9], v[2:3], off offset:144
	s_waitcnt vmcnt(0)
	ds_write_b128 v65, v[6:9]
.LBB43_17:                              ;   in Loop: Header=BB43_11 Depth=1
	s_or_b64 exec, exec, s[10:11]
	s_and_saveexec_b64 s[10:11], s[4:5]
	s_cbranch_execz .LBB43_19
; %bb.18:                               ;   in Loop: Header=BB43_11 Depth=1
	v_lshl_add_u64 v[0:1], v[0:1], 0, v[46:47]
	global_load_dwordx4 v[0:3], v[0:1], off offset:80
	s_waitcnt vmcnt(0)
	ds_write_b128 v66, v[0:3]
.LBB43_19:                              ;   in Loop: Header=BB43_11 Depth=1
	s_or_b64 exec, exec, s[10:11]
	s_waitcnt lgkmcnt(0)
	s_barrier
	ds_read_b128 v[0:3], v61
	ds_read_b128 v[6:9], v64 offset:3344
	v_add_u32_e32 v10, s2, v50
	s_waitcnt lgkmcnt(0)
	;;#ASMSTART
	v_dot2_f32_f16 v5, v0, v6, v5
	;;#ASMEND
	s_nop 0
	;;#ASMSTART
	v_dot2_f32_f16 v5, v1, v7, v5
	;;#ASMEND
	v_ashrrev_i32_e32 v11, 31, v10
	;;#ASMSTART
	v_dot2_f32_f16 v5, v2, v8, v5
	;;#ASMEND
	v_lshl_add_u64 v[10:11], v[10:11], 1, s[30:31]
	;;#ASMSTART
	v_dot2_f32_f16 v5, v3, v9, v5
	;;#ASMEND
	ds_read_b128 v[0:3], v61 offset:16
	ds_read_b128 v[6:9], v64 offset:3360
	s_waitcnt lgkmcnt(0)
	;;#ASMSTART
	v_dot2_f32_f16 v5, v0, v6, v5
	;;#ASMEND
	s_nop 0
	;;#ASMSTART
	v_dot2_f32_f16 v5, v1, v7, v5
	;;#ASMEND
	v_xor_b32_e32 v75, 16, v51
	;;#ASMSTART
	v_dot2_f32_f16 v5, v2, v8, v5
	;;#ASMEND
	v_xor_b32_e32 v76, 8, v51
	;;#ASMSTART
	v_dot2_f32_f16 v5, v3, v9, v5
	;;#ASMEND
	ds_read_b128 v[0:3], v61 offset:32
	ds_read_b128 v[6:9], v64 offset:3376
	s_waitcnt lgkmcnt(0)
	;;#ASMSTART
	v_dot2_f32_f16 v5, v0, v6, v5
	;;#ASMEND
	s_nop 0
	;;#ASMSTART
	v_dot2_f32_f16 v5, v1, v7, v5
	;;#ASMEND
	v_xor_b32_e32 v77, 4, v51
	;;#ASMSTART
	v_dot2_f32_f16 v5, v2, v8, v5
	;;#ASMEND
	v_xor_b32_e32 v78, 2, v51
	;;#ASMSTART
	v_dot2_f32_f16 v5, v3, v9, v5
	;;#ASMEND
	ds_read_b128 v[0:3], v61 offset:48
	ds_read_b128 v[6:9], v64 offset:3392
	s_waitcnt lgkmcnt(0)
	;;#ASMSTART
	v_dot2_f32_f16 v5, v0, v6, v5
	;;#ASMEND
	s_nop 0
	;;#ASMSTART
	v_dot2_f32_f16 v5, v1, v7, v5
	;;#ASMEND
	v_xor_b32_e32 v79, 1, v51
	;;#ASMSTART
	v_dot2_f32_f16 v5, v2, v8, v5
	;;#ASMEND
	v_lshlrev_b32_e32 v46, 2, v52
	;;#ASMSTART
	v_dot2_f32_f16 v5, v3, v9, v5
	;;#ASMEND
	ds_read_b128 v[0:3], v61 offset:64
	ds_read_b128 v[6:9], v64 offset:3408
	s_waitcnt lgkmcnt(0)
	;;#ASMSTART
	v_dot2_f32_f16 v5, v0, v6, v5
	;;#ASMEND
	s_nop 0
	;;#ASMSTART
	v_dot2_f32_f16 v5, v1, v7, v5
	;;#ASMEND
	v_max_f32_e32 v1, v4, v4
	;;#ASMSTART
	v_dot2_f32_f16 v5, v2, v8, v5
	;;#ASMEND
	v_and_b32_e32 v2, 0x60, v51
	;;#ASMSTART
	v_dot2_f32_f16 v5, v3, v9, v5
	;;#ASMEND
	flat_load_ushort v0, v[10:11]
	v_add_u32_e32 v74, 32, v2
	v_cmp_lt_i32_e64 s[10:11], v75, v74
	s_waitcnt lgkmcnt(0)
	s_barrier
	v_cndmask_b32_e64 v2, v51, v75, s[10:11]
	v_lshlrev_b32_e32 v2, 2, v2
	v_cmp_lt_i32_e64 s[10:11], v76, v74
	s_waitcnt vmcnt(0)
	v_cvt_f32_f16_e32 v0, v0
	v_add_f32_e32 v0, v5, v0
	v_add_f32_e32 v3, 0x40051340, v0
	v_max_f32_e32 v1, v1, v3
	ds_bpermute_b32 v2, v2, v1
	v_cndmask_b32_e64 v3, v51, v76, s[10:11]
	v_lshlrev_b32_e32 v3, 2, v3
	v_cmp_lt_i32_e64 s[10:11], v77, v74
	s_waitcnt lgkmcnt(0)
	v_max_f32_e32 v2, v2, v2
	v_max_f32_e32 v1, v1, v2
	ds_bpermute_b32 v2, v3, v1
	v_cndmask_b32_e64 v3, v51, v77, s[10:11]
	v_lshlrev_b32_e32 v3, 2, v3
	v_cmp_lt_i32_e64 s[10:11], v78, v74
	s_waitcnt lgkmcnt(0)
	v_max_f32_e32 v2, v2, v2
	;; [unrolled: 7-line block ×3, first 2 shown]
	v_max_f32_e32 v1, v1, v2
	ds_bpermute_b32 v2, v3, v1
	v_cndmask_b32_e64 v3, v51, v79, s[10:11]
	v_lshlrev_b32_e32 v3, 2, v3
	s_mul_hi_i32 s11, s2, s36
	s_mul_i32 s10, s2, s36
	s_waitcnt lgkmcnt(0)
	v_max_f32_e32 v2, v2, v2
	v_max_f32_e32 v1, v1, v2
	ds_bpermute_b32 v2, v3, v1
	s_lshl_b64 s[10:11], s[10:11], 2
	s_add_u32 s12, s40, s10
	s_addc_u32 s13, s41, s11
	s_waitcnt lgkmcnt(0)
	v_max_f32_e32 v2, v2, v2
	v_max_f32_e32 v60, v1, v2
	v_sub_f32_e32 v0, v0, v60
	v_mul_f32_e32 v1, 0x3fb8aa3b, v0
	v_fma_f32 v2, v0, s42, -v1
	v_rndne_f32_e32 v3, v1
	v_fmac_f32_e32 v2, 0x32a5705f, v0
	v_sub_f32_e32 v1, v1, v3
	v_add_f32_e32 v1, v1, v2
	v_cvt_i32_f32_e32 v3, v3
	v_exp_f32_e32 v1, v1
	v_cmp_ngt_f32_e64 s[10:11], s43, v0
	v_ldexp_f32 v1, v1, v3
	s_nop 0
	v_cndmask_b32_e64 v1, 0, v1, s[10:11]
	v_cmp_nlt_f32_e64 s[10:11], s44, v0
	s_nop 1
	v_cndmask_b32_e64 v80, v72, v1, s[10:11]
	v_cvt_f16_f32_e32 v0, v80
	ds_write_b16 v68, v0
	s_and_saveexec_b64 s[10:11], s[6:7]
	s_cbranch_execz .LBB43_21
; %bb.20:                               ;   in Loop: Header=BB43_11 Depth=1
	v_lshl_add_u64 v[0:1], v[54:55], 2, s[12:13]
	v_lshl_add_u64 v[0:1], v[0:1], 0, v[46:47]
	global_load_dwordx4 v[0:3], v[0:1], off offset:128
	s_waitcnt vmcnt(0)
	ds_write_b128 v70, v[0:3]
.LBB43_21:                              ;   in Loop: Header=BB43_11 Depth=1
	s_or_b64 exec, exec, s[10:11]
	v_lshlrev_b32_e32 v62, 2, v56
	s_and_saveexec_b64 s[10:11], s[8:9]
	s_cbranch_execz .LBB43_23
; %bb.22:                               ;   in Loop: Header=BB43_11 Depth=1
	v_lshl_add_u64 v[0:1], v[58:59], 2, s[12:13]
	v_mov_b32_e32 v63, v47
	v_lshl_add_u64 v[0:1], v[0:1], 0, v[62:63]
	global_load_dwordx4 v[0:3], v[0:1], off
	s_waitcnt vmcnt(0)
	ds_write_b128 v71, v[0:3]
.LBB43_23:                              ;   in Loop: Header=BB43_11 Depth=1
	s_or_b64 exec, exec, s[10:11]
	s_waitcnt lgkmcnt(0)
	s_barrier
	ds_read2_b64 v[28:31], v69 offset1:20
	ds_read_b128 v[8:11], v67
	ds_read_b128 v[0:3], v67 offset:16
	ds_read2_b64 v[36:39], v69 offset0:40 offset1:60
	ds_read2_b64 v[32:35], v69 offset0:80 offset1:100
	;; [unrolled: 1-line block ×5, first 2 shown]
	v_add_u32_e32 v82, 0x400, v69
	v_add_u32_e32 v81, 0x800, v69
	v_sub_f32_e32 v83, v4, v60
	ds_read2_b64 v[16:19], v82 offset0:112 offset1:132
	ds_read2_b64 v[4:7], v81 offset0:24 offset1:44
	s_or_b32 s24, s2, 16
	s_mul_hi_i32 s25, s24, s36
	s_mul_i32 s24, s24, s36
	s_lshl_b64 s[24:25], s[24:25], 2
	s_add_u32 s24, s40, s24
	v_cmp_ngt_f32_e64 s[10:11], s43, v83
	v_cmp_nlt_f32_e64 s[12:13], s44, v83
	s_addc_u32 s25, s41, s25
	s_waitcnt lgkmcnt(0)
	s_barrier
	s_and_saveexec_b64 s[34:35], s[6:7]
	s_cbranch_execz .LBB43_25
; %bb.24:                               ;   in Loop: Header=BB43_11 Depth=1
	v_lshl_add_u64 v[84:85], v[54:55], 2, s[24:25]
	v_lshl_add_u64 v[84:85], v[84:85], 0, v[46:47]
	global_load_dwordx4 v[84:87], v[84:85], off offset:128
	s_waitcnt vmcnt(0)
	ds_write_b128 v70, v[84:87]
.LBB43_25:                              ;   in Loop: Header=BB43_11 Depth=1
	s_or_b64 exec, exec, s[34:35]
	s_and_saveexec_b64 s[34:35], s[8:9]
	s_cbranch_execz .LBB43_27
; %bb.26:                               ;   in Loop: Header=BB43_11 Depth=1
	v_lshl_add_u64 v[84:85], v[58:59], 2, s[24:25]
	v_mov_b32_e32 v63, v47
	v_lshl_add_u64 v[62:63], v[84:85], 0, v[62:63]
	global_load_dwordx4 v[84:87], v[62:63], off
	s_waitcnt vmcnt(0)
	ds_write_b128 v71, v[84:87]
.LBB43_27:                              ;   in Loop: Header=BB43_11 Depth=1
	s_or_b64 exec, exec, s[34:35]
	v_mul_f32_e32 v46, 0x3fb8aa3b, v83
	v_fma_f32 v62, v83, s42, -v46
	v_rndne_f32_e32 v63, v46
	v_fmac_f32_e32 v62, 0x32a5705f, v83
	v_sub_f32_e32 v46, v46, v63
	v_add_f32_e32 v46, v46, v62
	v_cvt_i32_f32_e32 v62, v63
	v_exp_f32_e32 v46, v46
	v_pk_mul_f16 v28, v28, v8 op_sel_hi:[1,0]
	v_pk_mul_f16 v29, v29, v8 op_sel_hi:[1,0]
	s_waitcnt lgkmcnt(0)
	v_ldexp_f32 v46, v46, v62
	v_cndmask_b32_e64 v46, 0, v46, s[10:11]
	v_cndmask_b32_e64 v46, v72, v46, s[12:13]
	v_cvt_f16_f32_e32 v62, v46
	s_barrier
	v_fmac_f32_e32 v80, v73, v46
	v_pk_fma_f16 v28, v57, v62, v28 op_sel_hi:[1,0,1]
	v_pk_fma_f16 v29, v53, v62, v29 op_sel_hi:[1,0,1]
	v_pk_fma_f16 v28, v30, v8, v28 op_sel:[0,1,0]
	v_pk_fma_f16 v8, v31, v8, v29 op_sel:[0,1,0]
	v_pk_fma_f16 v28, v36, v9, v28 op_sel_hi:[1,0,1]
	v_pk_fma_f16 v8, v37, v9, v8 op_sel_hi:[1,0,1]
	v_pk_fma_f16 v28, v38, v9, v28 op_sel:[0,1,0]
	v_pk_fma_f16 v8, v39, v9, v8 op_sel:[0,1,0]
	;; [unrolled: 4-line block ×6, first 2 shown]
	v_pk_fma_f16 v1, v16, v2, v8 op_sel_hi:[1,0,1]
	ds_read2_b64 v[8:11], v69 offset1:20
	ds_read_b128 v[12:15], v67 offset:32
	v_pk_fma_f16 v0, v17, v2, v0 op_sel_hi:[1,0,1]
	v_pk_fma_f16 v1, v18, v2, v1 op_sel:[0,1,0]
	v_pk_fma_f16 v0, v19, v2, v0 op_sel:[0,1,0]
	v_pk_fma_f16 v1, v4, v3, v1 op_sel_hi:[1,0,1]
	v_pk_fma_f16 v0, v5, v3, v0 op_sel_hi:[1,0,1]
	v_pk_fma_f16 v4, v6, v3, v1 op_sel:[0,1,0]
	v_pk_fma_f16 v16, v7, v3, v0 op_sel:[0,1,0]
	s_waitcnt lgkmcnt(0)
	v_pk_fma_f16 v8, v8, v12, v4 op_sel_hi:[1,0,1]
	ds_read2_b64 v[4:7], v69 offset0:40 offset1:60
	v_pk_fma_f16 v9, v9, v12, v16 op_sel_hi:[1,0,1]
	v_pk_fma_f16 v16, v10, v12, v8 op_sel:[0,1,0]
	v_pk_fma_f16 v12, v11, v12, v9 op_sel:[0,1,0]
	ds_read2_b64 v[8:11], v69 offset0:80 offset1:100
	s_waitcnt lgkmcnt(1)
	v_pk_fma_f16 v4, v4, v13, v16 op_sel_hi:[1,0,1]
	v_pk_fma_f16 v5, v5, v13, v12 op_sel_hi:[1,0,1]
	v_pk_fma_f16 v4, v6, v13, v4 op_sel:[0,1,0]
	v_pk_fma_f16 v12, v7, v13, v5 op_sel:[0,1,0]
	s_waitcnt lgkmcnt(0)
	v_pk_fma_f16 v8, v8, v14, v4 op_sel_hi:[1,0,1]
	ds_read2_b64 v[4:7], v69 offset0:120 offset1:140
	v_pk_fma_f16 v9, v9, v14, v12 op_sel_hi:[1,0,1]
	ds_read_b128 v[0:3], v67 offset:48
	v_pk_fma_f16 v12, v10, v14, v8 op_sel:[0,1,0]
	v_pk_fma_f16 v13, v11, v14, v9 op_sel:[0,1,0]
	ds_read2_b64 v[8:11], v69 offset0:160 offset1:180
	s_waitcnt lgkmcnt(2)
	v_pk_fma_f16 v4, v4, v15, v12 op_sel_hi:[1,0,1]
	v_pk_fma_f16 v5, v5, v15, v13 op_sel_hi:[1,0,1]
	v_pk_fma_f16 v4, v6, v15, v4 op_sel:[0,1,0]
	v_pk_fma_f16 v12, v7, v15, v5 op_sel:[0,1,0]
	s_waitcnt lgkmcnt(0)
	v_pk_fma_f16 v8, v8, v0, v4 op_sel_hi:[1,0,1]
	ds_read2_b64 v[4:7], v69 offset0:200 offset1:220
	v_pk_fma_f16 v9, v9, v0, v12 op_sel_hi:[1,0,1]
	v_pk_fma_f16 v12, v10, v0, v8 op_sel:[0,1,0]
	v_pk_fma_f16 v0, v11, v0, v9 op_sel:[0,1,0]
	ds_read2_b64 v[8:11], v82 offset0:112 offset1:132
	s_waitcnt lgkmcnt(1)
	v_pk_fma_f16 v4, v4, v1, v12 op_sel_hi:[1,0,1]
	v_pk_fma_f16 v0, v5, v1, v0 op_sel_hi:[1,0,1]
	v_pk_fma_f16 v4, v6, v1, v4 op_sel:[0,1,0]
	v_pk_fma_f16 v0, v7, v1, v0 op_sel:[0,1,0]
	s_waitcnt lgkmcnt(0)
	v_pk_fma_f16 v1, v8, v2, v4 op_sel_hi:[1,0,1]
	ds_read2_b64 v[4:7], v81 offset0:24 offset1:44
	s_waitcnt lgkmcnt(0)
	s_barrier
	s_load_dword s10, s[18:19], 0x4
	v_pk_fma_f16 v0, v9, v2, v0 op_sel_hi:[1,0,1]
	v_pk_fma_f16 v1, v10, v2, v1 op_sel:[0,1,0]
	v_pk_fma_f16 v0, v11, v2, v0 op_sel:[0,1,0]
	v_pk_fma_f16 v1, v4, v3, v1 op_sel_hi:[1,0,1]
	s_waitcnt lgkmcnt(0)
	s_lshl_b32 s10, s10, 5
	v_pk_fma_f16 v0, v5, v3, v0 op_sel_hi:[1,0,1]
	s_add_i32 s2, s10, s2
	v_pk_fma_f16 v57, v6, v3, v1 op_sel:[0,1,0]
	s_cmp_lt_i32 s2, s28
	v_pk_fma_f16 v53, v7, v3, v0 op_sel:[0,1,0]
	s_cbranch_scc0 .LBB43_29
; %bb.28:                               ;   in Loop: Header=BB43_11 Depth=1
	v_mov_b32_e32 v4, v60
	v_mov_b32_e32 v73, v80
	s_branch .LBB43_11
.LBB43_29:
	v_cmp_lt_i32_e32 vcc, v75, v74
	s_cmp_eq_u64 s[16:17], 0
	s_cselect_b64 s[4:5], -1, 0
	v_cndmask_b32_e32 v0, v51, v75, vcc
	v_lshlrev_b32_e32 v0, 2, v0
	ds_bpermute_b32 v0, v0, v80
	v_cmp_lt_i32_e32 vcc, v76, v74
	s_cmp_lg_u32 s3, 0
	s_cselect_b64 s[6:7], -1, 0
	v_cndmask_b32_e32 v1, v51, v76, vcc
	v_lshlrev_b32_e32 v1, 2, v1
	s_waitcnt lgkmcnt(0)
	v_add_f32_e32 v0, v80, v0
	ds_bpermute_b32 v1, v1, v0
	v_cmp_lt_i32_e32 vcc, v77, v74
	s_or_b64 s[4:5], s[6:7], s[4:5]
	s_waitcnt lgkmcnt(0)
	v_add_f32_e32 v0, v0, v1
	v_cndmask_b32_e32 v2, v51, v77, vcc
	v_lshlrev_b32_e32 v2, 2, v2
	ds_bpermute_b32 v1, v2, v0
	v_cmp_lt_i32_e32 vcc, v78, v74
	s_waitcnt lgkmcnt(0)
	v_add_f32_e32 v0, v0, v1
	v_cndmask_b32_e32 v2, v51, v78, vcc
	v_lshlrev_b32_e32 v2, 2, v2
	ds_bpermute_b32 v1, v2, v0
	v_cmp_lt_i32_e32 vcc, v79, v74
	s_waitcnt lgkmcnt(0)
	v_add_f32_e32 v0, v0, v1
	v_cndmask_b32_e32 v2, v51, v79, vcc
	v_lshlrev_b32_e32 v2, 2, v2
	ds_bpermute_b32 v1, v2, v0
	s_and_b64 vcc, exec, s[4:5]
	s_waitcnt lgkmcnt(0)
	v_add_f32_e32 v61, v0, v1
	s_cbranch_vccnz .LBB43_32
; %bb.30:
	v_add_u32_e32 v0, s29, v41
	v_ashrrev_i32_e32 v1, 31, v0
	v_lshl_add_u64 v[0:1], v[0:1], 2, s[16:17]
	global_load_dword v1, v[0:1], off
	v_max_f32_e32 v0, v60, v60
	s_mov_b32 s2, 0x3fb8aa3b
	s_mov_b32 s4, 0xc2ce8ed0
	s_waitcnt vmcnt(0)
	v_max_f32_e32 v2, v1, v1
	v_max_f32_e32 v0, v0, v2
	v_sub_f32_e32 v2, v60, v0
	v_sub_f32_e32 v1, v1, v0
	v_mul_f32_e32 v3, 0x3fb8aa3b, v2
	v_mul_f32_e32 v4, 0x3fb8aa3b, v1
	v_fma_f32 v5, v2, s2, -v3
	v_rndne_f32_e32 v6, v3
	v_fma_f32 v7, v1, s2, -v4
	v_rndne_f32_e32 v8, v4
	v_fmac_f32_e32 v5, 0x32a5705f, v2
	v_sub_f32_e32 v3, v3, v6
	v_fmac_f32_e32 v7, 0x32a5705f, v1
	v_sub_f32_e32 v4, v4, v8
	v_add_f32_e32 v3, v3, v5
	v_cvt_i32_f32_e32 v6, v6
	v_add_f32_e32 v4, v4, v7
	v_exp_f32_e32 v3, v3
	v_cvt_i32_f32_e32 v8, v8
	v_exp_f32_e32 v4, v4
	v_cmp_ngt_f32_e32 vcc, s4, v2
	v_ldexp_f32 v3, v3, v6
	s_mov_b32 s2, 0x42b17218
	v_ldexp_f32 v4, v4, v8
	v_cndmask_b32_e32 v3, 0, v3, vcc
	v_cmp_ngt_f32_e32 vcc, s4, v1
	v_mov_b32_e32 v5, 0x7f800000
	s_nop 0
	v_cndmask_b32_e32 v4, 0, v4, vcc
	v_cmp_nlt_f32_e32 vcc, s2, v2
	s_nop 1
	v_cndmask_b32_e32 v2, v5, v3, vcc
	v_cvt_f16_f32_e32 v3, v2
	v_cmp_nlt_f32_e32 vcc, s2, v1
	v_pk_mul_f16 v57, v3, v57 op_sel_hi:[0,1]
	s_nop 0
	v_cndmask_b32_e32 v1, v5, v4, vcc
	v_fmac_f32_e32 v1, v61, v2
	v_pk_mul_f16 v53, v3, v53 op_sel_hi:[0,1]
	v_mov_b64_e32 v[60:61], v[0:1]
	v_cmp_gt_i32_e32 vcc, s26, v45
	s_and_saveexec_b64 s[4:5], vcc
	s_cbranch_execnz .LBB43_33
.LBB43_31:
	s_endpgm
.LBB43_32:
	v_mov_b32_e32 v1, v61
	v_cmp_gt_i32_e32 vcc, s26, v45
	s_and_saveexec_b64 s[4:5], vcc
	s_cbranch_execz .LBB43_31
.LBB43_33:
	s_load_dword s2, s[0:1], 0xd4
	s_mul_i32 s33, s33, s26
	v_add_u32_e32 v0, s33, v45
	v_mul_lo_u32 v0, v0, s27
	v_add3_u32 v0, s29, v41, v0
	s_waitcnt lgkmcnt(0)
	s_cmp_lg_u32 s2, 1
	v_mul_lo_u32 v0, s2, v0
	s_cselect_b64 s[0:1], -1, 0
	v_add_u32_e32 v0, s3, v0
	s_and_saveexec_b64 s[2:3], s[14:15]
	s_cbranch_execz .LBB43_35
; %bb.34:
	v_div_scale_f32 v4, s[4:5], v1, v1, 1.0
	v_rcp_f32_e32 v5, v4
	v_cvt_f32_f16_sdwa v9, v57 dst_sel:DWORD dst_unused:UNUSED_PAD src0_sel:WORD_1
	v_cvt_f32_f16_sdwa v11, v53 dst_sel:DWORD dst_unused:UNUSED_PAD src0_sel:WORD_1
	v_cvt_f32_f16_e32 v10, v53
	v_fma_f32 v6, -v4, v5, 1.0
	v_fmac_f32_e32 v5, v6, v5
	v_div_scale_f32 v6, vcc, 1.0, v1, 1.0
	v_mul_f32_e32 v7, v6, v5
	v_fma_f32 v8, -v4, v7, v6
	v_fmac_f32_e32 v7, v8, v5
	v_fma_f32 v4, -v4, v7, v6
	v_div_fmas_f32 v4, v4, v5, v7
	v_cvt_f32_f16_e32 v8, v57
	v_div_fixup_f32 v1, v4, v1, 1.0
	s_movk_i32 s4, 0x50
	v_cndmask_b32_e64 v4, v1, 1.0, s[0:1]
	v_mul_lo_u32 v1, v0, s4
	v_mov_b32_e32 v2, s20
	v_mov_b32_e32 v3, s21
	v_lshl_add_u32 v6, v40, 2, v1
	v_mov_b32_e32 v7, 0
	v_lshl_add_u64 v[6:7], v[6:7], 2, v[2:3]
	v_pk_mul_f32 v[2:3], v[4:5], v[8:9] op_sel_hi:[0,1]
	v_pk_mul_f32 v[4:5], v[4:5], v[10:11] op_sel_hi:[0,1]
	global_store_dwordx4 v[6:7], v[2:5], off
.LBB43_35:
	s_or_b64 exec, exec, s[2:3]
	v_cmp_eq_u32_e32 vcc, 0, v40
	s_and_b64 s[0:1], vcc, s[0:1]
	s_and_b64 exec, exec, s[0:1]
	s_cbranch_execz .LBB43_31
; %bb.36:
	v_mov_b32_e32 v2, s22
	v_mov_b32_e32 v3, s23
	v_ashrrev_i32_e32 v1, 31, v0
	v_lshl_add_u64 v[0:1], v[0:1], 3, v[2:3]
	global_store_dwordx2 v[0:1], v[60:61], off
	s_endpgm
	.section	.rodata,"a",@progbits
	.p2align	6, 0x0
	.amdhsa_kernel _ZL15flash_attn_tileILi80ELi80ELi4ELi2ELb0EEvPKcS1_S1_S1_S1_PKiPfP15HIP_vector_typeIfLj2EEffffjfiS5_IjLj3EEiiiiiiiiiiiliiliiiiil
		.amdhsa_group_segment_fixed_size 5056
		.amdhsa_private_segment_fixed_size 0
		.amdhsa_kernarg_size 464
		.amdhsa_user_sgpr_count 2
		.amdhsa_user_sgpr_dispatch_ptr 0
		.amdhsa_user_sgpr_queue_ptr 0
		.amdhsa_user_sgpr_kernarg_segment_ptr 1
		.amdhsa_user_sgpr_dispatch_id 0
		.amdhsa_user_sgpr_kernarg_preload_length 0
		.amdhsa_user_sgpr_kernarg_preload_offset 0
		.amdhsa_user_sgpr_private_segment_size 0
		.amdhsa_uses_dynamic_stack 0
		.amdhsa_enable_private_segment 0
		.amdhsa_system_sgpr_workgroup_id_x 1
		.amdhsa_system_sgpr_workgroup_id_y 1
		.amdhsa_system_sgpr_workgroup_id_z 1
		.amdhsa_system_sgpr_workgroup_info 0
		.amdhsa_system_vgpr_workitem_id 1
		.amdhsa_next_free_vgpr 88
		.amdhsa_next_free_sgpr 45
		.amdhsa_accum_offset 88
		.amdhsa_reserve_vcc 1
		.amdhsa_float_round_mode_32 0
		.amdhsa_float_round_mode_16_64 0
		.amdhsa_float_denorm_mode_32 3
		.amdhsa_float_denorm_mode_16_64 3
		.amdhsa_dx10_clamp 1
		.amdhsa_ieee_mode 1
		.amdhsa_fp16_overflow 0
		.amdhsa_tg_split 0
		.amdhsa_exception_fp_ieee_invalid_op 0
		.amdhsa_exception_fp_denorm_src 0
		.amdhsa_exception_fp_ieee_div_zero 0
		.amdhsa_exception_fp_ieee_overflow 0
		.amdhsa_exception_fp_ieee_underflow 0
		.amdhsa_exception_fp_ieee_inexact 0
		.amdhsa_exception_int_div_zero 0
	.end_amdhsa_kernel
	.section	.text._ZL15flash_attn_tileILi80ELi80ELi4ELi2ELb0EEvPKcS1_S1_S1_S1_PKiPfP15HIP_vector_typeIfLj2EEffffjfiS5_IjLj3EEiiiiiiiiiiiliiliiiiil,"axG",@progbits,_ZL15flash_attn_tileILi80ELi80ELi4ELi2ELb0EEvPKcS1_S1_S1_S1_PKiPfP15HIP_vector_typeIfLj2EEffffjfiS5_IjLj3EEiiiiiiiiiiiliiliiiiil,comdat
.Lfunc_end43:
	.size	_ZL15flash_attn_tileILi80ELi80ELi4ELi2ELb0EEvPKcS1_S1_S1_S1_PKiPfP15HIP_vector_typeIfLj2EEffffjfiS5_IjLj3EEiiiiiiiiiiiliiliiiiil, .Lfunc_end43-_ZL15flash_attn_tileILi80ELi80ELi4ELi2ELb0EEvPKcS1_S1_S1_S1_PKiPfP15HIP_vector_typeIfLj2EEffffjfiS5_IjLj3EEiiiiiiiiiiiliiliiiiil
                                        ; -- End function
	.section	.AMDGPU.csdata,"",@progbits
; Kernel info:
; codeLenInByte = 4636
; NumSgprs: 51
; NumVgprs: 88
; NumAgprs: 0
; TotalNumVgprs: 88
; ScratchSize: 0
; MemoryBound: 0
; FloatMode: 240
; IeeeMode: 1
; LDSByteSize: 5056 bytes/workgroup (compile time only)
; SGPRBlocks: 6
; VGPRBlocks: 10
; NumSGPRsForWavesPerEU: 51
; NumVGPRsForWavesPerEU: 88
; AccumOffset: 88
; Occupancy: 5
; WaveLimiterHint : 1
; COMPUTE_PGM_RSRC2:SCRATCH_EN: 0
; COMPUTE_PGM_RSRC2:USER_SGPR: 2
; COMPUTE_PGM_RSRC2:TRAP_HANDLER: 0
; COMPUTE_PGM_RSRC2:TGID_X_EN: 1
; COMPUTE_PGM_RSRC2:TGID_Y_EN: 1
; COMPUTE_PGM_RSRC2:TGID_Z_EN: 1
; COMPUTE_PGM_RSRC2:TIDIG_COMP_CNT: 1
; COMPUTE_PGM_RSRC3_GFX90A:ACCUM_OFFSET: 21
; COMPUTE_PGM_RSRC3_GFX90A:TG_SPLIT: 0
	.section	.text._ZL33flash_attn_stream_k_fixup_uniformILi80ELi4ELi2EEvPfPK15HIP_vector_typeIfLj2EEiiiiiiS1_IjLj3EES5_S5_,"axG",@progbits,_ZL33flash_attn_stream_k_fixup_uniformILi80ELi4ELi2EEvPfPK15HIP_vector_typeIfLj2EEiiiiiiS1_IjLj3EES5_S5_,comdat
	.globl	_ZL33flash_attn_stream_k_fixup_uniformILi80ELi4ELi2EEvPfPK15HIP_vector_typeIfLj2EEiiiiiiS1_IjLj3EES5_S5_ ; -- Begin function _ZL33flash_attn_stream_k_fixup_uniformILi80ELi4ELi2EEvPfPK15HIP_vector_typeIfLj2EEiiiiiiS1_IjLj3EES5_S5_
	.p2align	8
	.type	_ZL33flash_attn_stream_k_fixup_uniformILi80ELi4ELi2EEvPfPK15HIP_vector_typeIfLj2EEiiiiiiS1_IjLj3EES5_S5_,@function
_ZL33flash_attn_stream_k_fixup_uniformILi80ELi4ELi2EEvPfPK15HIP_vector_typeIfLj2EEiiiiiiS1_IjLj3EES5_S5_: ; @_ZL33flash_attn_stream_k_fixup_uniformILi80ELi4ELi2EEvPfPK15HIP_vector_typeIfLj2EEiiiiiiS1_IjLj3EES5_S5_
; %bb.0:
	s_load_dwordx8 s[8:15], s[0:1], 0x1c
	s_load_dwordx2 s[6:7], s[0:1], 0x10
	s_load_dwordx4 s[16:19], s[0:1], 0x3c
	s_waitcnt lgkmcnt(0)
	s_mul_hi_u32 s5, s11, s2
	s_add_i32 s5, s2, s5
	s_lshr_b32 s5, s5, s12
	s_mul_i32 s11, s5, s13
	s_sub_i32 s12, s2, s11
	s_mul_hi_u32 s11, s12, s14
	s_add_i32 s11, s12, s11
	s_lshr_b32 s11, s11, s15
	s_mul_i32 s13, s11, s16
	s_sub_i32 s12, s12, s13
	s_mul_hi_u32 s13, s12, s17
	s_add_i32 s13, s12, s13
	s_lshr_b32 s13, s13, s18
	s_mul_i32 s14, s13, s19
	s_sub_i32 s16, s12, s14
	s_lshl_b32 s12, s16, 2
	s_lshl_b32 s17, s13, 1
	s_add_i32 s12, s12, s3
	s_cmp_lt_i32 s12, s6
	s_cselect_b64 s[12:13], -1, 0
	s_add_i32 s17, s17, s4
	s_cmp_lt_i32 s17, s9
	s_cselect_b64 s[14:15], -1, 0
	s_and_b64 s[12:13], s[12:13], s[14:15]
	s_andn2_b64 vcc, exec, s[12:13]
	s_cbranch_vccnz .LBB44_6
; %bb.1:
	s_load_dwordx4 s[12:15], s[0:1], 0x0
	s_mul_i32 s0, s5, s6
	s_mul_i32 s11, s11, s9
	s_add_i32 s0, s0, s3
	s_mul_i32 s0, s0, s7
	s_add_i32 s5, s17, s11
	;; [unrolled: 2-line block ×3, first 2 shown]
	s_mulk_i32 s1, 0x140
	s_mulk_i32 s0, 0x50
	s_add_i32 s0, s0, s1
	v_add_u32_e32 v4, s0, v0
	s_waitcnt lgkmcnt(0)
	v_mov_b32_e32 v2, s12
	v_mov_b32_e32 v3, s13
	v_ashrrev_i32_e32 v5, 31, v4
	v_lshl_add_u64 v[2:3], v[4:5], 2, v[2:3]
	global_load_dword v7, v[2:3], off
	s_mul_i32 s5, s2, s10
	s_lshl_b32 s11, s3, 1
	s_add_i32 s9, s5, s10
	s_add_i32 s0, s11, s4
	s_lshl_b32 s1, s9, 3
	s_add_i32 s0, s0, s1
	s_add_i32 s0, s0, -8
	s_ashr_i32 s1, s0, 31
	s_lshl_b64 s[0:1], s[0:1], 3
	s_add_u32 s0, s14, s0
	s_addc_u32 s1, s15, s1
	s_load_dword s12, s[0:1], 0x4
	s_add_i32 s6, s9, -2
	s_cmp_lt_i32 s6, s5
	s_cbranch_scc1 .LBB44_4
; %bb.2:
	s_lshl_b32 s6, s8, 5
	s_ashr_i32 s7, s6, 31
	s_lshl_b64 s[6:7], s[6:7], 2
	s_add_u32 s6, s14, s6
	s_addc_u32 s7, s15, s7
	s_add_i32 s2, s2, 1
	s_load_dword s0, s[0:1], 0x0
	s_mul_i32 s1, s10, s2
	s_lshl_b32 s2, s1, 3
	s_add_i32 s2, s4, s2
	s_mulk_i32 s3, 0xa0
	s_mulk_i32 s4, 0x50
	s_lshl_b32 s8, s8, 3
	s_mulk_i32 s1, 0x280
	s_add_i32 s3, s4, s3
	s_add_i32 s2, s2, s8
	;; [unrolled: 1-line block ×4, first 2 shown]
	v_add_u32_e32 v0, s3, v0
	s_add_i32 s9, s9, -1
	s_add_i32 s2, s2, -16
	v_add_u32_e32 v0, 0xfffffb00, v0
	s_waitcnt lgkmcnt(0)
	v_mov_b32_e32 v6, s12
	v_mov_b32_e32 v5, s0
	s_mov_b32 s4, 0x3fb8aa3b
	s_mov_b32 s8, 0xc2ce8ed0
	;; [unrolled: 1-line block ×3, first 2 shown]
	v_mov_b32_e32 v4, 0x7f800000
	s_mov_b32 s11, 0xc1a00000
.LBB44_3:                               ; =>This Inner Loop Header: Depth=1
	v_ashrrev_i32_e32 v1, 31, v0
	v_lshl_add_u64 v[8:9], v[0:1], 2, s[6:7]
	global_load_dword v1, v[8:9], off
	s_ashr_i32 s3, s2, 31
	s_lshl_b64 s[0:1], s[2:3], 3
	s_add_u32 s0, s14, s0
	s_addc_u32 s1, s15, s1
	s_load_dwordx2 s[12:13], s[0:1], 0x0
	s_waitcnt vmcnt(1)
	v_mov_b32_e32 v8, v7
	v_max_f32_e32 v7, v5, v5
	v_mov_b32_e32 v9, v6
	s_add_i32 s9, s9, -1
	s_waitcnt lgkmcnt(0)
	v_max_f32_e64 v6, s12, s12
	v_max_f32_e32 v6, v7, v6
	v_sub_f32_e32 v10, s12, v6
	v_sub_f32_e32 v7, v5, v6
	v_mul_f32_e32 v11, 0x3fb8aa3b, v10
	v_mov_b32_e32 v5, v6
	v_mul_f32_e32 v6, 0x3fb8aa3b, v7
	v_fma_f32 v14, v10, s4, -v11
	v_rndne_f32_e32 v15, v11
	v_fma_f32 v12, v7, s4, -v6
	v_rndne_f32_e32 v13, v6
	v_fmac_f32_e32 v14, 0x32a5705f, v10
	v_sub_f32_e32 v11, v11, v15
	v_fmac_f32_e32 v12, 0x32a5705f, v7
	v_sub_f32_e32 v6, v6, v13
	v_add_f32_e32 v11, v11, v14
	v_cvt_i32_f32_e32 v15, v15
	v_add_f32_e32 v6, v6, v12
	v_exp_f32_e32 v11, v11
	v_cvt_i32_f32_e32 v13, v13
	v_exp_f32_e32 v6, v6
	v_cmp_ngt_f32_e32 vcc, s8, v10
	v_ldexp_f32 v11, v11, v15
	v_cmp_ngt_f32_e64 s[0:1], s8, v7
	v_ldexp_f32 v6, v6, v13
	v_cndmask_b32_e32 v11, 0, v11, vcc
	v_cmp_nlt_f32_e32 vcc, s10, v10
	v_cndmask_b32_e64 v6, 0, v6, s[0:1]
	v_cmp_nlt_f32_e64 s[0:1], s10, v7
	v_cndmask_b32_e32 v11, v4, v11, vcc
	v_cmp_le_f32_e32 vcc, s11, v10
	v_cndmask_b32_e64 v6, v4, v6, s[0:1]
	v_cmp_le_f32_e64 s[0:1], s11, v7
	v_cndmask_b32_e32 v7, 0, v11, vcc
	s_add_i32 s2, s2, -8
	v_cndmask_b32_e64 v10, 0, v6, s[0:1]
	v_mul_f32_e32 v6, s13, v7
	v_add_u32_e32 v0, 0xfffffd80, v0
	s_cmp_le_i32 s9, s5
	v_fmac_f32_e32 v6, v9, v10
	s_waitcnt vmcnt(0)
	v_mul_f32_e32 v7, v1, v7
	v_fmac_f32_e32 v7, v8, v10
	s_cbranch_scc0 .LBB44_3
	s_branch .LBB44_5
.LBB44_4:
	s_waitcnt lgkmcnt(0)
	v_mov_b32_e32 v6, s12
.LBB44_5:
	s_waitcnt vmcnt(0)
	v_div_scale_f32 v0, s[0:1], v6, v6, v7
	v_rcp_f32_e32 v1, v0
	v_div_scale_f32 v4, vcc, v7, v6, v7
	v_fma_f32 v5, -v0, v1, 1.0
	v_fmac_f32_e32 v1, v5, v1
	v_mul_f32_e32 v5, v4, v1
	v_fma_f32 v8, -v0, v5, v4
	v_fmac_f32_e32 v5, v8, v1
	v_fma_f32 v0, -v0, v5, v4
	v_div_fmas_f32 v0, v0, v1, v5
	v_div_fixup_f32 v0, v0, v6, v7
	global_store_dword v[2:3], v0, off
.LBB44_6:
	s_endpgm
	.section	.rodata,"a",@progbits
	.p2align	6, 0x0
	.amdhsa_kernel _ZL33flash_attn_stream_k_fixup_uniformILi80ELi4ELi2EEvPfPK15HIP_vector_typeIfLj2EEiiiiiiS1_IjLj3EES5_S5_
		.amdhsa_group_segment_fixed_size 0
		.amdhsa_private_segment_fixed_size 0
		.amdhsa_kernarg_size 76
		.amdhsa_user_sgpr_count 2
		.amdhsa_user_sgpr_dispatch_ptr 0
		.amdhsa_user_sgpr_queue_ptr 0
		.amdhsa_user_sgpr_kernarg_segment_ptr 1
		.amdhsa_user_sgpr_dispatch_id 0
		.amdhsa_user_sgpr_kernarg_preload_length 0
		.amdhsa_user_sgpr_kernarg_preload_offset 0
		.amdhsa_user_sgpr_private_segment_size 0
		.amdhsa_uses_dynamic_stack 0
		.amdhsa_enable_private_segment 0
		.amdhsa_system_sgpr_workgroup_id_x 1
		.amdhsa_system_sgpr_workgroup_id_y 1
		.amdhsa_system_sgpr_workgroup_id_z 1
		.amdhsa_system_sgpr_workgroup_info 0
		.amdhsa_system_vgpr_workitem_id 0
		.amdhsa_next_free_vgpr 16
		.amdhsa_next_free_sgpr 20
		.amdhsa_accum_offset 16
		.amdhsa_reserve_vcc 1
		.amdhsa_float_round_mode_32 0
		.amdhsa_float_round_mode_16_64 0
		.amdhsa_float_denorm_mode_32 3
		.amdhsa_float_denorm_mode_16_64 3
		.amdhsa_dx10_clamp 1
		.amdhsa_ieee_mode 1
		.amdhsa_fp16_overflow 0
		.amdhsa_tg_split 0
		.amdhsa_exception_fp_ieee_invalid_op 0
		.amdhsa_exception_fp_denorm_src 0
		.amdhsa_exception_fp_ieee_div_zero 0
		.amdhsa_exception_fp_ieee_overflow 0
		.amdhsa_exception_fp_ieee_underflow 0
		.amdhsa_exception_fp_ieee_inexact 0
		.amdhsa_exception_int_div_zero 0
	.end_amdhsa_kernel
	.section	.text._ZL33flash_attn_stream_k_fixup_uniformILi80ELi4ELi2EEvPfPK15HIP_vector_typeIfLj2EEiiiiiiS1_IjLj3EES5_S5_,"axG",@progbits,_ZL33flash_attn_stream_k_fixup_uniformILi80ELi4ELi2EEvPfPK15HIP_vector_typeIfLj2EEiiiiiiS1_IjLj3EES5_S5_,comdat
.Lfunc_end44:
	.size	_ZL33flash_attn_stream_k_fixup_uniformILi80ELi4ELi2EEvPfPK15HIP_vector_typeIfLj2EEiiiiiiS1_IjLj3EES5_S5_, .Lfunc_end44-_ZL33flash_attn_stream_k_fixup_uniformILi80ELi4ELi2EEvPfPK15HIP_vector_typeIfLj2EEiiiiiiS1_IjLj3EES5_S5_
                                        ; -- End function
	.section	.AMDGPU.csdata,"",@progbits
; Kernel info:
; codeLenInByte = 836
; NumSgprs: 26
; NumVgprs: 16
; NumAgprs: 0
; TotalNumVgprs: 16
; ScratchSize: 0
; MemoryBound: 0
; FloatMode: 240
; IeeeMode: 1
; LDSByteSize: 0 bytes/workgroup (compile time only)
; SGPRBlocks: 3
; VGPRBlocks: 1
; NumSGPRsForWavesPerEU: 26
; NumVGPRsForWavesPerEU: 16
; AccumOffset: 16
; Occupancy: 8
; WaveLimiterHint : 0
; COMPUTE_PGM_RSRC2:SCRATCH_EN: 0
; COMPUTE_PGM_RSRC2:USER_SGPR: 2
; COMPUTE_PGM_RSRC2:TRAP_HANDLER: 0
; COMPUTE_PGM_RSRC2:TGID_X_EN: 1
; COMPUTE_PGM_RSRC2:TGID_Y_EN: 1
; COMPUTE_PGM_RSRC2:TGID_Z_EN: 1
; COMPUTE_PGM_RSRC2:TIDIG_COMP_CNT: 0
; COMPUTE_PGM_RSRC3_GFX90A:ACCUM_OFFSET: 3
; COMPUTE_PGM_RSRC3_GFX90A:TG_SPLIT: 0
	.section	.text._ZL33flash_attn_stream_k_fixup_generalILi80ELi4ELi2EEvPfPK15HIP_vector_typeIfLj2EEiiiiS1_IjLj3EES5_S5_S5_,"axG",@progbits,_ZL33flash_attn_stream_k_fixup_generalILi80ELi4ELi2EEvPfPK15HIP_vector_typeIfLj2EEiiiiS1_IjLj3EES5_S5_S5_,comdat
	.globl	_ZL33flash_attn_stream_k_fixup_generalILi80ELi4ELi2EEvPfPK15HIP_vector_typeIfLj2EEiiiiS1_IjLj3EES5_S5_S5_ ; -- Begin function _ZL33flash_attn_stream_k_fixup_generalILi80ELi4ELi2EEvPfPK15HIP_vector_typeIfLj2EEiiiiS1_IjLj3EES5_S5_S5_
	.p2align	8
	.type	_ZL33flash_attn_stream_k_fixup_generalILi80ELi4ELi2EEvPfPK15HIP_vector_typeIfLj2EEiiiiS1_IjLj3EES5_S5_S5_,@function
_ZL33flash_attn_stream_k_fixup_generalILi80ELi4ELi2EEvPfPK15HIP_vector_typeIfLj2EEiiiiS1_IjLj3EES5_S5_S5_: ; @_ZL33flash_attn_stream_k_fixup_generalILi80ELi4ELi2EEvPfPK15HIP_vector_typeIfLj2EEiiiiS1_IjLj3EES5_S5_S5_
; %bb.0:
	s_load_dwordx4 s[12:15], s[0:1], 0x10
	s_load_dword s22, s[0:1], 0x50
	s_mov_b32 s8, 0
	s_waitcnt lgkmcnt(0)
	s_mul_hi_i32 s9, s15, s2
	s_cmp_lg_u64 s[8:9], 0
	s_mul_i32 s5, s15, s2
	s_cbranch_scc0 .LBB45_21
; %bb.1:
	v_cvt_f32_u32_e32 v1, s22
	v_cvt_f32_ubyte0_e32 v2, 0
	s_sub_u32 s8, 0, s22
	s_subb_u32 s10, 0, 0
	v_fmamk_f32 v1, v2, 0x4f800000, v1
	v_rcp_f32_e32 v1, v1
	s_nop 0
	v_mul_f32_e32 v1, 0x5f7ffffc, v1
	v_mul_f32_e32 v2, 0x2f800000, v1
	v_trunc_f32_e32 v2, v2
	v_fmamk_f32 v1, v2, 0xcf800000, v1
	v_cvt_u32_f32_e32 v2, v2
	v_cvt_u32_f32_e32 v1, v1
	v_readfirstlane_b32 s11, v2
	v_readfirstlane_b32 s16, v1
	s_mul_i32 s17, s8, s11
	s_mul_hi_u32 s19, s8, s16
	s_mul_i32 s18, s10, s16
	s_add_i32 s17, s19, s17
	s_add_i32 s17, s17, s18
	s_mul_i32 s20, s8, s16
	s_mul_hi_u32 s18, s16, s17
	s_mul_i32 s19, s16, s17
	s_mul_hi_u32 s16, s16, s20
	s_add_u32 s16, s16, s19
	s_addc_u32 s18, 0, s18
	s_mul_hi_u32 s21, s11, s20
	s_mul_i32 s20, s11, s20
	s_add_u32 s16, s16, s20
	s_mul_hi_u32 s19, s11, s17
	s_addc_u32 s16, s18, s21
	s_addc_u32 s18, s19, 0
	s_mul_i32 s17, s11, s17
	s_add_u32 s16, s16, s17
	s_addc_u32 s17, 0, s18
	v_add_co_u32_e32 v1, vcc, s16, v1
	s_cmp_lg_u64 vcc, 0
	s_addc_u32 s11, s11, s17
	v_readfirstlane_b32 s17, v1
	s_mul_i32 s16, s8, s11
	s_mul_hi_u32 s18, s8, s17
	s_add_i32 s16, s18, s16
	s_mul_i32 s10, s10, s17
	s_add_i32 s16, s16, s10
	s_mul_i32 s8, s8, s17
	s_mul_hi_u32 s18, s11, s8
	s_mul_i32 s19, s11, s8
	s_mul_i32 s21, s17, s16
	s_mul_hi_u32 s8, s17, s8
	s_mul_hi_u32 s20, s17, s16
	s_add_u32 s8, s8, s21
	s_addc_u32 s17, 0, s20
	s_add_u32 s8, s8, s19
	s_mul_hi_u32 s10, s11, s16
	s_addc_u32 s8, s17, s18
	s_addc_u32 s10, s10, 0
	s_mul_i32 s16, s11, s16
	s_add_u32 s8, s8, s16
	s_addc_u32 s10, 0, s10
	v_add_co_u32_e32 v1, vcc, s8, v1
	s_cmp_lg_u64 vcc, 0
	s_addc_u32 s16, s11, s10
	s_ashr_i32 s10, s9, 31
	s_add_u32 s8, s5, s10
	s_mov_b32 s11, s10
	s_addc_u32 s9, s9, s10
	s_xor_b64 s[8:9], s[8:9], s[10:11]
	v_readfirstlane_b32 s19, v1
	s_mul_i32 s18, s8, s16
	s_mul_hi_u32 s20, s8, s19
	s_mul_hi_u32 s17, s8, s16
	s_add_u32 s18, s20, s18
	s_addc_u32 s17, 0, s17
	s_mul_hi_u32 s21, s9, s19
	s_mul_i32 s19, s9, s19
	s_add_u32 s18, s18, s19
	s_mul_hi_u32 s20, s9, s16
	s_addc_u32 s17, s17, s21
	s_addc_u32 s18, s20, 0
	s_mul_i32 s16, s9, s16
	s_add_u32 s16, s17, s16
	s_addc_u32 s17, 0, s18
	s_add_u32 s18, s16, 1
	s_addc_u32 s19, s17, 0
	s_add_u32 s20, s16, 2
	s_mul_i32 s23, s22, s17
	s_mul_hi_u32 s24, s22, s16
	s_addc_u32 s21, s17, 0
	s_add_i32 s24, s24, s23
	s_mul_i32 s23, s22, s16
	v_mov_b32_e32 v1, s23
	v_sub_co_u32_e32 v1, vcc, s8, v1
	s_cmp_lg_u64 vcc, 0
	s_subb_u32 s8, s9, s24
	v_subrev_co_u32_e32 v2, vcc, s22, v1
	s_cmp_lg_u64 vcc, 0
	s_subb_u32 s9, s8, 0
	v_readfirstlane_b32 s23, v2
	s_cmp_ge_u32 s23, s22
	s_cselect_b32 s23, -1, 0
	s_cmp_eq_u32 s9, 0
	s_cselect_b32 s9, s23, -1
	s_cmp_lg_u32 s9, 0
	s_cselect_b32 s9, s21, s19
	v_readfirstlane_b32 s19, v1
	s_cselect_b32 s18, s20, s18
	s_cmp_ge_u32 s19, s22
	s_cselect_b32 s19, -1, 0
	s_cmp_eq_u32 s8, 0
	s_cselect_b32 s8, s19, -1
	s_cmp_lg_u32 s8, 0
	s_cselect_b32 s9, s9, s17
	s_cselect_b32 s8, s18, s16
	s_xor_b64 s[8:9], s[8:9], s[10:11]
	s_sub_u32 s20, s8, s10
	s_load_dwordx4 s[16:19], s[0:1], 0x44
	s_cbranch_execnz .LBB45_3
.LBB45_2:
	v_cvt_f32_u32_e32 v1, s22
	s_sub_i32 s6, 0, s22
	v_rcp_iflag_f32_e32 v1, v1
	s_nop 0
	v_mul_f32_e32 v1, 0x4f7ffffe, v1
	v_cvt_u32_f32_e32 v1, v1
	s_nop 0
	v_readfirstlane_b32 s7, v1
	s_mul_i32 s6, s6, s7
	s_mul_hi_u32 s6, s7, s6
	s_add_i32 s7, s7, s6
	s_mul_hi_u32 s6, s5, s7
	s_mul_i32 s8, s6, s22
	s_sub_i32 s5, s5, s8
	s_add_i32 s7, s6, 1
	s_sub_i32 s8, s5, s22
	s_cmp_ge_u32 s5, s22
	s_cselect_b32 s6, s7, s6
	s_cselect_b32 s5, s8, s5
	s_add_i32 s7, s6, 1
	s_cmp_ge_u32 s5, s22
	s_cselect_b32 s20, s7, s6
.LBB45_3:
	s_add_i32 s5, s2, 1
	s_mul_hi_i32 s9, s15, s5
	s_mov_b32 s8, 0
	s_cmp_lg_u64 s[8:9], 0
	s_mul_i32 s5, s15, s5
	s_cbranch_scc0 .LBB45_22
; %bb.4:
	v_cvt_f32_u32_e32 v1, s22
	v_cvt_f32_ubyte0_e32 v2, 0
	s_sub_u32 s8, 0, s22
	s_subb_u32 s10, 0, 0
	v_fmamk_f32 v1, v2, 0x4f800000, v1
	v_rcp_f32_e32 v1, v1
	s_nop 0
	v_mul_f32_e32 v1, 0x5f7ffffc, v1
	v_mul_f32_e32 v2, 0x2f800000, v1
	v_trunc_f32_e32 v2, v2
	v_fmamk_f32 v1, v2, 0xcf800000, v1
	v_cvt_u32_f32_e32 v2, v2
	v_cvt_u32_f32_e32 v1, v1
	v_readfirstlane_b32 s11, v2
	s_waitcnt lgkmcnt(0)
	v_readfirstlane_b32 s19, v1
	s_mul_i32 s21, s8, s11
	s_mul_hi_u32 s24, s8, s19
	s_mul_i32 s23, s10, s19
	s_add_i32 s21, s24, s21
	s_add_i32 s21, s21, s23
	s_mul_i32 s25, s8, s19
	s_mul_hi_u32 s23, s19, s21
	s_mul_i32 s24, s19, s21
	s_mul_hi_u32 s19, s19, s25
	s_add_u32 s19, s19, s24
	s_addc_u32 s23, 0, s23
	s_mul_hi_u32 s26, s11, s25
	s_mul_i32 s25, s11, s25
	s_add_u32 s19, s19, s25
	s_mul_hi_u32 s24, s11, s21
	s_addc_u32 s19, s23, s26
	s_addc_u32 s23, s24, 0
	s_mul_i32 s21, s11, s21
	s_add_u32 s19, s19, s21
	s_addc_u32 s21, 0, s23
	v_add_co_u32_e32 v1, vcc, s19, v1
	s_cmp_lg_u64 vcc, 0
	s_addc_u32 s11, s11, s21
	v_readfirstlane_b32 s21, v1
	s_mul_i32 s19, s8, s11
	s_mul_hi_u32 s23, s8, s21
	s_add_i32 s19, s23, s19
	s_mul_i32 s10, s10, s21
	s_add_i32 s19, s19, s10
	s_mul_i32 s8, s8, s21
	s_mul_hi_u32 s23, s11, s8
	s_mul_i32 s24, s11, s8
	s_mul_i32 s26, s21, s19
	s_mul_hi_u32 s8, s21, s8
	s_mul_hi_u32 s25, s21, s19
	s_add_u32 s8, s8, s26
	s_addc_u32 s21, 0, s25
	s_add_u32 s8, s8, s24
	s_mul_hi_u32 s10, s11, s19
	s_addc_u32 s8, s21, s23
	s_addc_u32 s10, s10, 0
	s_mul_i32 s19, s11, s19
	s_add_u32 s8, s8, s19
	s_addc_u32 s10, 0, s10
	v_add_co_u32_e32 v1, vcc, s8, v1
	s_cmp_lg_u64 vcc, 0
	s_addc_u32 s19, s11, s10
	s_ashr_i32 s10, s9, 31
	s_add_u32 s8, s5, s10
	s_mov_b32 s11, s10
	s_addc_u32 s9, s9, s10
	s_xor_b64 s[8:9], s[8:9], s[10:11]
	v_readfirstlane_b32 s23, v1
	s_mul_i32 s21, s8, s19
	s_mul_hi_u32 s24, s8, s23
	s_mul_hi_u32 s11, s8, s19
	s_add_u32 s21, s24, s21
	s_addc_u32 s11, 0, s11
	s_mul_hi_u32 s25, s9, s23
	s_mul_i32 s23, s9, s23
	s_add_u32 s21, s21, s23
	s_mul_hi_u32 s24, s9, s19
	s_addc_u32 s11, s11, s25
	s_addc_u32 s21, s24, 0
	s_mul_i32 s19, s9, s19
	s_add_u32 s11, s11, s19
	s_addc_u32 s19, 0, s21
	s_mul_i32 s19, s22, s19
	s_mul_hi_u32 s24, s22, s11
	s_add_i32 s24, s24, s19
	s_mul_i32 s19, s22, s11
	v_mov_b32_e32 v1, s19
	s_add_u32 s21, s11, 1
	s_add_u32 s23, s11, 2
	v_sub_co_u32_e32 v1, vcc, s8, v1
	s_cmp_lg_u64 vcc, 0
	s_subb_u32 s8, s9, s24
	v_subrev_co_u32_e32 v2, vcc, s22, v1
	s_cmp_lg_u64 vcc, 0
	s_subb_u32 s9, s8, 0
	v_cmp_le_u32_e32 vcc, s22, v2
	s_cmp_eq_u32 s9, 0
	v_mov_b32_e32 v3, s21
	v_cndmask_b32_e64 v2, 0, -1, vcc
	s_cselect_b64 vcc, -1, 0
	v_cndmask_b32_e32 v2, -1, v2, vcc
	v_mov_b32_e32 v4, s23
	v_cmp_ne_u32_e32 vcc, 0, v2
	s_cmp_eq_u32 s8, 0
	s_nop 0
	v_cndmask_b32_e32 v2, v3, v4, vcc
	v_cmp_le_u32_e32 vcc, s22, v1
	v_mov_b32_e32 v3, s11
	s_nop 0
	v_cndmask_b32_e64 v1, 0, -1, vcc
	s_cselect_b64 vcc, -1, 0
	v_cndmask_b32_e32 v1, -1, v1, vcc
	v_cmp_ne_u32_e32 vcc, 0, v1
	s_nop 1
	v_cndmask_b32_e32 v1, v3, v2, vcc
	v_xor_b32_e32 v1, s10, v1
	v_subrev_co_u32_e32 v2, vcc, s10, v1
	s_cbranch_execnz .LBB45_6
.LBB45_5:
	v_cvt_f32_u32_e32 v1, s22
	s_sub_i32 s6, 0, s22
	s_mov_b32 s7, 0
	v_rcp_iflag_f32_e32 v1, v1
	s_nop 0
	v_mul_f32_e32 v1, 0x4f7ffffe, v1
	v_cvt_u32_f32_e32 v1, v1
	s_nop 0
	v_readfirstlane_b32 s8, v1
	s_mul_i32 s6, s6, s8
	s_mul_hi_u32 s6, s8, s6
	s_add_i32 s8, s8, s6
	s_mul_hi_u32 s6, s5, s8
	s_mul_i32 s9, s6, s22
	s_sub_i32 s5, s5, s9
	s_add_i32 s8, s6, 1
	s_sub_i32 s9, s5, s22
	s_cmp_ge_u32 s5, s22
	s_cselect_b32 s6, s8, s6
	s_cselect_b32 s5, s9, s5
	s_add_i32 s8, s6, 1
	s_cmp_ge_u32 s5, s22
	s_cselect_b32 s6, s8, s6
	v_mov_b64_e32 v[2:3], s[6:7]
.LBB45_6:
	s_waitcnt lgkmcnt(0)
	s_mul_hi_u32 s5, s20, s16
	s_add_i32 s5, s5, s20
	v_mul_hi_u32 v1, v2, s16
	s_lshr_b32 s19, s5, s17
	v_add_u32_e32 v1, v1, v2
	s_mul_i32 s5, s19, s18
	v_lshrrev_b32_e32 v1, s17, v1
	s_cmp_eq_u32 s5, s20
	v_cmp_eq_u32_e64 s[6:7], s19, v1
	v_mul_lo_u32 v1, v1, s18
	v_cmp_eq_u32_e32 vcc, s20, v2
	s_cselect_b64 s[10:11], -1, 0
	v_cmp_ne_u32_e64 s[8:9], v1, v2
	s_and_b64 s[6:7], s[6:7], s[8:9]
	s_or_b64 s[8:9], vcc, s[10:11]
	s_or_b64 s[6:7], s[8:9], s[6:7]
	s_and_b64 vcc, exec, s[6:7]
	s_cbranch_vccnz .LBB45_24
; %bb.7:
	s_load_dwordx8 s[24:31], s[0:1], 0x20
	s_load_dword s5, s[0:1], 0x40
	s_waitcnt lgkmcnt(0)
	s_mul_hi_u32 s6, s20, s24
	s_add_i32 s6, s6, s20
	s_lshr_b32 s7, s6, s25
	s_mul_i32 s6, s7, s26
	s_sub_i32 s6, s20, s6
	s_mul_hi_u32 s8, s6, s27
	s_add_i32 s8, s6, s8
	s_lshr_b32 s23, s8, s28
	s_mul_i32 s8, s23, s29
	s_sub_i32 s6, s6, s8
	;; [unrolled: 5-line block ×3, first 2 shown]
	s_mul_hi_u32 s6, s5, s16
	s_add_i32 s5, s5, s6
	s_lshr_b32 s24, s5, s17
	s_lshl_b32 s5, s24, 2
	s_lshl_b32 s25, s8, 1
	s_add_i32 s5, s5, s3
	s_cmp_lt_i32 s5, s12
	s_cselect_b64 s[8:9], -1, 0
	s_add_i32 s25, s25, s4
	s_cmp_lt_i32 s25, s14
	s_cselect_b64 s[10:11], -1, 0
	s_and_b64 s[8:9], s[8:9], s[10:11]
	s_andn2_b64 vcc, exec, s[8:9]
	s_mov_b32 s6, 0
	s_cbranch_vccnz .LBB45_24
; %bb.8:
	s_load_dwordx4 s[8:11], s[0:1], 0x0
	s_lshl_b32 s21, s3, 1
	s_lshl_b32 s0, s22, 5
	s_mov_b32 s1, s6
	s_add_i32 s21, s21, s4
	s_lshl_b64 s[0:1], s[0:1], 2
	s_waitcnt lgkmcnt(0)
	s_add_u32 s4, s10, s0
	s_mul_i32 s0, s7, s12
	s_addc_u32 s5, s11, s1
	s_mul_i32 s23, s23, s14
	s_add_i32 s0, s0, s3
	s_mul_i32 s0, s0, s13
	s_add_i32 s3, s25, s23
	;; [unrolled: 2-line block ×3, first 2 shown]
	s_mulk_i32 s1, 0x140
	s_mulk_i32 s0, 0x50
	s_add_i32 s1, s1, s0
	v_add_u32_e32 v4, s1, v0
	v_mov_b32_e32 v2, s8
	v_mov_b32_e32 v3, s9
	v_ashrrev_i32_e32 v5, 31, v4
	v_lshl_add_u64 v[2:3], v[4:5], 2, v[2:3]
	global_load_dword v5, v[2:3], off
	s_lshl_b32 s0, s2, 3
	s_add_i32 s0, s21, s0
	s_ashr_i32 s1, s0, 31
	s_lshl_b64 s[0:1], s[0:1], 3
	s_add_u32 s0, s10, s0
	s_addc_u32 s1, s11, s1
	s_add_i32 s12, s2, -1
	s_mul_i32 s2, s21, 0x50
	v_add_u32_e32 v4, s2, v0
	v_cvt_f32_u32_e32 v0, s22
	v_cvt_f32_ubyte0_e32 v1, 0
	s_load_dwordx2 s[0:1], s[0:1], 0x0
	v_mov_b32_e32 v8, s20
	v_fmac_f32_e32 v0, 0x4f800000, v1
	v_rcp_f32_e32 v0, v0
	v_cvt_f32_u32_e32 v1, s22
	s_waitcnt lgkmcnt(0)
	v_mov_b32_e32 v6, s1
	v_mov_b32_e32 v7, s0
	v_mul_f32_e32 v0, 0x5f7ffffc, v0
	v_rcp_iflag_f32_e32 v1, v1
	v_mul_f32_e32 v9, 0x2f800000, v0
	v_trunc_f32_e32 v10, v9
	v_fmac_f32_e32 v0, 0xcf800000, v10
	v_cvt_u32_f32_e32 v9, v0
	v_mul_f32_e32 v0, 0x4f7ffffe, v1
	v_cvt_u32_f32_e32 v10, v10
	v_cvt_u32_f32_e32 v11, v0
	s_mov_b32 s8, 0x3fb8aa3b
	s_mov_b32 s9, 0xc2ce8ed0
	;; [unrolled: 1-line block ×4, first 2 shown]
	v_mov_b32_e32 v12, 0x7f800000
	s_mul_hi_i32 s7, s12, s15
	s_cmp_lg_u64 s[6:7], 0
	s_mul_i32 s2, s12, s15
	s_cbranch_scc0 .LBB45_15
.LBB45_9:
	s_sub_u32 s0, 0, s22
	v_readfirstlane_b32 s3, v9
	v_readfirstlane_b32 s24, v10
	s_subb_u32 s1, 0, 0
	s_mul_hi_u32 s23, s0, s3
	s_mul_i32 s25, s0, s24
	s_mul_i32 s20, s1, s3
	s_add_i32 s23, s23, s25
	s_add_i32 s23, s23, s20
	s_mul_i32 s26, s0, s3
	s_mul_hi_u32 s20, s3, s23
	s_mul_i32 s25, s3, s23
	s_mul_hi_u32 s3, s3, s26
	s_add_u32 s3, s3, s25
	s_addc_u32 s20, 0, s20
	s_mul_hi_u32 s27, s24, s26
	s_mul_i32 s26, s24, s26
	s_add_u32 s3, s3, s26
	s_mul_hi_u32 s25, s24, s23
	s_addc_u32 s3, s20, s27
	s_addc_u32 s20, s25, 0
	s_mul_i32 s23, s24, s23
	s_add_u32 s3, s3, s23
	s_addc_u32 s20, 0, s20
	v_add_co_u32_e32 v0, vcc, s3, v9
	s_cmp_lg_u64 vcc, 0
	s_addc_u32 s3, s24, s20
	v_readfirstlane_b32 s23, v0
	s_mul_i32 s20, s0, s3
	s_mul_hi_u32 s24, s0, s23
	s_add_i32 s20, s24, s20
	s_mul_i32 s1, s1, s23
	s_add_i32 s20, s20, s1
	s_mul_i32 s0, s0, s23
	s_mul_hi_u32 s24, s3, s0
	s_mul_i32 s25, s3, s0
	s_mul_i32 s27, s23, s20
	s_mul_hi_u32 s0, s23, s0
	s_mul_hi_u32 s26, s23, s20
	s_add_u32 s0, s0, s27
	s_addc_u32 s23, 0, s26
	s_add_u32 s0, s0, s25
	s_mul_hi_u32 s1, s3, s20
	s_addc_u32 s0, s23, s24
	s_addc_u32 s1, s1, 0
	s_mul_i32 s20, s3, s20
	s_add_u32 s0, s0, s20
	s_addc_u32 s1, 0, s1
	v_add_co_u32_e32 v0, vcc, s0, v0
	s_cmp_lg_u64 vcc, 0
	s_addc_u32 s3, s3, s1
	s_ashr_i32 s0, s7, 31
	s_add_u32 s24, s2, s0
	s_mov_b32 s1, s0
	s_addc_u32 s25, s7, s0
	s_xor_b64 s[24:25], s[24:25], s[0:1]
	v_readfirstlane_b32 s20, v0
	s_mul_i32 s7, s24, s3
	s_mul_hi_u32 s23, s24, s20
	s_mul_hi_u32 s1, s24, s3
	s_add_u32 s7, s23, s7
	s_addc_u32 s1, 0, s1
	s_mul_hi_u32 s26, s25, s20
	s_mul_i32 s20, s25, s20
	s_add_u32 s7, s7, s20
	s_mul_hi_u32 s23, s25, s3
	s_addc_u32 s1, s1, s26
	s_addc_u32 s7, s23, 0
	s_mul_i32 s3, s25, s3
	s_add_u32 s1, s1, s3
	s_addc_u32 s3, 0, s7
	s_mul_i32 s3, s22, s3
	s_mul_hi_u32 s23, s22, s1
	s_add_i32 s23, s23, s3
	s_mul_i32 s3, s22, s1
	v_mov_b32_e32 v0, s3
	s_add_u32 s7, s1, 1
	s_add_u32 s20, s1, 2
	v_sub_co_u32_e32 v0, vcc, s24, v0
	s_cmp_lg_u64 vcc, 0
	s_subb_u32 s3, s25, s23
	v_subrev_co_u32_e32 v1, vcc, s22, v0
	s_cmp_lg_u64 vcc, 0
	s_subb_u32 s23, s3, 0
	v_cmp_le_u32_e32 vcc, s22, v1
	s_cmp_eq_u32 s23, 0
	v_mov_b32_e32 v13, s7
	v_cndmask_b32_e64 v1, 0, -1, vcc
	s_cselect_b64 vcc, -1, 0
	v_cndmask_b32_e32 v1, -1, v1, vcc
	v_mov_b32_e32 v14, s20
	v_cmp_ne_u32_e32 vcc, 0, v1
	s_cmp_eq_u32 s3, 0
	s_nop 0
	v_cndmask_b32_e32 v1, v13, v14, vcc
	v_cmp_le_u32_e32 vcc, s22, v0
	v_mov_b32_e32 v13, s1
	s_nop 0
	v_cndmask_b32_e64 v0, 0, -1, vcc
	s_cselect_b64 vcc, -1, 0
	v_cndmask_b32_e32 v0, -1, v0, vcc
	v_cmp_ne_u32_e32 vcc, 0, v0
	s_nop 1
	v_cndmask_b32_e32 v0, v13, v1, vcc
	v_xor_b32_e32 v0, s0, v0
	v_subrev_co_u32_e32 v0, vcc, s0, v0
	s_cbranch_execnz .LBB45_11
.LBB45_10:
	s_sub_i32 s0, 0, s22
	v_mul_lo_u32 v0, s0, v11
	v_mul_hi_u32 v0, v11, v0
	v_add_u32_e32 v0, v11, v0
	v_mul_hi_u32 v0, s2, v0
	v_mul_lo_u32 v13, v0, s22
	v_sub_u32_e32 v13, s2, v13
	v_add_u32_e32 v1, 1, v0
	v_subrev_u32_e32 v14, s22, v13
	v_cmp_le_u32_e32 vcc, s22, v13
	s_nop 1
	v_cndmask_b32_e32 v13, v13, v14, vcc
	v_cndmask_b32_e32 v0, v0, v1, vcc
	v_add_u32_e32 v1, 1, v0
	v_cmp_le_u32_e32 vcc, s22, v13
	s_nop 1
	v_cndmask_b32_e32 v0, v0, v1, vcc
.LBB45_11:
	v_cmp_ne_u32_e32 vcc, v8, v0
	s_cbranch_vccz .LBB45_14
; %bb.12:
	s_add_i32 s0, s12, s22
	s_lshl_b32 s0, s0, 3
	v_mul_hi_u32 v1, v0, s16
	s_add_i32 s0, s0, s21
	s_mov_b32 s1, s6
	v_add_u32_e32 v1, v1, v0
	s_lshl_b64 s[0:1], s[0:1], 3
	v_lshrrev_b32_e32 v1, s17, v1
	s_add_u32 s2, s10, s0
	v_mul_lo_u32 v13, v1, s18
	s_addc_u32 s3, s11, s1
	v_cmp_eq_u32_e32 vcc, v13, v0
	v_cmp_gt_u32_e64 s[0:1], s19, v1
	s_or_b64 s[0:1], s[0:1], vcc
	s_and_b64 vcc, exec, s[0:1]
	s_cbranch_vccnz .LBB45_16
; %bb.13:
	s_add_i32 s7, s12, -1
	s_mov_b64 s[0:1], 0
	s_branch .LBB45_17
.LBB45_14:
                                        ; implicit-def: $sgpr0_sgpr1
                                        ; implicit-def: $vgpr14
                                        ; implicit-def: $vgpr1
                                        ; implicit-def: $vgpr13
                                        ; implicit-def: $sgpr7
                                        ; implicit-def: $vgpr0
	s_branch .LBB45_18
.LBB45_15:
                                        ; implicit-def: $vgpr0_vgpr1
	s_branch .LBB45_10
.LBB45_16:
	s_mov_b64 s[0:1], -1
	s_mov_b32 s7, s12
	v_mov_b32_e32 v0, v8
.LBB45_17:
	s_mul_i32 s20, s12, 0x280
	v_add_u32_e32 v14, s20, v4
	v_ashrrev_i32_e32 v15, 31, v14
	v_lshl_add_u64 v[14:15], v[14:15], 2, s[4:5]
	global_load_dword v14, v[14:15], off
	s_load_dwordx2 s[2:3], s[2:3], 0x0
	v_max_f32_e32 v1, v7, v7
	s_waitcnt lgkmcnt(0)
	v_max_f32_e64 v13, s2, s2
	v_max_f32_e32 v1, v1, v13
	v_sub_f32_e32 v13, v7, v1
	v_sub_f32_e32 v15, s2, v1
	v_mul_f32_e32 v16, 0x3fb8aa3b, v13
	v_mul_f32_e32 v17, 0x3fb8aa3b, v15
	v_fma_f32 v18, v13, s8, -v16
	v_rndne_f32_e32 v19, v16
	v_fma_f32 v20, v15, s8, -v17
	v_rndne_f32_e32 v21, v17
	v_fmac_f32_e32 v18, 0x32a5705f, v13
	v_sub_f32_e32 v16, v16, v19
	v_fmac_f32_e32 v20, 0x32a5705f, v15
	v_sub_f32_e32 v17, v17, v21
	v_add_f32_e32 v16, v16, v18
	v_cvt_i32_f32_e32 v19, v19
	v_add_f32_e32 v17, v17, v20
	v_exp_f32_e32 v16, v16
	v_cvt_i32_f32_e32 v21, v21
	v_exp_f32_e32 v17, v17
	v_cmp_ngt_f32_e32 vcc, s9, v13
	v_ldexp_f32 v16, v16, v19
	v_ldexp_f32 v17, v17, v21
	v_cndmask_b32_e32 v16, 0, v16, vcc
	v_cmp_ngt_f32_e32 vcc, s9, v15
	s_nop 1
	v_cndmask_b32_e32 v17, 0, v17, vcc
	v_cmp_nlt_f32_e32 vcc, s13, v13
	s_nop 1
	v_cndmask_b32_e32 v16, v12, v16, vcc
	v_cmp_nlt_f32_e32 vcc, s13, v15
	s_nop 1
	v_cndmask_b32_e32 v17, v12, v17, vcc
	v_cmp_le_f32_e32 vcc, s14, v13
	s_nop 1
	v_cndmask_b32_e32 v16, 0, v16, vcc
	v_cmp_le_f32_e32 vcc, s14, v15
	s_nop 1
	v_cndmask_b32_e32 v15, 0, v17, vcc
	v_mul_f32_e32 v13, s3, v15
	v_fmac_f32_e32 v13, v6, v16
	s_waitcnt vmcnt(0)
	v_mul_f32_e32 v14, v14, v15
	v_fmac_f32_e32 v14, v5, v16
	s_cbranch_execnz .LBB45_19
.LBB45_18:
	s_add_i32 s7, s12, -1
	s_mov_b64 s[0:1], 0
	v_mov_b32_e32 v0, v8
	v_mov_b32_e32 v13, v6
	;; [unrolled: 1-line block ×3, first 2 shown]
	s_waitcnt vmcnt(0)
	v_mov_b32_e32 v14, v5
.LBB45_19:
	s_andn2_b64 vcc, exec, s[0:1]
	s_cbranch_vccz .LBB45_23
; %bb.20:
	v_mov_b32_e32 v8, v0
	s_mov_b32 s12, s7
	v_mov_b32_e32 v6, v13
	v_mov_b32_e32 v7, v1
	s_waitcnt vmcnt(0)
	v_mov_b32_e32 v5, v14
	s_mul_hi_i32 s7, s12, s15
	s_cmp_lg_u64 s[6:7], 0
	s_mul_i32 s2, s12, s15
	s_cbranch_scc1 .LBB45_9
	s_branch .LBB45_15
.LBB45_21:
                                        ; implicit-def: $sgpr20_sgpr21
	s_load_dwordx4 s[16:19], s[0:1], 0x44
	s_branch .LBB45_2
.LBB45_22:
                                        ; implicit-def: $vgpr2_vgpr3
	s_branch .LBB45_5
.LBB45_23:
	v_div_scale_f32 v0, s[0:1], v13, v13, v14
	v_rcp_f32_e32 v1, v0
	v_div_scale_f32 v4, vcc, v14, v13, v14
	s_waitcnt vmcnt(0)
	v_fma_f32 v5, -v0, v1, 1.0
	v_fmac_f32_e32 v1, v5, v1
	v_mul_f32_e32 v5, v4, v1
	v_fma_f32 v6, -v0, v5, v4
	v_fmac_f32_e32 v5, v6, v1
	v_fma_f32 v0, -v0, v5, v4
	v_div_fmas_f32 v0, v0, v1, v5
	v_div_fixup_f32 v0, v0, v13, v14
	global_store_dword v[2:3], v0, off
.LBB45_24:
	s_endpgm
	.section	.rodata,"a",@progbits
	.p2align	6, 0x0
	.amdhsa_kernel _ZL33flash_attn_stream_k_fixup_generalILi80ELi4ELi2EEvPfPK15HIP_vector_typeIfLj2EEiiiiS1_IjLj3EES5_S5_S5_
		.amdhsa_group_segment_fixed_size 0
		.amdhsa_private_segment_fixed_size 0
		.amdhsa_kernarg_size 336
		.amdhsa_user_sgpr_count 2
		.amdhsa_user_sgpr_dispatch_ptr 0
		.amdhsa_user_sgpr_queue_ptr 0
		.amdhsa_user_sgpr_kernarg_segment_ptr 1
		.amdhsa_user_sgpr_dispatch_id 0
		.amdhsa_user_sgpr_kernarg_preload_length 0
		.amdhsa_user_sgpr_kernarg_preload_offset 0
		.amdhsa_user_sgpr_private_segment_size 0
		.amdhsa_uses_dynamic_stack 0
		.amdhsa_enable_private_segment 0
		.amdhsa_system_sgpr_workgroup_id_x 1
		.amdhsa_system_sgpr_workgroup_id_y 1
		.amdhsa_system_sgpr_workgroup_id_z 1
		.amdhsa_system_sgpr_workgroup_info 0
		.amdhsa_system_vgpr_workitem_id 0
		.amdhsa_next_free_vgpr 22
		.amdhsa_next_free_sgpr 32
		.amdhsa_accum_offset 24
		.amdhsa_reserve_vcc 1
		.amdhsa_float_round_mode_32 0
		.amdhsa_float_round_mode_16_64 0
		.amdhsa_float_denorm_mode_32 3
		.amdhsa_float_denorm_mode_16_64 3
		.amdhsa_dx10_clamp 1
		.amdhsa_ieee_mode 1
		.amdhsa_fp16_overflow 0
		.amdhsa_tg_split 0
		.amdhsa_exception_fp_ieee_invalid_op 0
		.amdhsa_exception_fp_denorm_src 0
		.amdhsa_exception_fp_ieee_div_zero 0
		.amdhsa_exception_fp_ieee_overflow 0
		.amdhsa_exception_fp_ieee_underflow 0
		.amdhsa_exception_fp_ieee_inexact 0
		.amdhsa_exception_int_div_zero 0
	.end_amdhsa_kernel
	.section	.text._ZL33flash_attn_stream_k_fixup_generalILi80ELi4ELi2EEvPfPK15HIP_vector_typeIfLj2EEiiiiS1_IjLj3EES5_S5_S5_,"axG",@progbits,_ZL33flash_attn_stream_k_fixup_generalILi80ELi4ELi2EEvPfPK15HIP_vector_typeIfLj2EEiiiiS1_IjLj3EES5_S5_S5_,comdat
.Lfunc_end45:
	.size	_ZL33flash_attn_stream_k_fixup_generalILi80ELi4ELi2EEvPfPK15HIP_vector_typeIfLj2EEiiiiS1_IjLj3EES5_S5_S5_, .Lfunc_end45-_ZL33flash_attn_stream_k_fixup_generalILi80ELi4ELi2EEvPfPK15HIP_vector_typeIfLj2EEiiiiS1_IjLj3EES5_S5_S5_
                                        ; -- End function
	.section	.AMDGPU.csdata,"",@progbits
; Kernel info:
; codeLenInByte = 2868
; NumSgprs: 38
; NumVgprs: 22
; NumAgprs: 0
; TotalNumVgprs: 22
; ScratchSize: 0
; MemoryBound: 0
; FloatMode: 240
; IeeeMode: 1
; LDSByteSize: 0 bytes/workgroup (compile time only)
; SGPRBlocks: 4
; VGPRBlocks: 2
; NumSGPRsForWavesPerEU: 38
; NumVGPRsForWavesPerEU: 22
; AccumOffset: 24
; Occupancy: 8
; WaveLimiterHint : 0
; COMPUTE_PGM_RSRC2:SCRATCH_EN: 0
; COMPUTE_PGM_RSRC2:USER_SGPR: 2
; COMPUTE_PGM_RSRC2:TRAP_HANDLER: 0
; COMPUTE_PGM_RSRC2:TGID_X_EN: 1
; COMPUTE_PGM_RSRC2:TGID_Y_EN: 1
; COMPUTE_PGM_RSRC2:TGID_Z_EN: 1
; COMPUTE_PGM_RSRC2:TIDIG_COMP_CNT: 0
; COMPUTE_PGM_RSRC3_GFX90A:ACCUM_OFFSET: 5
; COMPUTE_PGM_RSRC3_GFX90A:TG_SPLIT: 0
	.section	.text._ZL15flash_attn_tileILi80ELi80ELi2ELi2ELb0EEvPKcS1_S1_S1_S1_PKiPfP15HIP_vector_typeIfLj2EEffffjfiS5_IjLj3EEiiiiiiiiiiiliiliiiiil,"axG",@progbits,_ZL15flash_attn_tileILi80ELi80ELi2ELi2ELb0EEvPKcS1_S1_S1_S1_PKiPfP15HIP_vector_typeIfLj2EEffffjfiS5_IjLj3EEiiiiiiiiiiiliiliiiiil,comdat
	.globl	_ZL15flash_attn_tileILi80ELi80ELi2ELi2ELb0EEvPKcS1_S1_S1_S1_PKiPfP15HIP_vector_typeIfLj2EEffffjfiS5_IjLj3EEiiiiiiiiiiiliiliiiiil ; -- Begin function _ZL15flash_attn_tileILi80ELi80ELi2ELi2ELb0EEvPKcS1_S1_S1_S1_PKiPfP15HIP_vector_typeIfLj2EEffffjfiS5_IjLj3EEiiiiiiiiiiiliiliiiiil
	.p2align	8
	.type	_ZL15flash_attn_tileILi80ELi80ELi2ELi2ELb0EEvPKcS1_S1_S1_S1_PKiPfP15HIP_vector_typeIfLj2EEffffjfiS5_IjLj3EEiiiiiiiiiiiliiliiiiil,@function
_ZL15flash_attn_tileILi80ELi80ELi2ELi2ELb0EEvPKcS1_S1_S1_S1_PKiPfP15HIP_vector_typeIfLj2EEffffjfiS5_IjLj3EEiiiiiiiiiiiliiliiiiil: ; @_ZL15flash_attn_tileILi80ELi80ELi2ELi2ELb0EEvPKcS1_S1_S1_S1_PKiPfP15HIP_vector_typeIfLj2EEffffjfiS5_IjLj3EEiiiiiiiiiiiliiliiiiil
; %bb.0:
	s_load_dwordx4 s[20:23], s[0:1], 0x5c
	s_load_dwordx2 s[24:25], s[0:1], 0x80
	s_load_dwordx2 s[28:29], s[0:1], 0xb8
	s_mov_b64 s[26:27], 0
	s_waitcnt lgkmcnt(0)
	s_lshr_b32 s5, s23, 31
	s_add_i32 s5, s23, s5
	s_ashr_i32 s5, s5, 1
	v_cvt_f32_u32_e32 v1, s5
	s_sub_i32 s6, 0, s5
	v_rcp_iflag_f32_e32 v1, v1
	s_nop 0
	v_mul_f32_e32 v1, 0x4f7ffffe, v1
	v_cvt_u32_f32_e32 v1, v1
	s_nop 0
	v_readfirstlane_b32 s7, v1
	s_mul_i32 s6, s6, s7
	s_mul_hi_u32 s6, s7, s6
	s_add_i32 s7, s7, s6
	s_mul_hi_u32 s6, s4, s7
	s_mul_i32 s7, s6, s5
	s_sub_i32 s7, s4, s7
	s_add_i32 s8, s6, 1
	s_sub_i32 s9, s7, s5
	s_cmp_ge_u32 s7, s5
	s_cselect_b32 s6, s8, s6
	s_cselect_b32 s7, s9, s7
	s_add_i32 s8, s6, 1
	s_cmp_ge_u32 s7, s5
	s_cselect_b32 s33, s8, s6
	s_abs_i32 s5, s25
	v_cvt_f32_u32_e32 v1, s5
	s_sub_i32 s7, 0, s5
	s_abs_i32 s6, s23
	s_lshl_b32 s30, s4, 1
	v_rcp_iflag_f32_e32 v1, v1
	s_xor_b32 s4, s23, s25
	s_ashr_i32 s4, s4, 31
	s_mul_i32 s25, s33, s23
	v_mul_f32_e32 v1, 0x4f7ffffe, v1
	v_cvt_u32_f32_e32 v1, v1
	s_nop 0
	v_readfirstlane_b32 s8, v1
	s_mul_i32 s7, s7, s8
	s_mul_hi_u32 s7, s8, s7
	s_add_i32 s8, s8, s7
	s_mul_hi_u32 s7, s6, s8
	s_mul_i32 s8, s7, s5
	s_sub_i32 s6, s6, s8
	s_add_i32 s9, s7, 1
	s_sub_i32 s8, s6, s5
	s_cmp_ge_u32 s6, s5
	s_cselect_b32 s7, s9, s7
	s_cselect_b32 s6, s8, s6
	s_add_i32 s8, s7, 1
	s_cmp_ge_u32 s6, s5
	s_cselect_b32 s5, s8, s7
	s_xor_b32 s5, s5, s4
	s_sub_i32 s35, s5, s4
	s_abs_i32 s34, s35
	v_cvt_f32_u32_e32 v1, s34
	s_load_dwordx16 s[4:19], s[0:1], 0x0
	v_rcp_iflag_f32_e32 v1, v1
	s_waitcnt lgkmcnt(0)
	s_cmp_eq_u64 s[10:11], 0
	v_mul_f32_e32 v1, 0x4f7ffffe, v1
	v_cvt_u32_f32_e32 v1, v1
	s_nop 0
	v_readfirstlane_b32 s36, v1
	s_cbranch_scc1 .LBB46_2
; %bb.1:
	s_abs_i32 s28, s28
	v_cvt_f32_u32_e32 v1, s28
	s_sub_i32 s38, 0, s28
	s_abs_i32 s37, s33
	s_ashr_i32 s31, s33, 31
	v_rcp_iflag_f32_e32 v1, v1
	s_load_dwordx2 s[26:27], s[0:1], 0xc8
	v_mul_f32_e32 v1, 0x4f7ffffe, v1
	v_cvt_u32_f32_e32 v1, v1
	s_nop 0
	v_readfirstlane_b32 s39, v1
	s_mul_i32 s38, s38, s39
	s_mul_hi_u32 s38, s39, s38
	s_add_i32 s39, s39, s38
	s_mul_hi_u32 s38, s37, s39
	s_mul_i32 s38, s38, s28
	s_sub_i32 s37, s37, s38
	s_sub_i32 s38, s37, s28
	s_cmp_ge_u32 s37, s28
	s_cselect_b32 s37, s38, s37
	s_sub_i32 s38, s37, s28
	s_cmp_ge_u32 s37, s28
	s_cselect_b32 s28, s38, s37
	s_xor_b32 s28, s28, s31
	s_sub_i32 s28, s28, s31
	s_ashr_i32 s31, s28, 31
	s_waitcnt lgkmcnt(0)
	s_mul_i32 s27, s28, s27
	s_mul_hi_u32 s37, s28, s26
	s_add_i32 s27, s37, s27
	s_mul_i32 s31, s31, s26
	s_add_i32 s27, s27, s31
	s_mul_i32 s28, s28, s26
	s_add_u32 s26, s10, s28
	s_addc_u32 s27, s11, s27
.LBB46_2:
	v_bfe_u32 v1, v0, 10, 10
	s_lshl_b32 s28, s2, 1
	v_lshrrev_b32_e32 v2, 1, v1
	v_and_b32_e32 v40, 0x3ff, v0
	v_add_u32_e32 v53, s28, v2
	s_sub_i32 s25, s30, s25
	v_and_b32_e32 v41, 1, v1
	v_cmp_gt_u32_e64 s[10:11], 20, v40
	v_mul_hi_u32 v0, s20, v53
	s_and_saveexec_b64 s[30:31], s[10:11]
	s_cbranch_execz .LBB46_4
; %bb.3:
	s_load_dwordx4 s[40:43], s[0:1], 0x70
	v_add_u32_e32 v4, v53, v0
	v_lshrrev_b32_e32 v4, s21, v4
	v_mul_lo_u32 v4, v4, s22
	v_sub_u32_e32 v7, v53, v4
	s_waitcnt lgkmcnt(0)
	s_mul_i32 s20, s33, s42
	s_ashr_i32 s37, s20, 31
	s_mul_i32 s28, s25, s41
	s_add_u32 s4, s4, s20
	s_addc_u32 s5, s5, s37
	s_ashr_i32 s20, s28, 31
	s_add_u32 s4, s4, s28
	v_mov_b32_e32 v2, s41
	s_addc_u32 s5, s5, s20
	s_ashr_i32 s20, s41, 31
	v_alignbit_b32 v2, s20, v2, 2
	s_lshr_b32 s20, s20, 2
	v_mul_lo_u32 v3, s20, v41
	s_ashr_i32 s20, s40, 31
	v_mov_b32_e32 v4, s40
	v_alignbit_b32 v4, s20, v4, 2
	v_mad_u64_u32 v[4:5], s[38:39], v4, v7, 0
	v_mov_b32_e32 v6, v5
	s_lshr_b32 s20, s20, 2
	v_mul_lo_u32 v2, v2, v41
	v_mad_u64_u32 v[6:7], s[38:39], s20, v7, v[6:7]
	v_mov_b32_e32 v5, v6
	v_lshl_add_u64 v[2:3], v[2:3], 2, s[4:5]
	v_lshl_add_u64 v[2:3], v[4:5], 2, v[2:3]
	v_lshlrev_b32_e32 v4, 4, v40
	v_mov_b32_e32 v5, 0
	v_lshl_add_u64 v[2:3], v[2:3], 0, v[4:5]
	global_load_dwordx4 v[2:5], v[2:3], off
	s_load_dword s4, s[0:1], 0x40
	v_mul_u32_u24_e32 v6, 40, v1
	s_waitcnt vmcnt(0) lgkmcnt(0)
	v_pk_mul_f32 v[2:3], v[2:3], s[4:5] op_sel_hi:[1,0]
	v_pk_mul_f32 v[4:5], v[4:5], s[4:5] op_sel_hi:[1,0]
	v_cvt_f16_f32_e32 v7, v3
	v_cvt_f16_f32_e32 v3, v5
	;; [unrolled: 1-line block ×4, first 2 shown]
	v_lshlrev_b32_e32 v5, 1, v40
	v_add_lshl_u32 v5, v6, v5, 2
	v_pack_b32_f16 v3, v4, v3
	v_pack_b32_f16 v2, v2, v7
	ds_write_b64 v5, v[2:3] offset:3264
.LBB46_4:
	s_or_b64 exec, exec, s[30:31]
	s_cmp_eq_u64 s[14:15], 0
	s_waitcnt lgkmcnt(0)
	s_barrier
	s_cbranch_scc1 .LBB46_6
; %bb.5:
	s_load_dword s4, s[0:1], 0xd0
	s_mov_b32 s5, 0
	s_waitcnt lgkmcnt(0)
	s_mul_i32 s4, s4, s33
	s_add_i32 s4, s4, s2
	s_lshl_b64 s[4:5], s[4:5], 2
	s_add_u32 s4, s14, s4
	s_addc_u32 s5, s15, s5
	s_load_dword s24, s[4:5], 0x0
.LBB46_6:
	s_lshl_b32 s2, s3, 5
	s_waitcnt lgkmcnt(0)
	s_cmp_lt_i32 s2, s24
	v_mbcnt_lo_u32_b32 v2, -1, 0
	s_cbranch_scc1 .LBB46_8
; %bb.7:
	v_mbcnt_hi_u32_b32 v49, -1, v2
	v_and_b32_e32 v3, 0x60, v49
	s_mov_b32 s14, 0
	v_add_u32_e32 v74, 32, v3
	v_xor_b32_e32 v75, 16, v49
	v_xor_b32_e32 v76, 8, v49
	;; [unrolled: 1-line block ×5, first 2 shown]
	s_mov_b64 s[4:5], 0
	s_mov_b32 s15, 0xfeffffff
	s_branch .LBB46_9
.LBB46_8:
	s_mov_b64 s[4:5], -1
                                        ; implicit-def: $sgpr15
                                        ; implicit-def: $sgpr14
                                        ; implicit-def: $vgpr49
                                        ; implicit-def: $vgpr74
                                        ; implicit-def: $vgpr75
                                        ; implicit-def: $vgpr76
                                        ; implicit-def: $vgpr77
                                        ; implicit-def: $vgpr78
                                        ; implicit-def: $vgpr79
.LBB46_9:
	s_andn2_b64 vcc, exec, s[4:5]
	v_mov_b32_e32 v58, s15
	v_mov_b32_e32 v80, s14
	;; [unrolled: 1-line block ×4, first 2 shown]
	s_cbranch_vccnz .LBB46_21
; %bb.10:
	s_sub_i32 s4, 0, s34
	s_mul_i32 s4, s4, s36
	s_mul_hi_u32 s4, s36, s4
	s_add_i32 s14, s36, s4
	s_load_dwordx2 s[4:5], s[0:1], 0x8c
	s_load_dwordx4 s[36:39], s[0:1], 0x98
	s_abs_i32 s20, s25
	s_mul_hi_u32 s28, s20, s14
	s_ashr_i32 s40, s25, 31
	s_waitcnt lgkmcnt(0)
	s_ashr_i32 s31, s4, 2
	s_ashr_i32 s30, s38, 2
	;; [unrolled: 1-line block ×4, first 2 shown]
	s_mul_i32 s37, s33, s37
	s_mul_hi_u32 s38, s33, s36
	s_add_i32 s37, s38, s37
	s_mul_i32 s38, s29, s36
	s_ashr_i32 s35, s35, 31
	s_add_i32 s37, s37, s38
	s_mul_i32 s36, s33, s36
	s_add_u32 s6, s6, s36
	s_mul_i32 s36, s28, s34
	s_addc_u32 s7, s7, s37
	s_sub_i32 s20, s20, s36
	s_xor_b32 s35, s40, s35
	s_add_i32 s36, s28, 1
	s_sub_i32 s37, s20, s34
	s_cmp_ge_u32 s20, s34
	s_cselect_b32 s28, s36, s28
	s_cselect_b32 s20, s37, s20
	s_add_i32 s36, s28, 1
	s_cmp_ge_u32 s20, s34
	s_load_dwordx2 s[14:15], s[0:1], 0xa8
	s_cselect_b32 s20, s36, s28
	s_xor_b32 s20, s20, s35
	s_sub_i32 s20, s20, s35
	s_mul_i32 s5, s20, s5
	s_ashr_i32 s28, s5, 31
	s_add_u32 s34, s6, s5
	s_waitcnt lgkmcnt(0)
	s_mul_i32 s5, s33, s15
	s_mul_hi_u32 s6, s33, s14
	s_addc_u32 s35, s7, s28
	s_add_i32 s5, s6, s5
	s_mul_i32 s29, s29, s14
	s_add_i32 s5, s5, s29
	s_mul_i32 s6, s33, s14
	s_add_u32 s6, s8, s6
	s_mul_i32 s20, s20, s39
	v_add_u32_e32 v0, v53, v0
	s_addc_u32 s5, s9, s5
	s_ashr_i32 s7, s20, 31
	v_lshlrev_b32_e32 v5, 2, v40
	v_lshrrev_b32_e32 v0, s21, v0
	s_add_u32 s36, s6, s20
	v_lshrrev_b32_e32 v4, 2, v40
	v_and_b32_e32 v6, 12, v5
	v_mul_lo_u32 v0, v0, s22
	s_addc_u32 s37, s5, s7
	v_lshl_add_u32 v3, v1, 5, v40
	v_lshl_add_u32 v4, v1, 3, v4
	v_lshlrev_b32_e32 v7, 2, v6
	s_movk_i32 s5, 0x60
	v_sub_u32_e32 v0, v53, v0
	v_mad_u32_u24 v59, v4, s5, v7
	v_mad_u32_u24 v66, v3, s5, 64
	v_mad_u64_u32 v[48:49], s[4:5], v0, s4, v[40:41]
	v_mov_b32_e32 v0, 0xf40
	v_lshl_add_u32 v67, v1, 6, v0
	v_lshrrev_b32_e32 v0, 1, v40
	v_cmp_gt_u32_e32 vcc, 32, v3
	v_mul_lo_u32 v46, s31, v3
	v_lshl_add_u32 v0, v1, 4, v0
	v_lshrrev_b32_e32 v3, 3, v40
	v_mul_u32_u24_e32 v65, 0xa0, v1
	v_lshl_add_u32 v1, v1, 2, v3
	v_and_b32_e32 v52, 4, v5
	v_mul_u32_u24_e32 v3, 0xa0, v0
	v_cmp_gt_u32_e64 s[4:5], 16, v0
	v_lshl_or_b32 v3, v52, 2, v3
	v_mul_lo_u32 v54, s30, v0
	v_and_b32_e32 v0, 28, v5
	v_mov_b32_e32 v43, 0
	v_mul_lo_u32 v44, s31, v4
	s_movk_i32 s6, 0xa0
	v_mul_lo_u32 v50, s30, v1
	v_add_u32_e32 v70, 0x80, v3
	v_lshlrev_b32_e32 v3, 2, v0
	s_add_u32 s14, s0, 0xd0
	v_ashrrev_i32_e32 v45, 31, v44
	v_mul_u32_u24_e32 v64, 0x60, v40
	v_ashrrev_i32_e32 v47, 31, v46
	v_lshl_add_u32 v68, v40, 1, v67
	v_ashrrev_i32_e32 v51, 31, v50
	v_lshlrev_b32_e32 v69, 3, v40
	v_ashrrev_i32_e32 v55, 31, v54
	v_mad_u32_u24 v71, v1, s6, v3
	s_addc_u32 s15, s1, 0
	v_mov_b32_e32 v4, 0xfeffffff
	v_lshlrev_b32_e32 v56, 2, v6
	v_mbcnt_hi_u32_b32 v49, -1, v2
	s_mov_b32 s38, 0x3fb8aa3b
	s_mov_b32 s39, 0xc2ce8ed0
	;; [unrolled: 1-line block ×3, first 2 shown]
	v_lshlrev_b32_e32 v42, 2, v0
	v_mov_b32_e32 v57, v43
	v_mov_b32_e32 v72, 0x7f800000
	;; [unrolled: 1-line block ×5, first 2 shown]
.LBB46_11:                              ; =>This Inner Loop Header: Depth=1
	s_mul_hi_i32 s7, s2, s31
	s_mul_i32 s6, s2, s31
	s_lshl_b64 s[6:7], s[6:7], 2
	s_add_u32 s6, s34, s6
	s_addc_u32 s7, s35, s7
	v_lshl_add_u64 v[0:1], v[46:47], 2, s[6:7]
	s_and_saveexec_b64 s[8:9], vcc
	s_cbranch_execz .LBB46_13
; %bb.12:                               ;   in Loop: Header=BB46_11 Depth=1
	global_load_dwordx4 v[6:9], v[0:1], off offset:64
	s_waitcnt vmcnt(0)
	ds_write_b128 v66, v[6:9]
.LBB46_13:                              ;   in Loop: Header=BB46_11 Depth=1
	s_or_b64 exec, exec, s[8:9]
	v_lshl_add_u64 v[2:3], v[44:45], 2, s[6:7]
	v_lshl_add_u64 v[2:3], v[2:3], 0, v[56:57]
	global_load_dwordx4 v[6:9], v[2:3], off
	v_mov_b32_e32 v5, v43
	s_waitcnt vmcnt(0)
	ds_write_b128 v59, v[6:9]
	s_waitcnt lgkmcnt(0)
	s_barrier
	ds_read_b128 v[6:9], v64
	ds_read_b128 v[10:13], v65 offset:3264
	s_waitcnt lgkmcnt(0)
	;;#ASMSTART
	v_dot2_f32_f16 v5, v6, v10, v5
	;;#ASMEND
	s_nop 0
	;;#ASMSTART
	v_dot2_f32_f16 v5, v7, v11, v5
	;;#ASMEND
	s_nop 0
	;;#ASMSTART
	v_dot2_f32_f16 v5, v8, v12, v5
	;;#ASMEND
	s_nop 0
	;;#ASMSTART
	v_dot2_f32_f16 v5, v9, v13, v5
	;;#ASMEND
	ds_read_b128 v[6:9], v64 offset:16
	ds_read_b128 v[10:13], v65 offset:3280
	s_waitcnt lgkmcnt(0)
	;;#ASMSTART
	v_dot2_f32_f16 v5, v6, v10, v5
	;;#ASMEND
	s_nop 0
	;;#ASMSTART
	v_dot2_f32_f16 v5, v7, v11, v5
	;;#ASMEND
	s_nop 0
	;;#ASMSTART
	v_dot2_f32_f16 v5, v8, v12, v5
	;;#ASMEND
	s_nop 0
	;;#ASMSTART
	v_dot2_f32_f16 v5, v9, v13, v5
	;;#ASMEND
	ds_read_b128 v[6:9], v64 offset:32
	;; [unrolled: 18-line block ×4, first 2 shown]
	ds_read_b128 v[10:13], v65 offset:3328
	s_waitcnt lgkmcnt(0)
	;;#ASMSTART
	v_dot2_f32_f16 v5, v6, v10, v5
	;;#ASMEND
	s_nop 0
	;;#ASMSTART
	v_dot2_f32_f16 v5, v7, v11, v5
	;;#ASMEND
	s_nop 0
	;; [unrolled: 4-line block ×3, first 2 shown]
	;;#ASMSTART
	v_dot2_f32_f16 v5, v9, v13, v5
	;;#ASMEND
	s_barrier
	s_and_saveexec_b64 s[6:7], vcc
	s_cbranch_execz .LBB46_15
; %bb.14:                               ;   in Loop: Header=BB46_11 Depth=1
	global_load_dwordx4 v[6:9], v[0:1], off offset:144
	s_waitcnt vmcnt(0)
	ds_write_b128 v66, v[6:9]
.LBB46_15:                              ;   in Loop: Header=BB46_11 Depth=1
	s_or_b64 exec, exec, s[6:7]
	global_load_dwordx4 v[0:3], v[2:3], off offset:80
	v_add_u32_e32 v10, s2, v48
	v_ashrrev_i32_e32 v11, 31, v10
	v_lshl_add_u64 v[10:11], v[10:11], 1, s[26:27]
	v_xor_b32_e32 v75, 16, v49
	v_xor_b32_e32 v76, 8, v49
	;; [unrolled: 1-line block ×5, first 2 shown]
	v_lshlrev_b32_e32 v60, 2, v52
	s_waitcnt vmcnt(0)
	ds_write_b128 v59, v[0:3]
	s_waitcnt lgkmcnt(0)
	s_barrier
	ds_read_b128 v[0:3], v64
	ds_read_b128 v[6:9], v65 offset:3344
	s_waitcnt lgkmcnt(0)
	;;#ASMSTART
	v_dot2_f32_f16 v5, v0, v6, v5
	;;#ASMEND
	s_nop 0
	;;#ASMSTART
	v_dot2_f32_f16 v5, v1, v7, v5
	;;#ASMEND
	s_nop 0
	;;#ASMSTART
	v_dot2_f32_f16 v5, v2, v8, v5
	;;#ASMEND
	s_nop 0
	;;#ASMSTART
	v_dot2_f32_f16 v5, v3, v9, v5
	;;#ASMEND
	ds_read_b128 v[0:3], v64 offset:16
	ds_read_b128 v[6:9], v65 offset:3360
	s_waitcnt lgkmcnt(0)
	;;#ASMSTART
	v_dot2_f32_f16 v5, v0, v6, v5
	;;#ASMEND
	s_nop 0
	;;#ASMSTART
	v_dot2_f32_f16 v5, v1, v7, v5
	;;#ASMEND
	s_nop 0
	;;#ASMSTART
	v_dot2_f32_f16 v5, v2, v8, v5
	;;#ASMEND
	s_nop 0
	;;#ASMSTART
	v_dot2_f32_f16 v5, v3, v9, v5
	;;#ASMEND
	ds_read_b128 v[0:3], v64 offset:32
	;; [unrolled: 18-line block ×4, first 2 shown]
	ds_read_b128 v[6:9], v65 offset:3408
	s_waitcnt lgkmcnt(0)
	;;#ASMSTART
	v_dot2_f32_f16 v5, v0, v6, v5
	;;#ASMEND
	s_nop 0
	;;#ASMSTART
	v_dot2_f32_f16 v5, v1, v7, v5
	;;#ASMEND
	v_max_f32_e32 v1, v4, v4
	;;#ASMSTART
	v_dot2_f32_f16 v5, v2, v8, v5
	;;#ASMEND
	v_and_b32_e32 v2, 0x60, v49
	;;#ASMSTART
	v_dot2_f32_f16 v5, v3, v9, v5
	;;#ASMEND
	flat_load_ushort v0, v[10:11]
	v_add_u32_e32 v74, 32, v2
	v_cmp_lt_i32_e64 s[6:7], v75, v74
	s_waitcnt lgkmcnt(0)
	s_barrier
	v_cndmask_b32_e64 v2, v49, v75, s[6:7]
	v_lshlrev_b32_e32 v2, 2, v2
	v_cmp_lt_i32_e64 s[6:7], v76, v74
	s_waitcnt vmcnt(0)
	v_cvt_f32_f16_e32 v0, v0
	v_add_f32_e32 v0, v5, v0
	v_add_f32_e32 v3, 0x40051340, v0
	v_max_f32_e32 v1, v1, v3
	ds_bpermute_b32 v2, v2, v1
	v_cndmask_b32_e64 v3, v49, v76, s[6:7]
	v_lshlrev_b32_e32 v3, 2, v3
	v_cmp_lt_i32_e64 s[6:7], v77, v74
	s_waitcnt lgkmcnt(0)
	v_max_f32_e32 v2, v2, v2
	v_max_f32_e32 v1, v1, v2
	ds_bpermute_b32 v2, v3, v1
	v_cndmask_b32_e64 v3, v49, v77, s[6:7]
	v_lshlrev_b32_e32 v3, 2, v3
	v_cmp_lt_i32_e64 s[6:7], v78, v74
	s_waitcnt lgkmcnt(0)
	v_max_f32_e32 v2, v2, v2
	;; [unrolled: 7-line block ×3, first 2 shown]
	v_max_f32_e32 v1, v1, v2
	ds_bpermute_b32 v2, v3, v1
	v_cndmask_b32_e64 v3, v49, v79, s[6:7]
	v_lshlrev_b32_e32 v3, 2, v3
	s_mul_hi_i32 s7, s2, s30
	s_mul_i32 s6, s2, s30
	s_waitcnt lgkmcnt(0)
	v_max_f32_e32 v2, v2, v2
	v_max_f32_e32 v1, v1, v2
	ds_bpermute_b32 v2, v3, v1
	s_lshl_b64 s[6:7], s[6:7], 2
	s_add_u32 s8, s36, s6
	s_addc_u32 s9, s37, s7
	s_waitcnt lgkmcnt(0)
	v_max_f32_e32 v2, v2, v2
	v_max_f32_e32 v58, v1, v2
	v_sub_f32_e32 v0, v0, v58
	v_mul_f32_e32 v1, 0x3fb8aa3b, v0
	v_fma_f32 v2, v0, s38, -v1
	v_rndne_f32_e32 v3, v1
	v_fmac_f32_e32 v2, 0x32a5705f, v0
	v_sub_f32_e32 v1, v1, v3
	v_add_f32_e32 v1, v1, v2
	v_cvt_i32_f32_e32 v3, v3
	v_exp_f32_e32 v1, v1
	v_cmp_ngt_f32_e64 s[6:7], s39, v0
	v_ldexp_f32 v1, v1, v3
	s_nop 0
	v_cndmask_b32_e64 v1, 0, v1, s[6:7]
	v_cmp_nlt_f32_e64 s[6:7], s40, v0
	s_nop 1
	v_cndmask_b32_e64 v80, v72, v1, s[6:7]
	v_cvt_f16_f32_e32 v0, v80
	ds_write_b16 v68, v0
	s_and_saveexec_b64 s[6:7], s[4:5]
	s_cbranch_execz .LBB46_17
; %bb.16:                               ;   in Loop: Header=BB46_11 Depth=1
	v_lshl_add_u64 v[0:1], v[54:55], 2, s[8:9]
	v_mov_b32_e32 v61, v43
	v_lshl_add_u64 v[0:1], v[0:1], 0, v[60:61]
	global_load_dwordx4 v[0:3], v[0:1], off offset:128
	s_waitcnt vmcnt(0)
	ds_write_b128 v70, v[0:3]
.LBB46_17:                              ;   in Loop: Header=BB46_11 Depth=1
	s_or_b64 exec, exec, s[6:7]
	v_lshl_add_u64 v[0:1], v[50:51], 2, s[8:9]
	v_lshl_add_u64 v[0:1], v[0:1], 0, v[42:43]
	global_load_dwordx4 v[0:3], v[0:1], off
	v_sub_f32_e32 v83, v4, v58
	v_add_u32_e32 v82, 0x400, v69
	v_add_u32_e32 v81, 0x800, v69
	s_or_b32 s20, s2, 16
	s_mul_hi_i32 s21, s20, s30
	s_mul_i32 s20, s20, s30
	s_lshl_b64 s[20:21], s[20:21], 2
	s_add_u32 s20, s36, s20
	v_cmp_ngt_f32_e64 s[6:7], s39, v83
	v_cmp_nlt_f32_e64 s[8:9], s40, v83
	s_addc_u32 s21, s37, s21
	s_waitcnt vmcnt(0)
	ds_write_b128 v71, v[0:3]
	s_waitcnt lgkmcnt(0)
	s_barrier
	ds_read2_b64 v[36:39], v69 offset1:20
	ds_read_b128 v[16:19], v67
	ds_read_b128 v[0:3], v67 offset:16
	ds_read2_b64 v[32:35], v69 offset0:40 offset1:60
	ds_read2_b64 v[28:31], v69 offset0:80 offset1:100
	;; [unrolled: 1-line block ×7, first 2 shown]
	s_waitcnt lgkmcnt(0)
	s_barrier
	s_and_saveexec_b64 s[28:29], s[4:5]
	s_cbranch_execz .LBB46_19
; %bb.18:                               ;   in Loop: Header=BB46_11 Depth=1
	v_lshl_add_u64 v[84:85], v[54:55], 2, s[20:21]
	v_mov_b32_e32 v61, v43
	v_lshl_add_u64 v[60:61], v[84:85], 0, v[60:61]
	global_load_dwordx4 v[84:87], v[60:61], off offset:128
	s_waitcnt vmcnt(0)
	ds_write_b128 v70, v[84:87]
.LBB46_19:                              ;   in Loop: Header=BB46_11 Depth=1
	s_or_b64 exec, exec, s[28:29]
	v_lshl_add_u64 v[60:61], v[50:51], 2, s[20:21]
	v_lshl_add_u64 v[60:61], v[60:61], 0, v[42:43]
	global_load_dwordx4 v[84:87], v[60:61], off
	v_mul_f32_e32 v60, 0x3fb8aa3b, v83
	v_fma_f32 v61, v83, s38, -v60
	v_rndne_f32_e32 v88, v60
	v_fmac_f32_e32 v61, 0x32a5705f, v83
	v_sub_f32_e32 v60, v60, v88
	v_add_f32_e32 v60, v60, v61
	v_cvt_i32_f32_e32 v83, v88
	v_exp_f32_e32 v60, v60
	v_pk_mul_f16 v36, v36, v16 op_sel_hi:[1,0]
	v_pk_mul_f16 v37, v37, v16 op_sel_hi:[1,0]
	v_ldexp_f32 v60, v60, v83
	v_cndmask_b32_e64 v60, 0, v60, s[6:7]
	v_cndmask_b32_e64 v60, v72, v60, s[8:9]
	v_cvt_f16_f32_e32 v61, v60
	v_fmac_f32_e32 v80, v73, v60
	v_pk_fma_f16 v36, v63, v61, v36 op_sel_hi:[1,0,1]
	v_pk_fma_f16 v37, v62, v61, v37 op_sel_hi:[1,0,1]
	v_pk_fma_f16 v36, v38, v16, v36 op_sel:[0,1,0]
	v_pk_fma_f16 v16, v39, v16, v37 op_sel:[0,1,0]
	v_pk_fma_f16 v32, v32, v17, v36 op_sel_hi:[1,0,1]
	v_pk_fma_f16 v16, v33, v17, v16 op_sel_hi:[1,0,1]
	v_pk_fma_f16 v32, v34, v17, v32 op_sel:[0,1,0]
	v_pk_fma_f16 v16, v35, v17, v16 op_sel:[0,1,0]
	v_pk_fma_f16 v17, v28, v18, v32 op_sel_hi:[1,0,1]
	v_pk_fma_f16 v16, v29, v18, v16 op_sel_hi:[1,0,1]
	v_pk_fma_f16 v17, v30, v18, v17 op_sel:[0,1,0]
	v_pk_fma_f16 v16, v31, v18, v16 op_sel:[0,1,0]
	v_pk_fma_f16 v17, v24, v19, v17 op_sel_hi:[1,0,1]
	v_pk_fma_f16 v16, v25, v19, v16 op_sel_hi:[1,0,1]
	v_pk_fma_f16 v17, v26, v19, v17 op_sel:[0,1,0]
	v_pk_fma_f16 v16, v27, v19, v16 op_sel:[0,1,0]
	v_pk_fma_f16 v17, v20, v0, v17 op_sel_hi:[1,0,1]
	v_pk_fma_f16 v16, v21, v0, v16 op_sel_hi:[1,0,1]
	v_pk_fma_f16 v17, v22, v0, v17 op_sel:[0,1,0]
	v_pk_fma_f16 v0, v23, v0, v16 op_sel:[0,1,0]
	v_pk_fma_f16 v12, v12, v1, v17 op_sel_hi:[1,0,1]
	v_pk_fma_f16 v0, v13, v1, v0 op_sel_hi:[1,0,1]
	v_pk_fma_f16 v12, v14, v1, v12 op_sel:[0,1,0]
	v_pk_fma_f16 v0, v15, v1, v0 op_sel:[0,1,0]
	v_pk_fma_f16 v1, v8, v2, v12 op_sel_hi:[1,0,1]
	v_pk_fma_f16 v0, v9, v2, v0 op_sel_hi:[1,0,1]
	v_pk_fma_f16 v1, v10, v2, v1 op_sel:[0,1,0]
	v_pk_fma_f16 v0, v11, v2, v0 op_sel:[0,1,0]
	v_pk_fma_f16 v1, v4, v3, v1 op_sel_hi:[1,0,1]
	v_pk_fma_f16 v0, v5, v3, v0 op_sel_hi:[1,0,1]
	v_pk_fma_f16 v1, v6, v3, v1 op_sel:[0,1,0]
	v_pk_fma_f16 v0, v7, v3, v0 op_sel:[0,1,0]
	s_waitcnt vmcnt(0)
	ds_write_b128 v71, v[84:87]
	s_waitcnt lgkmcnt(0)
	s_barrier
	ds_read2_b64 v[8:11], v69 offset1:20
	ds_read_b128 v[12:15], v67 offset:32
	ds_read_b128 v[16:19], v67 offset:48
	ds_read2_b64 v[20:23], v69 offset0:40 offset1:60
	ds_read2_b64 v[24:27], v69 offset0:80 offset1:100
	;; [unrolled: 1-line block ×7, first 2 shown]
	s_waitcnt lgkmcnt(8)
	v_pk_fma_f16 v1, v8, v12, v1 op_sel_hi:[1,0,1]
	v_pk_fma_f16 v0, v9, v12, v0 op_sel_hi:[1,0,1]
	v_pk_fma_f16 v1, v10, v12, v1 op_sel:[0,1,0]
	v_pk_fma_f16 v0, v11, v12, v0 op_sel:[0,1,0]
	s_waitcnt lgkmcnt(6)
	v_pk_fma_f16 v1, v20, v13, v1 op_sel_hi:[1,0,1]
	v_pk_fma_f16 v0, v21, v13, v0 op_sel_hi:[1,0,1]
	v_pk_fma_f16 v1, v22, v13, v1 op_sel:[0,1,0]
	v_pk_fma_f16 v0, v23, v13, v0 op_sel:[0,1,0]
	;; [unrolled: 5-line block ×4, first 2 shown]
	s_waitcnt lgkmcnt(0)
	s_barrier
	s_load_dword s6, s[14:15], 0x4
	v_pk_fma_f16 v1, v32, v16, v1 op_sel_hi:[1,0,1]
	v_pk_fma_f16 v0, v33, v16, v0 op_sel_hi:[1,0,1]
	v_pk_fma_f16 v1, v34, v16, v1 op_sel:[0,1,0]
	v_pk_fma_f16 v0, v35, v16, v0 op_sel:[0,1,0]
	v_pk_fma_f16 v1, v36, v17, v1 op_sel_hi:[1,0,1]
	v_pk_fma_f16 v0, v37, v17, v0 op_sel_hi:[1,0,1]
	v_pk_fma_f16 v1, v38, v17, v1 op_sel:[0,1,0]
	v_pk_fma_f16 v0, v39, v17, v0 op_sel:[0,1,0]
	v_pk_fma_f16 v1, v60, v18, v1 op_sel_hi:[1,0,1]
	v_pk_fma_f16 v0, v61, v18, v0 op_sel_hi:[1,0,1]
	s_waitcnt lgkmcnt(0)
	s_lshl_b32 s6, s6, 5
	v_pk_fma_f16 v1, v62, v18, v1 op_sel:[0,1,0]
	v_pk_fma_f16 v0, v63, v18, v0 op_sel:[0,1,0]
	s_add_i32 s2, s6, s2
	v_pk_fma_f16 v1, v82, v19, v1 op_sel_hi:[1,0,1]
	v_pk_fma_f16 v0, v83, v19, v0 op_sel_hi:[1,0,1]
	s_cmp_lt_i32 s2, s24
	v_pk_fma_f16 v63, v84, v19, v1 op_sel:[0,1,0]
	v_pk_fma_f16 v62, v85, v19, v0 op_sel:[0,1,0]
	s_cbranch_scc0 .LBB46_21
; %bb.20:                               ;   in Loop: Header=BB46_11 Depth=1
	v_mov_b32_e32 v4, v58
	v_mov_b32_e32 v73, v80
	s_branch .LBB46_11
.LBB46_21:
	v_cmp_lt_i32_e32 vcc, v75, v74
	s_cmp_eq_u64 s[12:13], 0
	s_cselect_b64 s[4:5], -1, 0
	v_cndmask_b32_e32 v0, v49, v75, vcc
	v_lshlrev_b32_e32 v0, 2, v0
	ds_bpermute_b32 v0, v0, v80
	v_cmp_lt_i32_e32 vcc, v76, v74
	s_cmp_lg_u32 s3, 0
	s_cselect_b64 s[6:7], -1, 0
	v_cndmask_b32_e32 v1, v49, v76, vcc
	v_lshlrev_b32_e32 v1, 2, v1
	s_waitcnt lgkmcnt(0)
	v_add_f32_e32 v0, v80, v0
	ds_bpermute_b32 v1, v1, v0
	v_cmp_lt_i32_e32 vcc, v77, v74
	s_or_b64 s[4:5], s[6:7], s[4:5]
	s_waitcnt lgkmcnt(0)
	v_add_f32_e32 v0, v0, v1
	v_cndmask_b32_e32 v2, v49, v77, vcc
	v_lshlrev_b32_e32 v2, 2, v2
	ds_bpermute_b32 v1, v2, v0
	v_cmp_lt_i32_e32 vcc, v78, v74
	s_waitcnt lgkmcnt(0)
	v_add_f32_e32 v0, v0, v1
	v_cndmask_b32_e32 v2, v49, v78, vcc
	v_lshlrev_b32_e32 v2, 2, v2
	ds_bpermute_b32 v1, v2, v0
	v_cmp_lt_i32_e32 vcc, v79, v74
	s_waitcnt lgkmcnt(0)
	v_add_f32_e32 v0, v0, v1
	v_cndmask_b32_e32 v2, v49, v79, vcc
	v_lshlrev_b32_e32 v2, 2, v2
	ds_bpermute_b32 v1, v2, v0
	s_and_b64 vcc, exec, s[4:5]
	s_waitcnt lgkmcnt(0)
	v_add_f32_e32 v59, v0, v1
	s_cbranch_vccnz .LBB46_24
; %bb.22:
	v_add_u32_e32 v0, s25, v41
	v_ashrrev_i32_e32 v1, 31, v0
	v_lshl_add_u64 v[0:1], v[0:1], 2, s[12:13]
	global_load_dword v1, v[0:1], off
	v_max_f32_e32 v0, v58, v58
	s_mov_b32 s2, 0x3fb8aa3b
	s_mov_b32 s4, 0xc2ce8ed0
	s_waitcnt vmcnt(0)
	v_max_f32_e32 v2, v1, v1
	v_max_f32_e32 v0, v0, v2
	v_sub_f32_e32 v2, v58, v0
	v_sub_f32_e32 v1, v1, v0
	v_mul_f32_e32 v3, 0x3fb8aa3b, v2
	v_mul_f32_e32 v4, 0x3fb8aa3b, v1
	v_fma_f32 v5, v2, s2, -v3
	v_rndne_f32_e32 v6, v3
	v_fma_f32 v7, v1, s2, -v4
	v_rndne_f32_e32 v8, v4
	v_fmac_f32_e32 v5, 0x32a5705f, v2
	v_sub_f32_e32 v3, v3, v6
	v_fmac_f32_e32 v7, 0x32a5705f, v1
	v_sub_f32_e32 v4, v4, v8
	v_add_f32_e32 v3, v3, v5
	v_cvt_i32_f32_e32 v6, v6
	v_add_f32_e32 v4, v4, v7
	v_exp_f32_e32 v3, v3
	v_cvt_i32_f32_e32 v8, v8
	v_exp_f32_e32 v4, v4
	v_cmp_ngt_f32_e32 vcc, s4, v2
	v_ldexp_f32 v3, v3, v6
	s_mov_b32 s2, 0x42b17218
	v_ldexp_f32 v4, v4, v8
	v_cndmask_b32_e32 v3, 0, v3, vcc
	v_cmp_ngt_f32_e32 vcc, s4, v1
	v_mov_b32_e32 v5, 0x7f800000
	s_nop 0
	v_cndmask_b32_e32 v4, 0, v4, vcc
	v_cmp_nlt_f32_e32 vcc, s2, v2
	s_nop 1
	v_cndmask_b32_e32 v2, v5, v3, vcc
	v_cvt_f16_f32_e32 v3, v2
	v_cmp_nlt_f32_e32 vcc, s2, v1
	v_pk_mul_f16 v63, v3, v63 op_sel_hi:[0,1]
	s_nop 0
	v_cndmask_b32_e32 v1, v5, v4, vcc
	v_fmac_f32_e32 v1, v59, v2
	v_pk_mul_f16 v62, v3, v62 op_sel_hi:[0,1]
	v_mov_b64_e32 v[58:59], v[0:1]
	v_cmp_gt_i32_e32 vcc, s22, v53
	s_and_saveexec_b64 s[4:5], vcc
	s_cbranch_execnz .LBB46_25
.LBB46_23:
	s_endpgm
.LBB46_24:
	v_mov_b32_e32 v1, v59
	v_cmp_gt_i32_e32 vcc, s22, v53
	s_and_saveexec_b64 s[4:5], vcc
	s_cbranch_execz .LBB46_23
.LBB46_25:
	s_load_dword s2, s[0:1], 0xd4
	s_mul_i32 s33, s33, s22
	v_add_u32_e32 v0, s33, v53
	v_mul_lo_u32 v0, v0, s23
	v_add3_u32 v0, s25, v41, v0
	s_waitcnt lgkmcnt(0)
	s_cmp_lg_u32 s2, 1
	v_mul_lo_u32 v0, s2, v0
	s_cselect_b64 s[0:1], -1, 0
	v_add_u32_e32 v0, s3, v0
	s_and_saveexec_b64 s[2:3], s[10:11]
	s_cbranch_execz .LBB46_27
; %bb.26:
	v_div_scale_f32 v4, s[4:5], v1, v1, 1.0
	v_rcp_f32_e32 v5, v4
	v_cvt_f32_f16_sdwa v9, v63 dst_sel:DWORD dst_unused:UNUSED_PAD src0_sel:WORD_1
	v_cvt_f32_f16_sdwa v11, v62 dst_sel:DWORD dst_unused:UNUSED_PAD src0_sel:WORD_1
	v_cvt_f32_f16_e32 v10, v62
	v_fma_f32 v6, -v4, v5, 1.0
	v_fmac_f32_e32 v5, v6, v5
	v_div_scale_f32 v6, vcc, 1.0, v1, 1.0
	v_mul_f32_e32 v7, v6, v5
	v_fma_f32 v8, -v4, v7, v6
	v_fmac_f32_e32 v7, v8, v5
	v_fma_f32 v4, -v4, v7, v6
	v_div_fmas_f32 v4, v4, v5, v7
	v_cvt_f32_f16_e32 v8, v63
	v_div_fixup_f32 v1, v4, v1, 1.0
	s_movk_i32 s4, 0x50
	v_cndmask_b32_e64 v4, v1, 1.0, s[0:1]
	v_mul_lo_u32 v1, v0, s4
	v_mov_b32_e32 v2, s16
	v_mov_b32_e32 v3, s17
	v_lshl_add_u32 v6, v40, 2, v1
	v_mov_b32_e32 v7, 0
	v_lshl_add_u64 v[6:7], v[6:7], 2, v[2:3]
	v_pk_mul_f32 v[2:3], v[4:5], v[8:9] op_sel_hi:[0,1]
	v_pk_mul_f32 v[4:5], v[4:5], v[10:11] op_sel_hi:[0,1]
	global_store_dwordx4 v[6:7], v[2:5], off
.LBB46_27:
	s_or_b64 exec, exec, s[2:3]
	v_cmp_eq_u32_e32 vcc, 0, v40
	s_and_b64 s[0:1], vcc, s[0:1]
	s_and_b64 exec, exec, s[0:1]
	s_cbranch_execz .LBB46_23
; %bb.28:
	v_mov_b32_e32 v2, s18
	v_mov_b32_e32 v3, s19
	v_ashrrev_i32_e32 v1, 31, v0
	v_lshl_add_u64 v[0:1], v[0:1], 3, v[2:3]
	global_store_dwordx2 v[0:1], v[58:59], off
	s_endpgm
	.section	.rodata,"a",@progbits
	.p2align	6, 0x0
	.amdhsa_kernel _ZL15flash_attn_tileILi80ELi80ELi2ELi2ELb0EEvPKcS1_S1_S1_S1_PKiPfP15HIP_vector_typeIfLj2EEffffjfiS5_IjLj3EEiiiiiiiiiiiliiliiiiil
		.amdhsa_group_segment_fixed_size 4160
		.amdhsa_private_segment_fixed_size 0
		.amdhsa_kernarg_size 464
		.amdhsa_user_sgpr_count 2
		.amdhsa_user_sgpr_dispatch_ptr 0
		.amdhsa_user_sgpr_queue_ptr 0
		.amdhsa_user_sgpr_kernarg_segment_ptr 1
		.amdhsa_user_sgpr_dispatch_id 0
		.amdhsa_user_sgpr_kernarg_preload_length 0
		.amdhsa_user_sgpr_kernarg_preload_offset 0
		.amdhsa_user_sgpr_private_segment_size 0
		.amdhsa_uses_dynamic_stack 0
		.amdhsa_enable_private_segment 0
		.amdhsa_system_sgpr_workgroup_id_x 1
		.amdhsa_system_sgpr_workgroup_id_y 1
		.amdhsa_system_sgpr_workgroup_id_z 1
		.amdhsa_system_sgpr_workgroup_info 0
		.amdhsa_system_vgpr_workitem_id 1
		.amdhsa_next_free_vgpr 89
		.amdhsa_next_free_sgpr 44
		.amdhsa_accum_offset 92
		.amdhsa_reserve_vcc 1
		.amdhsa_float_round_mode_32 0
		.amdhsa_float_round_mode_16_64 0
		.amdhsa_float_denorm_mode_32 3
		.amdhsa_float_denorm_mode_16_64 3
		.amdhsa_dx10_clamp 1
		.amdhsa_ieee_mode 1
		.amdhsa_fp16_overflow 0
		.amdhsa_tg_split 0
		.amdhsa_exception_fp_ieee_invalid_op 0
		.amdhsa_exception_fp_denorm_src 0
		.amdhsa_exception_fp_ieee_div_zero 0
		.amdhsa_exception_fp_ieee_overflow 0
		.amdhsa_exception_fp_ieee_underflow 0
		.amdhsa_exception_fp_ieee_inexact 0
		.amdhsa_exception_int_div_zero 0
	.end_amdhsa_kernel
	.section	.text._ZL15flash_attn_tileILi80ELi80ELi2ELi2ELb0EEvPKcS1_S1_S1_S1_PKiPfP15HIP_vector_typeIfLj2EEffffjfiS5_IjLj3EEiiiiiiiiiiiliiliiiiil,"axG",@progbits,_ZL15flash_attn_tileILi80ELi80ELi2ELi2ELb0EEvPKcS1_S1_S1_S1_PKiPfP15HIP_vector_typeIfLj2EEffffjfiS5_IjLj3EEiiiiiiiiiiiliiliiiiil,comdat
.Lfunc_end46:
	.size	_ZL15flash_attn_tileILi80ELi80ELi2ELi2ELb0EEvPKcS1_S1_S1_S1_PKiPfP15HIP_vector_typeIfLj2EEffffjfiS5_IjLj3EEiiiiiiiiiiiliiliiiiil, .Lfunc_end46-_ZL15flash_attn_tileILi80ELi80ELi2ELi2ELb0EEvPKcS1_S1_S1_S1_PKiPfP15HIP_vector_typeIfLj2EEffffjfiS5_IjLj3EEiiiiiiiiiiiliiliiiiil
                                        ; -- End function
	.section	.AMDGPU.csdata,"",@progbits
; Kernel info:
; codeLenInByte = 4588
; NumSgprs: 50
; NumVgprs: 89
; NumAgprs: 0
; TotalNumVgprs: 89
; ScratchSize: 0
; MemoryBound: 0
; FloatMode: 240
; IeeeMode: 1
; LDSByteSize: 4160 bytes/workgroup (compile time only)
; SGPRBlocks: 6
; VGPRBlocks: 11
; NumSGPRsForWavesPerEU: 50
; NumVGPRsForWavesPerEU: 89
; AccumOffset: 92
; Occupancy: 5
; WaveLimiterHint : 1
; COMPUTE_PGM_RSRC2:SCRATCH_EN: 0
; COMPUTE_PGM_RSRC2:USER_SGPR: 2
; COMPUTE_PGM_RSRC2:TRAP_HANDLER: 0
; COMPUTE_PGM_RSRC2:TGID_X_EN: 1
; COMPUTE_PGM_RSRC2:TGID_Y_EN: 1
; COMPUTE_PGM_RSRC2:TGID_Z_EN: 1
; COMPUTE_PGM_RSRC2:TIDIG_COMP_CNT: 1
; COMPUTE_PGM_RSRC3_GFX90A:ACCUM_OFFSET: 22
; COMPUTE_PGM_RSRC3_GFX90A:TG_SPLIT: 0
	.section	.text._ZL33flash_attn_stream_k_fixup_uniformILi80ELi2ELi2EEvPfPK15HIP_vector_typeIfLj2EEiiiiiiS1_IjLj3EES5_S5_,"axG",@progbits,_ZL33flash_attn_stream_k_fixup_uniformILi80ELi2ELi2EEvPfPK15HIP_vector_typeIfLj2EEiiiiiiS1_IjLj3EES5_S5_,comdat
	.globl	_ZL33flash_attn_stream_k_fixup_uniformILi80ELi2ELi2EEvPfPK15HIP_vector_typeIfLj2EEiiiiiiS1_IjLj3EES5_S5_ ; -- Begin function _ZL33flash_attn_stream_k_fixup_uniformILi80ELi2ELi2EEvPfPK15HIP_vector_typeIfLj2EEiiiiiiS1_IjLj3EES5_S5_
	.p2align	8
	.type	_ZL33flash_attn_stream_k_fixup_uniformILi80ELi2ELi2EEvPfPK15HIP_vector_typeIfLj2EEiiiiiiS1_IjLj3EES5_S5_,@function
_ZL33flash_attn_stream_k_fixup_uniformILi80ELi2ELi2EEvPfPK15HIP_vector_typeIfLj2EEiiiiiiS1_IjLj3EES5_S5_: ; @_ZL33flash_attn_stream_k_fixup_uniformILi80ELi2ELi2EEvPfPK15HIP_vector_typeIfLj2EEiiiiiiS1_IjLj3EES5_S5_
; %bb.0:
	s_load_dwordx8 s[8:15], s[0:1], 0x1c
	s_load_dwordx2 s[6:7], s[0:1], 0x10
	s_load_dwordx4 s[16:19], s[0:1], 0x3c
	s_waitcnt lgkmcnt(0)
	s_mul_hi_u32 s5, s11, s2
	s_add_i32 s5, s2, s5
	s_lshr_b32 s5, s5, s12
	s_mul_i32 s11, s5, s13
	s_sub_i32 s12, s2, s11
	s_mul_hi_u32 s11, s12, s14
	s_add_i32 s11, s12, s11
	s_lshr_b32 s11, s11, s15
	s_mul_i32 s13, s11, s16
	s_sub_i32 s12, s12, s13
	;; [unrolled: 5-line block ×3, first 2 shown]
	s_lshl_b32 s12, s16, 1
	s_lshl_b32 s17, s13, 1
	s_add_i32 s12, s12, s3
	s_cmp_lt_i32 s12, s6
	s_cselect_b64 s[12:13], -1, 0
	s_add_i32 s17, s17, s4
	s_cmp_lt_i32 s17, s9
	s_cselect_b64 s[14:15], -1, 0
	s_and_b64 s[12:13], s[12:13], s[14:15]
	s_andn2_b64 vcc, exec, s[12:13]
	s_cbranch_vccnz .LBB47_6
; %bb.1:
	s_load_dwordx4 s[12:15], s[0:1], 0x0
	s_mul_i32 s0, s5, s6
	s_mul_i32 s11, s11, s9
	s_add_i32 s0, s0, s3
	s_mul_i32 s0, s0, s7
	s_add_i32 s5, s17, s11
	;; [unrolled: 2-line block ×3, first 2 shown]
	s_mulk_i32 s1, 0xa0
	s_mulk_i32 s0, 0x50
	s_add_i32 s0, s0, s1
	v_add_u32_e32 v4, s0, v0
	s_waitcnt lgkmcnt(0)
	v_mov_b32_e32 v2, s12
	v_mov_b32_e32 v3, s13
	v_ashrrev_i32_e32 v5, 31, v4
	v_lshl_add_u64 v[2:3], v[4:5], 2, v[2:3]
	global_load_dword v7, v[2:3], off
	s_mul_i32 s5, s2, s10
	s_lshl_b32 s11, s3, 1
	s_add_i32 s9, s5, s10
	s_add_i32 s0, s11, s4
	s_lshl_b32 s1, s9, 2
	s_add_i32 s0, s0, s1
	s_add_i32 s0, s0, -4
	s_ashr_i32 s1, s0, 31
	s_lshl_b64 s[0:1], s[0:1], 3
	s_add_u32 s0, s14, s0
	s_addc_u32 s1, s15, s1
	s_load_dword s12, s[0:1], 0x4
	s_add_i32 s6, s9, -2
	s_cmp_lt_i32 s6, s5
	s_cbranch_scc1 .LBB47_4
; %bb.2:
	s_lshl_b32 s6, s8, 4
	s_ashr_i32 s7, s6, 31
	s_lshl_b64 s[6:7], s[6:7], 2
	s_add_u32 s6, s14, s6
	s_addc_u32 s7, s15, s7
	s_add_i32 s2, s2, 1
	s_load_dword s0, s[0:1], 0x0
	s_mul_i32 s1, s10, s2
	s_lshl_b32 s2, s1, 2
	s_add_i32 s2, s4, s2
	s_mulk_i32 s3, 0xa0
	s_mulk_i32 s4, 0x50
	s_lshl_b32 s8, s8, 2
	s_mulk_i32 s1, 0x140
	s_add_i32 s3, s4, s3
	s_add_i32 s2, s2, s8
	;; [unrolled: 1-line block ×4, first 2 shown]
	v_add_u32_e32 v0, s3, v0
	s_add_i32 s9, s9, -1
	s_add_i32 s2, s2, -8
	v_add_u32_e32 v0, 0xfffffd80, v0
	s_waitcnt lgkmcnt(0)
	v_mov_b32_e32 v6, s12
	v_mov_b32_e32 v5, s0
	s_mov_b32 s4, 0x3fb8aa3b
	s_mov_b32 s8, 0xc2ce8ed0
	;; [unrolled: 1-line block ×3, first 2 shown]
	v_mov_b32_e32 v4, 0x7f800000
	s_mov_b32 s11, 0xc1a00000
.LBB47_3:                               ; =>This Inner Loop Header: Depth=1
	v_ashrrev_i32_e32 v1, 31, v0
	v_lshl_add_u64 v[8:9], v[0:1], 2, s[6:7]
	global_load_dword v1, v[8:9], off
	s_ashr_i32 s3, s2, 31
	s_lshl_b64 s[0:1], s[2:3], 3
	s_add_u32 s0, s14, s0
	s_addc_u32 s1, s15, s1
	s_load_dwordx2 s[12:13], s[0:1], 0x0
	s_waitcnt vmcnt(1)
	v_mov_b32_e32 v8, v7
	v_max_f32_e32 v7, v5, v5
	v_mov_b32_e32 v9, v6
	s_add_i32 s9, s9, -1
	s_waitcnt lgkmcnt(0)
	v_max_f32_e64 v6, s12, s12
	v_max_f32_e32 v6, v7, v6
	v_sub_f32_e32 v10, s12, v6
	v_sub_f32_e32 v7, v5, v6
	v_mul_f32_e32 v11, 0x3fb8aa3b, v10
	v_mov_b32_e32 v5, v6
	v_mul_f32_e32 v6, 0x3fb8aa3b, v7
	v_fma_f32 v14, v10, s4, -v11
	v_rndne_f32_e32 v15, v11
	v_fma_f32 v12, v7, s4, -v6
	v_rndne_f32_e32 v13, v6
	v_fmac_f32_e32 v14, 0x32a5705f, v10
	v_sub_f32_e32 v11, v11, v15
	v_fmac_f32_e32 v12, 0x32a5705f, v7
	v_sub_f32_e32 v6, v6, v13
	v_add_f32_e32 v11, v11, v14
	v_cvt_i32_f32_e32 v15, v15
	v_add_f32_e32 v6, v6, v12
	v_exp_f32_e32 v11, v11
	v_cvt_i32_f32_e32 v13, v13
	v_exp_f32_e32 v6, v6
	v_cmp_ngt_f32_e32 vcc, s8, v10
	v_ldexp_f32 v11, v11, v15
	v_cmp_ngt_f32_e64 s[0:1], s8, v7
	v_ldexp_f32 v6, v6, v13
	v_cndmask_b32_e32 v11, 0, v11, vcc
	v_cmp_nlt_f32_e32 vcc, s10, v10
	v_cndmask_b32_e64 v6, 0, v6, s[0:1]
	v_cmp_nlt_f32_e64 s[0:1], s10, v7
	v_cndmask_b32_e32 v11, v4, v11, vcc
	v_cmp_le_f32_e32 vcc, s11, v10
	v_cndmask_b32_e64 v6, v4, v6, s[0:1]
	v_cmp_le_f32_e64 s[0:1], s11, v7
	v_cndmask_b32_e32 v7, 0, v11, vcc
	s_add_i32 s2, s2, -4
	v_cndmask_b32_e64 v10, 0, v6, s[0:1]
	v_mul_f32_e32 v6, s13, v7
	v_add_u32_e32 v0, 0xfffffec0, v0
	s_cmp_le_i32 s9, s5
	v_fmac_f32_e32 v6, v9, v10
	s_waitcnt vmcnt(0)
	v_mul_f32_e32 v7, v1, v7
	v_fmac_f32_e32 v7, v8, v10
	s_cbranch_scc0 .LBB47_3
	s_branch .LBB47_5
.LBB47_4:
	s_waitcnt lgkmcnt(0)
	v_mov_b32_e32 v6, s12
.LBB47_5:
	s_waitcnt vmcnt(0)
	v_div_scale_f32 v0, s[0:1], v6, v6, v7
	v_rcp_f32_e32 v1, v0
	v_div_scale_f32 v4, vcc, v7, v6, v7
	v_fma_f32 v5, -v0, v1, 1.0
	v_fmac_f32_e32 v1, v5, v1
	v_mul_f32_e32 v5, v4, v1
	v_fma_f32 v8, -v0, v5, v4
	v_fmac_f32_e32 v5, v8, v1
	v_fma_f32 v0, -v0, v5, v4
	v_div_fmas_f32 v0, v0, v1, v5
	v_div_fixup_f32 v0, v0, v6, v7
	global_store_dword v[2:3], v0, off
.LBB47_6:
	s_endpgm
	.section	.rodata,"a",@progbits
	.p2align	6, 0x0
	.amdhsa_kernel _ZL33flash_attn_stream_k_fixup_uniformILi80ELi2ELi2EEvPfPK15HIP_vector_typeIfLj2EEiiiiiiS1_IjLj3EES5_S5_
		.amdhsa_group_segment_fixed_size 0
		.amdhsa_private_segment_fixed_size 0
		.amdhsa_kernarg_size 76
		.amdhsa_user_sgpr_count 2
		.amdhsa_user_sgpr_dispatch_ptr 0
		.amdhsa_user_sgpr_queue_ptr 0
		.amdhsa_user_sgpr_kernarg_segment_ptr 1
		.amdhsa_user_sgpr_dispatch_id 0
		.amdhsa_user_sgpr_kernarg_preload_length 0
		.amdhsa_user_sgpr_kernarg_preload_offset 0
		.amdhsa_user_sgpr_private_segment_size 0
		.amdhsa_uses_dynamic_stack 0
		.amdhsa_enable_private_segment 0
		.amdhsa_system_sgpr_workgroup_id_x 1
		.amdhsa_system_sgpr_workgroup_id_y 1
		.amdhsa_system_sgpr_workgroup_id_z 1
		.amdhsa_system_sgpr_workgroup_info 0
		.amdhsa_system_vgpr_workitem_id 0
		.amdhsa_next_free_vgpr 16
		.amdhsa_next_free_sgpr 20
		.amdhsa_accum_offset 16
		.amdhsa_reserve_vcc 1
		.amdhsa_float_round_mode_32 0
		.amdhsa_float_round_mode_16_64 0
		.amdhsa_float_denorm_mode_32 3
		.amdhsa_float_denorm_mode_16_64 3
		.amdhsa_dx10_clamp 1
		.amdhsa_ieee_mode 1
		.amdhsa_fp16_overflow 0
		.amdhsa_tg_split 0
		.amdhsa_exception_fp_ieee_invalid_op 0
		.amdhsa_exception_fp_denorm_src 0
		.amdhsa_exception_fp_ieee_div_zero 0
		.amdhsa_exception_fp_ieee_overflow 0
		.amdhsa_exception_fp_ieee_underflow 0
		.amdhsa_exception_fp_ieee_inexact 0
		.amdhsa_exception_int_div_zero 0
	.end_amdhsa_kernel
	.section	.text._ZL33flash_attn_stream_k_fixup_uniformILi80ELi2ELi2EEvPfPK15HIP_vector_typeIfLj2EEiiiiiiS1_IjLj3EES5_S5_,"axG",@progbits,_ZL33flash_attn_stream_k_fixup_uniformILi80ELi2ELi2EEvPfPK15HIP_vector_typeIfLj2EEiiiiiiS1_IjLj3EES5_S5_,comdat
.Lfunc_end47:
	.size	_ZL33flash_attn_stream_k_fixup_uniformILi80ELi2ELi2EEvPfPK15HIP_vector_typeIfLj2EEiiiiiiS1_IjLj3EES5_S5_, .Lfunc_end47-_ZL33flash_attn_stream_k_fixup_uniformILi80ELi2ELi2EEvPfPK15HIP_vector_typeIfLj2EEiiiiiiS1_IjLj3EES5_S5_
                                        ; -- End function
	.section	.AMDGPU.csdata,"",@progbits
; Kernel info:
; codeLenInByte = 836
; NumSgprs: 26
; NumVgprs: 16
; NumAgprs: 0
; TotalNumVgprs: 16
; ScratchSize: 0
; MemoryBound: 0
; FloatMode: 240
; IeeeMode: 1
; LDSByteSize: 0 bytes/workgroup (compile time only)
; SGPRBlocks: 3
; VGPRBlocks: 1
; NumSGPRsForWavesPerEU: 26
; NumVGPRsForWavesPerEU: 16
; AccumOffset: 16
; Occupancy: 8
; WaveLimiterHint : 0
; COMPUTE_PGM_RSRC2:SCRATCH_EN: 0
; COMPUTE_PGM_RSRC2:USER_SGPR: 2
; COMPUTE_PGM_RSRC2:TRAP_HANDLER: 0
; COMPUTE_PGM_RSRC2:TGID_X_EN: 1
; COMPUTE_PGM_RSRC2:TGID_Y_EN: 1
; COMPUTE_PGM_RSRC2:TGID_Z_EN: 1
; COMPUTE_PGM_RSRC2:TIDIG_COMP_CNT: 0
; COMPUTE_PGM_RSRC3_GFX90A:ACCUM_OFFSET: 3
; COMPUTE_PGM_RSRC3_GFX90A:TG_SPLIT: 0
	.section	.text._ZL33flash_attn_stream_k_fixup_generalILi80ELi2ELi2EEvPfPK15HIP_vector_typeIfLj2EEiiiiS1_IjLj3EES5_S5_S5_,"axG",@progbits,_ZL33flash_attn_stream_k_fixup_generalILi80ELi2ELi2EEvPfPK15HIP_vector_typeIfLj2EEiiiiS1_IjLj3EES5_S5_S5_,comdat
	.globl	_ZL33flash_attn_stream_k_fixup_generalILi80ELi2ELi2EEvPfPK15HIP_vector_typeIfLj2EEiiiiS1_IjLj3EES5_S5_S5_ ; -- Begin function _ZL33flash_attn_stream_k_fixup_generalILi80ELi2ELi2EEvPfPK15HIP_vector_typeIfLj2EEiiiiS1_IjLj3EES5_S5_S5_
	.p2align	8
	.type	_ZL33flash_attn_stream_k_fixup_generalILi80ELi2ELi2EEvPfPK15HIP_vector_typeIfLj2EEiiiiS1_IjLj3EES5_S5_S5_,@function
_ZL33flash_attn_stream_k_fixup_generalILi80ELi2ELi2EEvPfPK15HIP_vector_typeIfLj2EEiiiiS1_IjLj3EES5_S5_S5_: ; @_ZL33flash_attn_stream_k_fixup_generalILi80ELi2ELi2EEvPfPK15HIP_vector_typeIfLj2EEiiiiS1_IjLj3EES5_S5_S5_
; %bb.0:
	s_load_dwordx4 s[12:15], s[0:1], 0x10
	s_load_dword s22, s[0:1], 0x50
	s_mov_b32 s8, 0
	s_waitcnt lgkmcnt(0)
	s_mul_hi_i32 s9, s15, s2
	s_cmp_lg_u64 s[8:9], 0
	s_mul_i32 s5, s15, s2
	s_cbranch_scc0 .LBB48_21
; %bb.1:
	v_cvt_f32_u32_e32 v1, s22
	v_cvt_f32_ubyte0_e32 v2, 0
	s_sub_u32 s8, 0, s22
	s_subb_u32 s10, 0, 0
	v_fmamk_f32 v1, v2, 0x4f800000, v1
	v_rcp_f32_e32 v1, v1
	s_nop 0
	v_mul_f32_e32 v1, 0x5f7ffffc, v1
	v_mul_f32_e32 v2, 0x2f800000, v1
	v_trunc_f32_e32 v2, v2
	v_fmamk_f32 v1, v2, 0xcf800000, v1
	v_cvt_u32_f32_e32 v2, v2
	v_cvt_u32_f32_e32 v1, v1
	v_readfirstlane_b32 s11, v2
	v_readfirstlane_b32 s16, v1
	s_mul_i32 s17, s8, s11
	s_mul_hi_u32 s19, s8, s16
	s_mul_i32 s18, s10, s16
	s_add_i32 s17, s19, s17
	s_add_i32 s17, s17, s18
	s_mul_i32 s20, s8, s16
	s_mul_hi_u32 s18, s16, s17
	s_mul_i32 s19, s16, s17
	s_mul_hi_u32 s16, s16, s20
	s_add_u32 s16, s16, s19
	s_addc_u32 s18, 0, s18
	s_mul_hi_u32 s21, s11, s20
	s_mul_i32 s20, s11, s20
	s_add_u32 s16, s16, s20
	s_mul_hi_u32 s19, s11, s17
	s_addc_u32 s16, s18, s21
	s_addc_u32 s18, s19, 0
	s_mul_i32 s17, s11, s17
	s_add_u32 s16, s16, s17
	s_addc_u32 s17, 0, s18
	v_add_co_u32_e32 v1, vcc, s16, v1
	s_cmp_lg_u64 vcc, 0
	s_addc_u32 s11, s11, s17
	v_readfirstlane_b32 s17, v1
	s_mul_i32 s16, s8, s11
	s_mul_hi_u32 s18, s8, s17
	s_add_i32 s16, s18, s16
	s_mul_i32 s10, s10, s17
	s_add_i32 s16, s16, s10
	s_mul_i32 s8, s8, s17
	s_mul_hi_u32 s18, s11, s8
	s_mul_i32 s19, s11, s8
	s_mul_i32 s21, s17, s16
	s_mul_hi_u32 s8, s17, s8
	s_mul_hi_u32 s20, s17, s16
	s_add_u32 s8, s8, s21
	s_addc_u32 s17, 0, s20
	s_add_u32 s8, s8, s19
	s_mul_hi_u32 s10, s11, s16
	s_addc_u32 s8, s17, s18
	s_addc_u32 s10, s10, 0
	s_mul_i32 s16, s11, s16
	s_add_u32 s8, s8, s16
	s_addc_u32 s10, 0, s10
	v_add_co_u32_e32 v1, vcc, s8, v1
	s_cmp_lg_u64 vcc, 0
	s_addc_u32 s16, s11, s10
	s_ashr_i32 s10, s9, 31
	s_add_u32 s8, s5, s10
	s_mov_b32 s11, s10
	s_addc_u32 s9, s9, s10
	s_xor_b64 s[8:9], s[8:9], s[10:11]
	v_readfirstlane_b32 s19, v1
	s_mul_i32 s18, s8, s16
	s_mul_hi_u32 s20, s8, s19
	s_mul_hi_u32 s17, s8, s16
	s_add_u32 s18, s20, s18
	s_addc_u32 s17, 0, s17
	s_mul_hi_u32 s21, s9, s19
	s_mul_i32 s19, s9, s19
	s_add_u32 s18, s18, s19
	s_mul_hi_u32 s20, s9, s16
	s_addc_u32 s17, s17, s21
	s_addc_u32 s18, s20, 0
	s_mul_i32 s16, s9, s16
	s_add_u32 s16, s17, s16
	s_addc_u32 s17, 0, s18
	s_add_u32 s18, s16, 1
	s_addc_u32 s19, s17, 0
	s_add_u32 s20, s16, 2
	s_mul_i32 s23, s22, s17
	s_mul_hi_u32 s24, s22, s16
	s_addc_u32 s21, s17, 0
	s_add_i32 s24, s24, s23
	s_mul_i32 s23, s22, s16
	v_mov_b32_e32 v1, s23
	v_sub_co_u32_e32 v1, vcc, s8, v1
	s_cmp_lg_u64 vcc, 0
	s_subb_u32 s8, s9, s24
	v_subrev_co_u32_e32 v2, vcc, s22, v1
	s_cmp_lg_u64 vcc, 0
	s_subb_u32 s9, s8, 0
	v_readfirstlane_b32 s23, v2
	s_cmp_ge_u32 s23, s22
	s_cselect_b32 s23, -1, 0
	s_cmp_eq_u32 s9, 0
	s_cselect_b32 s9, s23, -1
	s_cmp_lg_u32 s9, 0
	s_cselect_b32 s9, s21, s19
	v_readfirstlane_b32 s19, v1
	s_cselect_b32 s18, s20, s18
	s_cmp_ge_u32 s19, s22
	s_cselect_b32 s19, -1, 0
	s_cmp_eq_u32 s8, 0
	s_cselect_b32 s8, s19, -1
	s_cmp_lg_u32 s8, 0
	s_cselect_b32 s9, s9, s17
	s_cselect_b32 s8, s18, s16
	s_xor_b64 s[8:9], s[8:9], s[10:11]
	s_sub_u32 s20, s8, s10
	s_load_dwordx4 s[16:19], s[0:1], 0x44
	s_cbranch_execnz .LBB48_3
.LBB48_2:
	v_cvt_f32_u32_e32 v1, s22
	s_sub_i32 s6, 0, s22
	v_rcp_iflag_f32_e32 v1, v1
	s_nop 0
	v_mul_f32_e32 v1, 0x4f7ffffe, v1
	v_cvt_u32_f32_e32 v1, v1
	s_nop 0
	v_readfirstlane_b32 s7, v1
	s_mul_i32 s6, s6, s7
	s_mul_hi_u32 s6, s7, s6
	s_add_i32 s7, s7, s6
	s_mul_hi_u32 s6, s5, s7
	s_mul_i32 s8, s6, s22
	s_sub_i32 s5, s5, s8
	s_add_i32 s7, s6, 1
	s_sub_i32 s8, s5, s22
	s_cmp_ge_u32 s5, s22
	s_cselect_b32 s6, s7, s6
	s_cselect_b32 s5, s8, s5
	s_add_i32 s7, s6, 1
	s_cmp_ge_u32 s5, s22
	s_cselect_b32 s20, s7, s6
.LBB48_3:
	s_add_i32 s5, s2, 1
	s_mul_hi_i32 s9, s15, s5
	s_mov_b32 s8, 0
	s_cmp_lg_u64 s[8:9], 0
	s_mul_i32 s5, s15, s5
	s_cbranch_scc0 .LBB48_22
; %bb.4:
	v_cvt_f32_u32_e32 v1, s22
	v_cvt_f32_ubyte0_e32 v2, 0
	s_sub_u32 s8, 0, s22
	s_subb_u32 s10, 0, 0
	v_fmamk_f32 v1, v2, 0x4f800000, v1
	v_rcp_f32_e32 v1, v1
	s_nop 0
	v_mul_f32_e32 v1, 0x5f7ffffc, v1
	v_mul_f32_e32 v2, 0x2f800000, v1
	v_trunc_f32_e32 v2, v2
	v_fmamk_f32 v1, v2, 0xcf800000, v1
	v_cvt_u32_f32_e32 v2, v2
	v_cvt_u32_f32_e32 v1, v1
	v_readfirstlane_b32 s11, v2
	s_waitcnt lgkmcnt(0)
	v_readfirstlane_b32 s19, v1
	s_mul_i32 s21, s8, s11
	s_mul_hi_u32 s24, s8, s19
	s_mul_i32 s23, s10, s19
	s_add_i32 s21, s24, s21
	s_add_i32 s21, s21, s23
	s_mul_i32 s25, s8, s19
	s_mul_hi_u32 s23, s19, s21
	s_mul_i32 s24, s19, s21
	s_mul_hi_u32 s19, s19, s25
	s_add_u32 s19, s19, s24
	s_addc_u32 s23, 0, s23
	s_mul_hi_u32 s26, s11, s25
	s_mul_i32 s25, s11, s25
	s_add_u32 s19, s19, s25
	s_mul_hi_u32 s24, s11, s21
	s_addc_u32 s19, s23, s26
	s_addc_u32 s23, s24, 0
	s_mul_i32 s21, s11, s21
	s_add_u32 s19, s19, s21
	s_addc_u32 s21, 0, s23
	v_add_co_u32_e32 v1, vcc, s19, v1
	s_cmp_lg_u64 vcc, 0
	s_addc_u32 s11, s11, s21
	v_readfirstlane_b32 s21, v1
	s_mul_i32 s19, s8, s11
	s_mul_hi_u32 s23, s8, s21
	s_add_i32 s19, s23, s19
	s_mul_i32 s10, s10, s21
	s_add_i32 s19, s19, s10
	s_mul_i32 s8, s8, s21
	s_mul_hi_u32 s23, s11, s8
	s_mul_i32 s24, s11, s8
	s_mul_i32 s26, s21, s19
	s_mul_hi_u32 s8, s21, s8
	s_mul_hi_u32 s25, s21, s19
	s_add_u32 s8, s8, s26
	s_addc_u32 s21, 0, s25
	s_add_u32 s8, s8, s24
	s_mul_hi_u32 s10, s11, s19
	s_addc_u32 s8, s21, s23
	s_addc_u32 s10, s10, 0
	s_mul_i32 s19, s11, s19
	s_add_u32 s8, s8, s19
	s_addc_u32 s10, 0, s10
	v_add_co_u32_e32 v1, vcc, s8, v1
	s_cmp_lg_u64 vcc, 0
	s_addc_u32 s19, s11, s10
	s_ashr_i32 s10, s9, 31
	s_add_u32 s8, s5, s10
	s_mov_b32 s11, s10
	s_addc_u32 s9, s9, s10
	s_xor_b64 s[8:9], s[8:9], s[10:11]
	v_readfirstlane_b32 s23, v1
	s_mul_i32 s21, s8, s19
	s_mul_hi_u32 s24, s8, s23
	s_mul_hi_u32 s11, s8, s19
	s_add_u32 s21, s24, s21
	s_addc_u32 s11, 0, s11
	s_mul_hi_u32 s25, s9, s23
	s_mul_i32 s23, s9, s23
	s_add_u32 s21, s21, s23
	s_mul_hi_u32 s24, s9, s19
	s_addc_u32 s11, s11, s25
	s_addc_u32 s21, s24, 0
	s_mul_i32 s19, s9, s19
	s_add_u32 s11, s11, s19
	s_addc_u32 s19, 0, s21
	s_mul_i32 s19, s22, s19
	s_mul_hi_u32 s24, s22, s11
	s_add_i32 s24, s24, s19
	s_mul_i32 s19, s22, s11
	v_mov_b32_e32 v1, s19
	s_add_u32 s21, s11, 1
	s_add_u32 s23, s11, 2
	v_sub_co_u32_e32 v1, vcc, s8, v1
	s_cmp_lg_u64 vcc, 0
	s_subb_u32 s8, s9, s24
	v_subrev_co_u32_e32 v2, vcc, s22, v1
	s_cmp_lg_u64 vcc, 0
	s_subb_u32 s9, s8, 0
	v_cmp_le_u32_e32 vcc, s22, v2
	s_cmp_eq_u32 s9, 0
	v_mov_b32_e32 v3, s21
	v_cndmask_b32_e64 v2, 0, -1, vcc
	s_cselect_b64 vcc, -1, 0
	v_cndmask_b32_e32 v2, -1, v2, vcc
	v_mov_b32_e32 v4, s23
	v_cmp_ne_u32_e32 vcc, 0, v2
	s_cmp_eq_u32 s8, 0
	s_nop 0
	v_cndmask_b32_e32 v2, v3, v4, vcc
	v_cmp_le_u32_e32 vcc, s22, v1
	v_mov_b32_e32 v3, s11
	s_nop 0
	v_cndmask_b32_e64 v1, 0, -1, vcc
	s_cselect_b64 vcc, -1, 0
	v_cndmask_b32_e32 v1, -1, v1, vcc
	v_cmp_ne_u32_e32 vcc, 0, v1
	s_nop 1
	v_cndmask_b32_e32 v1, v3, v2, vcc
	v_xor_b32_e32 v1, s10, v1
	v_subrev_co_u32_e32 v2, vcc, s10, v1
	s_cbranch_execnz .LBB48_6
.LBB48_5:
	v_cvt_f32_u32_e32 v1, s22
	s_sub_i32 s6, 0, s22
	s_mov_b32 s7, 0
	v_rcp_iflag_f32_e32 v1, v1
	s_nop 0
	v_mul_f32_e32 v1, 0x4f7ffffe, v1
	v_cvt_u32_f32_e32 v1, v1
	s_nop 0
	v_readfirstlane_b32 s8, v1
	s_mul_i32 s6, s6, s8
	s_mul_hi_u32 s6, s8, s6
	s_add_i32 s8, s8, s6
	s_mul_hi_u32 s6, s5, s8
	s_mul_i32 s9, s6, s22
	s_sub_i32 s5, s5, s9
	s_add_i32 s8, s6, 1
	s_sub_i32 s9, s5, s22
	s_cmp_ge_u32 s5, s22
	s_cselect_b32 s6, s8, s6
	s_cselect_b32 s5, s9, s5
	s_add_i32 s8, s6, 1
	s_cmp_ge_u32 s5, s22
	s_cselect_b32 s6, s8, s6
	v_mov_b64_e32 v[2:3], s[6:7]
.LBB48_6:
	s_waitcnt lgkmcnt(0)
	s_mul_hi_u32 s5, s20, s16
	s_add_i32 s5, s5, s20
	v_mul_hi_u32 v1, v2, s16
	s_lshr_b32 s19, s5, s17
	v_add_u32_e32 v1, v1, v2
	s_mul_i32 s5, s19, s18
	v_lshrrev_b32_e32 v1, s17, v1
	s_cmp_eq_u32 s5, s20
	v_cmp_eq_u32_e64 s[6:7], s19, v1
	v_mul_lo_u32 v1, v1, s18
	v_cmp_eq_u32_e32 vcc, s20, v2
	s_cselect_b64 s[10:11], -1, 0
	v_cmp_ne_u32_e64 s[8:9], v1, v2
	s_and_b64 s[6:7], s[6:7], s[8:9]
	s_or_b64 s[8:9], vcc, s[10:11]
	s_or_b64 s[6:7], s[8:9], s[6:7]
	s_and_b64 vcc, exec, s[6:7]
	s_cbranch_vccnz .LBB48_24
; %bb.7:
	s_load_dwordx8 s[24:31], s[0:1], 0x20
	s_load_dword s5, s[0:1], 0x40
	s_waitcnt lgkmcnt(0)
	s_mul_hi_u32 s6, s20, s24
	s_add_i32 s6, s6, s20
	s_lshr_b32 s7, s6, s25
	s_mul_i32 s6, s7, s26
	s_sub_i32 s6, s20, s6
	s_mul_hi_u32 s8, s6, s27
	s_add_i32 s8, s6, s8
	s_lshr_b32 s23, s8, s28
	s_mul_i32 s8, s23, s29
	s_sub_i32 s6, s6, s8
	;; [unrolled: 5-line block ×3, first 2 shown]
	s_mul_hi_u32 s6, s5, s16
	s_add_i32 s5, s5, s6
	s_lshr_b32 s24, s5, s17
	s_lshl_b32 s5, s24, 1
	s_lshl_b32 s25, s8, 1
	s_add_i32 s5, s5, s3
	s_cmp_lt_i32 s5, s12
	s_cselect_b64 s[8:9], -1, 0
	s_add_i32 s25, s25, s4
	s_cmp_lt_i32 s25, s14
	s_cselect_b64 s[10:11], -1, 0
	s_and_b64 s[8:9], s[8:9], s[10:11]
	s_andn2_b64 vcc, exec, s[8:9]
	s_mov_b32 s6, 0
	s_cbranch_vccnz .LBB48_24
; %bb.8:
	s_load_dwordx4 s[8:11], s[0:1], 0x0
	s_lshl_b32 s21, s3, 1
	s_lshl_b32 s0, s22, 4
	s_mov_b32 s1, s6
	s_add_i32 s21, s21, s4
	s_lshl_b64 s[0:1], s[0:1], 2
	s_waitcnt lgkmcnt(0)
	s_add_u32 s4, s10, s0
	s_mul_i32 s0, s7, s12
	s_addc_u32 s5, s11, s1
	s_mul_i32 s23, s23, s14
	s_add_i32 s0, s0, s3
	s_mul_i32 s0, s0, s13
	s_add_i32 s3, s25, s23
	;; [unrolled: 2-line block ×3, first 2 shown]
	s_mulk_i32 s1, 0xa0
	s_mulk_i32 s0, 0x50
	s_add_i32 s1, s1, s0
	v_add_u32_e32 v4, s1, v0
	v_mov_b32_e32 v2, s8
	v_mov_b32_e32 v3, s9
	v_ashrrev_i32_e32 v5, 31, v4
	v_lshl_add_u64 v[2:3], v[4:5], 2, v[2:3]
	global_load_dword v5, v[2:3], off
	s_lshl_b32 s0, s2, 2
	s_add_i32 s0, s21, s0
	s_ashr_i32 s1, s0, 31
	s_lshl_b64 s[0:1], s[0:1], 3
	s_add_u32 s0, s10, s0
	s_addc_u32 s1, s11, s1
	s_add_i32 s12, s2, -1
	s_mul_i32 s2, s21, 0x50
	v_add_u32_e32 v4, s2, v0
	v_cvt_f32_u32_e32 v0, s22
	v_cvt_f32_ubyte0_e32 v1, 0
	s_load_dwordx2 s[0:1], s[0:1], 0x0
	v_mov_b32_e32 v8, s20
	v_fmac_f32_e32 v0, 0x4f800000, v1
	v_rcp_f32_e32 v0, v0
	v_cvt_f32_u32_e32 v1, s22
	s_waitcnt lgkmcnt(0)
	v_mov_b32_e32 v6, s1
	v_mov_b32_e32 v7, s0
	v_mul_f32_e32 v0, 0x5f7ffffc, v0
	v_rcp_iflag_f32_e32 v1, v1
	v_mul_f32_e32 v9, 0x2f800000, v0
	v_trunc_f32_e32 v10, v9
	v_fmac_f32_e32 v0, 0xcf800000, v10
	v_cvt_u32_f32_e32 v9, v0
	v_mul_f32_e32 v0, 0x4f7ffffe, v1
	v_cvt_u32_f32_e32 v10, v10
	v_cvt_u32_f32_e32 v11, v0
	s_mov_b32 s8, 0x3fb8aa3b
	s_mov_b32 s9, 0xc2ce8ed0
	;; [unrolled: 1-line block ×4, first 2 shown]
	v_mov_b32_e32 v12, 0x7f800000
	s_mul_hi_i32 s7, s12, s15
	s_cmp_lg_u64 s[6:7], 0
	s_mul_i32 s2, s12, s15
	s_cbranch_scc0 .LBB48_15
.LBB48_9:
	s_sub_u32 s0, 0, s22
	v_readfirstlane_b32 s3, v9
	v_readfirstlane_b32 s24, v10
	s_subb_u32 s1, 0, 0
	s_mul_hi_u32 s23, s0, s3
	s_mul_i32 s25, s0, s24
	s_mul_i32 s20, s1, s3
	s_add_i32 s23, s23, s25
	s_add_i32 s23, s23, s20
	s_mul_i32 s26, s0, s3
	s_mul_hi_u32 s20, s3, s23
	s_mul_i32 s25, s3, s23
	s_mul_hi_u32 s3, s3, s26
	s_add_u32 s3, s3, s25
	s_addc_u32 s20, 0, s20
	s_mul_hi_u32 s27, s24, s26
	s_mul_i32 s26, s24, s26
	s_add_u32 s3, s3, s26
	s_mul_hi_u32 s25, s24, s23
	s_addc_u32 s3, s20, s27
	s_addc_u32 s20, s25, 0
	s_mul_i32 s23, s24, s23
	s_add_u32 s3, s3, s23
	s_addc_u32 s20, 0, s20
	v_add_co_u32_e32 v0, vcc, s3, v9
	s_cmp_lg_u64 vcc, 0
	s_addc_u32 s3, s24, s20
	v_readfirstlane_b32 s23, v0
	s_mul_i32 s20, s0, s3
	s_mul_hi_u32 s24, s0, s23
	s_add_i32 s20, s24, s20
	s_mul_i32 s1, s1, s23
	s_add_i32 s20, s20, s1
	s_mul_i32 s0, s0, s23
	s_mul_hi_u32 s24, s3, s0
	s_mul_i32 s25, s3, s0
	s_mul_i32 s27, s23, s20
	s_mul_hi_u32 s0, s23, s0
	s_mul_hi_u32 s26, s23, s20
	s_add_u32 s0, s0, s27
	s_addc_u32 s23, 0, s26
	s_add_u32 s0, s0, s25
	s_mul_hi_u32 s1, s3, s20
	s_addc_u32 s0, s23, s24
	s_addc_u32 s1, s1, 0
	s_mul_i32 s20, s3, s20
	s_add_u32 s0, s0, s20
	s_addc_u32 s1, 0, s1
	v_add_co_u32_e32 v0, vcc, s0, v0
	s_cmp_lg_u64 vcc, 0
	s_addc_u32 s3, s3, s1
	s_ashr_i32 s0, s7, 31
	s_add_u32 s24, s2, s0
	s_mov_b32 s1, s0
	s_addc_u32 s25, s7, s0
	s_xor_b64 s[24:25], s[24:25], s[0:1]
	v_readfirstlane_b32 s20, v0
	s_mul_i32 s7, s24, s3
	s_mul_hi_u32 s23, s24, s20
	s_mul_hi_u32 s1, s24, s3
	s_add_u32 s7, s23, s7
	s_addc_u32 s1, 0, s1
	s_mul_hi_u32 s26, s25, s20
	s_mul_i32 s20, s25, s20
	s_add_u32 s7, s7, s20
	s_mul_hi_u32 s23, s25, s3
	s_addc_u32 s1, s1, s26
	s_addc_u32 s7, s23, 0
	s_mul_i32 s3, s25, s3
	s_add_u32 s1, s1, s3
	s_addc_u32 s3, 0, s7
	s_mul_i32 s3, s22, s3
	s_mul_hi_u32 s23, s22, s1
	s_add_i32 s23, s23, s3
	s_mul_i32 s3, s22, s1
	v_mov_b32_e32 v0, s3
	s_add_u32 s7, s1, 1
	s_add_u32 s20, s1, 2
	v_sub_co_u32_e32 v0, vcc, s24, v0
	s_cmp_lg_u64 vcc, 0
	s_subb_u32 s3, s25, s23
	v_subrev_co_u32_e32 v1, vcc, s22, v0
	s_cmp_lg_u64 vcc, 0
	s_subb_u32 s23, s3, 0
	v_cmp_le_u32_e32 vcc, s22, v1
	s_cmp_eq_u32 s23, 0
	v_mov_b32_e32 v13, s7
	v_cndmask_b32_e64 v1, 0, -1, vcc
	s_cselect_b64 vcc, -1, 0
	v_cndmask_b32_e32 v1, -1, v1, vcc
	v_mov_b32_e32 v14, s20
	v_cmp_ne_u32_e32 vcc, 0, v1
	s_cmp_eq_u32 s3, 0
	s_nop 0
	v_cndmask_b32_e32 v1, v13, v14, vcc
	v_cmp_le_u32_e32 vcc, s22, v0
	v_mov_b32_e32 v13, s1
	s_nop 0
	v_cndmask_b32_e64 v0, 0, -1, vcc
	s_cselect_b64 vcc, -1, 0
	v_cndmask_b32_e32 v0, -1, v0, vcc
	v_cmp_ne_u32_e32 vcc, 0, v0
	s_nop 1
	v_cndmask_b32_e32 v0, v13, v1, vcc
	v_xor_b32_e32 v0, s0, v0
	v_subrev_co_u32_e32 v0, vcc, s0, v0
	s_cbranch_execnz .LBB48_11
.LBB48_10:
	s_sub_i32 s0, 0, s22
	v_mul_lo_u32 v0, s0, v11
	v_mul_hi_u32 v0, v11, v0
	v_add_u32_e32 v0, v11, v0
	v_mul_hi_u32 v0, s2, v0
	v_mul_lo_u32 v13, v0, s22
	v_sub_u32_e32 v13, s2, v13
	v_add_u32_e32 v1, 1, v0
	v_subrev_u32_e32 v14, s22, v13
	v_cmp_le_u32_e32 vcc, s22, v13
	s_nop 1
	v_cndmask_b32_e32 v13, v13, v14, vcc
	v_cndmask_b32_e32 v0, v0, v1, vcc
	v_add_u32_e32 v1, 1, v0
	v_cmp_le_u32_e32 vcc, s22, v13
	s_nop 1
	v_cndmask_b32_e32 v0, v0, v1, vcc
.LBB48_11:
	v_cmp_ne_u32_e32 vcc, v8, v0
	s_cbranch_vccz .LBB48_14
; %bb.12:
	s_add_i32 s0, s12, s22
	s_lshl_b32 s0, s0, 2
	v_mul_hi_u32 v1, v0, s16
	s_add_i32 s0, s0, s21
	s_mov_b32 s1, s6
	v_add_u32_e32 v1, v1, v0
	s_lshl_b64 s[0:1], s[0:1], 3
	v_lshrrev_b32_e32 v1, s17, v1
	s_add_u32 s2, s10, s0
	v_mul_lo_u32 v13, v1, s18
	s_addc_u32 s3, s11, s1
	v_cmp_eq_u32_e32 vcc, v13, v0
	v_cmp_gt_u32_e64 s[0:1], s19, v1
	s_or_b64 s[0:1], s[0:1], vcc
	s_and_b64 vcc, exec, s[0:1]
	s_cbranch_vccnz .LBB48_16
; %bb.13:
	s_add_i32 s7, s12, -1
	s_mov_b64 s[0:1], 0
	s_branch .LBB48_17
.LBB48_14:
                                        ; implicit-def: $sgpr0_sgpr1
                                        ; implicit-def: $vgpr14
                                        ; implicit-def: $vgpr1
                                        ; implicit-def: $vgpr13
                                        ; implicit-def: $sgpr7
                                        ; implicit-def: $vgpr0
	s_branch .LBB48_18
.LBB48_15:
                                        ; implicit-def: $vgpr0_vgpr1
	s_branch .LBB48_10
.LBB48_16:
	s_mov_b64 s[0:1], -1
	s_mov_b32 s7, s12
	v_mov_b32_e32 v0, v8
.LBB48_17:
	s_mul_i32 s20, s12, 0x140
	v_add_u32_e32 v14, s20, v4
	v_ashrrev_i32_e32 v15, 31, v14
	v_lshl_add_u64 v[14:15], v[14:15], 2, s[4:5]
	global_load_dword v14, v[14:15], off
	s_load_dwordx2 s[2:3], s[2:3], 0x0
	v_max_f32_e32 v1, v7, v7
	s_waitcnt lgkmcnt(0)
	v_max_f32_e64 v13, s2, s2
	v_max_f32_e32 v1, v1, v13
	v_sub_f32_e32 v13, v7, v1
	v_sub_f32_e32 v15, s2, v1
	v_mul_f32_e32 v16, 0x3fb8aa3b, v13
	v_mul_f32_e32 v17, 0x3fb8aa3b, v15
	v_fma_f32 v18, v13, s8, -v16
	v_rndne_f32_e32 v19, v16
	v_fma_f32 v20, v15, s8, -v17
	v_rndne_f32_e32 v21, v17
	v_fmac_f32_e32 v18, 0x32a5705f, v13
	v_sub_f32_e32 v16, v16, v19
	v_fmac_f32_e32 v20, 0x32a5705f, v15
	v_sub_f32_e32 v17, v17, v21
	v_add_f32_e32 v16, v16, v18
	v_cvt_i32_f32_e32 v19, v19
	v_add_f32_e32 v17, v17, v20
	v_exp_f32_e32 v16, v16
	v_cvt_i32_f32_e32 v21, v21
	v_exp_f32_e32 v17, v17
	v_cmp_ngt_f32_e32 vcc, s9, v13
	v_ldexp_f32 v16, v16, v19
	v_ldexp_f32 v17, v17, v21
	v_cndmask_b32_e32 v16, 0, v16, vcc
	v_cmp_ngt_f32_e32 vcc, s9, v15
	s_nop 1
	v_cndmask_b32_e32 v17, 0, v17, vcc
	v_cmp_nlt_f32_e32 vcc, s13, v13
	s_nop 1
	v_cndmask_b32_e32 v16, v12, v16, vcc
	v_cmp_nlt_f32_e32 vcc, s13, v15
	s_nop 1
	v_cndmask_b32_e32 v17, v12, v17, vcc
	v_cmp_le_f32_e32 vcc, s14, v13
	s_nop 1
	v_cndmask_b32_e32 v16, 0, v16, vcc
	v_cmp_le_f32_e32 vcc, s14, v15
	s_nop 1
	v_cndmask_b32_e32 v15, 0, v17, vcc
	v_mul_f32_e32 v13, s3, v15
	v_fmac_f32_e32 v13, v6, v16
	s_waitcnt vmcnt(0)
	v_mul_f32_e32 v14, v14, v15
	v_fmac_f32_e32 v14, v5, v16
	s_cbranch_execnz .LBB48_19
.LBB48_18:
	s_add_i32 s7, s12, -1
	s_mov_b64 s[0:1], 0
	v_mov_b32_e32 v0, v8
	v_mov_b32_e32 v13, v6
	;; [unrolled: 1-line block ×3, first 2 shown]
	s_waitcnt vmcnt(0)
	v_mov_b32_e32 v14, v5
.LBB48_19:
	s_andn2_b64 vcc, exec, s[0:1]
	s_cbranch_vccz .LBB48_23
; %bb.20:
	v_mov_b32_e32 v8, v0
	s_mov_b32 s12, s7
	v_mov_b32_e32 v6, v13
	v_mov_b32_e32 v7, v1
	s_waitcnt vmcnt(0)
	v_mov_b32_e32 v5, v14
	s_mul_hi_i32 s7, s12, s15
	s_cmp_lg_u64 s[6:7], 0
	s_mul_i32 s2, s12, s15
	s_cbranch_scc1 .LBB48_9
	s_branch .LBB48_15
.LBB48_21:
                                        ; implicit-def: $sgpr20_sgpr21
	s_load_dwordx4 s[16:19], s[0:1], 0x44
	s_branch .LBB48_2
.LBB48_22:
                                        ; implicit-def: $vgpr2_vgpr3
	s_branch .LBB48_5
.LBB48_23:
	v_div_scale_f32 v0, s[0:1], v13, v13, v14
	v_rcp_f32_e32 v1, v0
	v_div_scale_f32 v4, vcc, v14, v13, v14
	s_waitcnt vmcnt(0)
	v_fma_f32 v5, -v0, v1, 1.0
	v_fmac_f32_e32 v1, v5, v1
	v_mul_f32_e32 v5, v4, v1
	v_fma_f32 v6, -v0, v5, v4
	v_fmac_f32_e32 v5, v6, v1
	v_fma_f32 v0, -v0, v5, v4
	v_div_fmas_f32 v0, v0, v1, v5
	v_div_fixup_f32 v0, v0, v13, v14
	global_store_dword v[2:3], v0, off
.LBB48_24:
	s_endpgm
	.section	.rodata,"a",@progbits
	.p2align	6, 0x0
	.amdhsa_kernel _ZL33flash_attn_stream_k_fixup_generalILi80ELi2ELi2EEvPfPK15HIP_vector_typeIfLj2EEiiiiS1_IjLj3EES5_S5_S5_
		.amdhsa_group_segment_fixed_size 0
		.amdhsa_private_segment_fixed_size 0
		.amdhsa_kernarg_size 336
		.amdhsa_user_sgpr_count 2
		.amdhsa_user_sgpr_dispatch_ptr 0
		.amdhsa_user_sgpr_queue_ptr 0
		.amdhsa_user_sgpr_kernarg_segment_ptr 1
		.amdhsa_user_sgpr_dispatch_id 0
		.amdhsa_user_sgpr_kernarg_preload_length 0
		.amdhsa_user_sgpr_kernarg_preload_offset 0
		.amdhsa_user_sgpr_private_segment_size 0
		.amdhsa_uses_dynamic_stack 0
		.amdhsa_enable_private_segment 0
		.amdhsa_system_sgpr_workgroup_id_x 1
		.amdhsa_system_sgpr_workgroup_id_y 1
		.amdhsa_system_sgpr_workgroup_id_z 1
		.amdhsa_system_sgpr_workgroup_info 0
		.amdhsa_system_vgpr_workitem_id 0
		.amdhsa_next_free_vgpr 22
		.amdhsa_next_free_sgpr 32
		.amdhsa_accum_offset 24
		.amdhsa_reserve_vcc 1
		.amdhsa_float_round_mode_32 0
		.amdhsa_float_round_mode_16_64 0
		.amdhsa_float_denorm_mode_32 3
		.amdhsa_float_denorm_mode_16_64 3
		.amdhsa_dx10_clamp 1
		.amdhsa_ieee_mode 1
		.amdhsa_fp16_overflow 0
		.amdhsa_tg_split 0
		.amdhsa_exception_fp_ieee_invalid_op 0
		.amdhsa_exception_fp_denorm_src 0
		.amdhsa_exception_fp_ieee_div_zero 0
		.amdhsa_exception_fp_ieee_overflow 0
		.amdhsa_exception_fp_ieee_underflow 0
		.amdhsa_exception_fp_ieee_inexact 0
		.amdhsa_exception_int_div_zero 0
	.end_amdhsa_kernel
	.section	.text._ZL33flash_attn_stream_k_fixup_generalILi80ELi2ELi2EEvPfPK15HIP_vector_typeIfLj2EEiiiiS1_IjLj3EES5_S5_S5_,"axG",@progbits,_ZL33flash_attn_stream_k_fixup_generalILi80ELi2ELi2EEvPfPK15HIP_vector_typeIfLj2EEiiiiS1_IjLj3EES5_S5_S5_,comdat
.Lfunc_end48:
	.size	_ZL33flash_attn_stream_k_fixup_generalILi80ELi2ELi2EEvPfPK15HIP_vector_typeIfLj2EEiiiiS1_IjLj3EES5_S5_S5_, .Lfunc_end48-_ZL33flash_attn_stream_k_fixup_generalILi80ELi2ELi2EEvPfPK15HIP_vector_typeIfLj2EEiiiiS1_IjLj3EES5_S5_S5_
                                        ; -- End function
	.section	.AMDGPU.csdata,"",@progbits
; Kernel info:
; codeLenInByte = 2868
; NumSgprs: 38
; NumVgprs: 22
; NumAgprs: 0
; TotalNumVgprs: 22
; ScratchSize: 0
; MemoryBound: 0
; FloatMode: 240
; IeeeMode: 1
; LDSByteSize: 0 bytes/workgroup (compile time only)
; SGPRBlocks: 4
; VGPRBlocks: 2
; NumSGPRsForWavesPerEU: 38
; NumVGPRsForWavesPerEU: 22
; AccumOffset: 24
; Occupancy: 8
; WaveLimiterHint : 0
; COMPUTE_PGM_RSRC2:SCRATCH_EN: 0
; COMPUTE_PGM_RSRC2:USER_SGPR: 2
; COMPUTE_PGM_RSRC2:TRAP_HANDLER: 0
; COMPUTE_PGM_RSRC2:TGID_X_EN: 1
; COMPUTE_PGM_RSRC2:TGID_Y_EN: 1
; COMPUTE_PGM_RSRC2:TGID_Z_EN: 1
; COMPUTE_PGM_RSRC2:TIDIG_COMP_CNT: 0
; COMPUTE_PGM_RSRC3_GFX90A:ACCUM_OFFSET: 5
; COMPUTE_PGM_RSRC3_GFX90A:TG_SPLIT: 0
	.section	.text._ZL15flash_attn_tileILi80ELi80ELi1ELi2ELb0EEvPKcS1_S1_S1_S1_PKiPfP15HIP_vector_typeIfLj2EEffffjfiS5_IjLj3EEiiiiiiiiiiiliiliiiiil,"axG",@progbits,_ZL15flash_attn_tileILi80ELi80ELi1ELi2ELb0EEvPKcS1_S1_S1_S1_PKiPfP15HIP_vector_typeIfLj2EEffffjfiS5_IjLj3EEiiiiiiiiiiiliiliiiiil,comdat
	.globl	_ZL15flash_attn_tileILi80ELi80ELi1ELi2ELb0EEvPKcS1_S1_S1_S1_PKiPfP15HIP_vector_typeIfLj2EEffffjfiS5_IjLj3EEiiiiiiiiiiiliiliiiiil ; -- Begin function _ZL15flash_attn_tileILi80ELi80ELi1ELi2ELb0EEvPKcS1_S1_S1_S1_PKiPfP15HIP_vector_typeIfLj2EEffffjfiS5_IjLj3EEiiiiiiiiiiiliiliiiiil
	.p2align	8
	.type	_ZL15flash_attn_tileILi80ELi80ELi1ELi2ELb0EEvPKcS1_S1_S1_S1_PKiPfP15HIP_vector_typeIfLj2EEffffjfiS5_IjLj3EEiiiiiiiiiiiliiliiiiil,@function
_ZL15flash_attn_tileILi80ELi80ELi1ELi2ELb0EEvPKcS1_S1_S1_S1_PKiPfP15HIP_vector_typeIfLj2EEffffjfiS5_IjLj3EEiiiiiiiiiiiliiliiiiil: ; @_ZL15flash_attn_tileILi80ELi80ELi1ELi2ELb0EEvPKcS1_S1_S1_S1_PKiPfP15HIP_vector_typeIfLj2EEffffjfiS5_IjLj3EEiiiiiiiiiiiliiliiiiil
; %bb.0:
	s_load_dwordx4 s[20:23], s[0:1], 0x5c
	s_load_dwordx2 s[24:25], s[0:1], 0x80
	s_load_dwordx2 s[28:29], s[0:1], 0xb8
	s_mov_b64 s[26:27], 0
	s_waitcnt lgkmcnt(0)
	s_lshr_b32 s5, s23, 31
	s_add_i32 s5, s23, s5
	s_ashr_i32 s5, s5, 1
	v_cvt_f32_u32_e32 v1, s5
	s_sub_i32 s6, 0, s5
	v_rcp_iflag_f32_e32 v1, v1
	s_nop 0
	v_mul_f32_e32 v1, 0x4f7ffffe, v1
	v_cvt_u32_f32_e32 v1, v1
	s_nop 0
	v_readfirstlane_b32 s7, v1
	s_mul_i32 s6, s6, s7
	s_mul_hi_u32 s6, s7, s6
	s_add_i32 s7, s7, s6
	s_mul_hi_u32 s6, s4, s7
	s_mul_i32 s7, s6, s5
	s_sub_i32 s7, s4, s7
	s_add_i32 s8, s6, 1
	s_sub_i32 s9, s7, s5
	s_cmp_ge_u32 s7, s5
	s_cselect_b32 s6, s8, s6
	s_cselect_b32 s7, s9, s7
	s_add_i32 s8, s6, 1
	s_cmp_ge_u32 s7, s5
	s_cselect_b32 s33, s8, s6
	s_abs_i32 s5, s25
	v_cvt_f32_u32_e32 v1, s5
	s_sub_i32 s7, 0, s5
	s_abs_i32 s6, s23
	s_lshl_b32 s30, s4, 1
	v_rcp_iflag_f32_e32 v1, v1
	s_xor_b32 s4, s23, s25
	s_ashr_i32 s4, s4, 31
	s_mul_i32 s25, s33, s23
	v_mul_f32_e32 v1, 0x4f7ffffe, v1
	v_cvt_u32_f32_e32 v1, v1
	s_nop 0
	v_readfirstlane_b32 s8, v1
	s_mul_i32 s7, s7, s8
	s_mul_hi_u32 s7, s8, s7
	s_add_i32 s8, s8, s7
	s_mul_hi_u32 s7, s6, s8
	s_mul_i32 s8, s7, s5
	s_sub_i32 s6, s6, s8
	s_add_i32 s9, s7, 1
	s_sub_i32 s8, s6, s5
	s_cmp_ge_u32 s6, s5
	s_cselect_b32 s7, s9, s7
	s_cselect_b32 s6, s8, s6
	s_add_i32 s8, s7, 1
	s_cmp_ge_u32 s6, s5
	s_cselect_b32 s5, s8, s7
	s_xor_b32 s5, s5, s4
	s_sub_i32 s34, s5, s4
	s_abs_i32 s35, s34
	v_cvt_f32_u32_e32 v1, s35
	s_load_dwordx16 s[4:19], s[0:1], 0x0
	v_rcp_iflag_f32_e32 v1, v1
	s_waitcnt lgkmcnt(0)
	s_cmp_eq_u64 s[10:11], 0
	v_mul_f32_e32 v1, 0x4f7ffffe, v1
	v_cvt_u32_f32_e32 v1, v1
	s_nop 0
	v_readfirstlane_b32 s36, v1
	s_cbranch_scc1 .LBB49_2
; %bb.1:
	s_abs_i32 s28, s28
	v_cvt_f32_u32_e32 v1, s28
	s_sub_i32 s38, 0, s28
	s_abs_i32 s37, s33
	s_ashr_i32 s31, s33, 31
	v_rcp_iflag_f32_e32 v1, v1
	s_load_dwordx2 s[26:27], s[0:1], 0xc8
	v_mul_f32_e32 v1, 0x4f7ffffe, v1
	v_cvt_u32_f32_e32 v1, v1
	s_nop 0
	v_readfirstlane_b32 s39, v1
	s_mul_i32 s38, s38, s39
	s_mul_hi_u32 s38, s39, s38
	s_add_i32 s39, s39, s38
	s_mul_hi_u32 s38, s37, s39
	s_mul_i32 s38, s38, s28
	s_sub_i32 s37, s37, s38
	s_sub_i32 s38, s37, s28
	s_cmp_ge_u32 s37, s28
	s_cselect_b32 s37, s38, s37
	s_sub_i32 s38, s37, s28
	s_cmp_ge_u32 s37, s28
	s_cselect_b32 s28, s38, s37
	s_xor_b32 s28, s28, s31
	s_sub_i32 s28, s28, s31
	s_ashr_i32 s31, s28, 31
	s_waitcnt lgkmcnt(0)
	s_mul_i32 s27, s28, s27
	s_mul_hi_u32 s37, s28, s26
	s_add_i32 s27, s37, s27
	s_mul_i32 s31, s31, s26
	s_add_i32 s27, s27, s31
	s_mul_i32 s28, s28, s26
	s_add_u32 s26, s10, s28
	s_addc_u32 s27, s11, s27
.LBB49_2:
	v_bfe_u32 v1, v0, 10, 10
	v_lshrrev_b32_e32 v41, 1, v1
	v_and_b32_e32 v40, 0x3ff, v0
	v_add_u32_e32 v0, s2, v41
	s_sub_i32 s25, s30, s25
	v_and_b32_e32 v57, 1, v1
	v_cmp_gt_u32_e64 s[10:11], 20, v40
	v_mul_hi_u32 v2, s20, v0
	s_and_saveexec_b64 s[30:31], s[10:11]
	s_cbranch_execz .LBB49_4
; %bb.3:
	s_load_dwordx4 s[40:43], s[0:1], 0x70
	s_waitcnt lgkmcnt(0)
	s_mul_i32 s20, s33, s42
	s_ashr_i32 s37, s20, 31
	s_mul_i32 s28, s25, s41
	s_add_u32 s4, s4, s20
	s_addc_u32 s5, s5, s37
	s_ashr_i32 s20, s28, 31
	s_add_u32 s4, s4, s28
	v_mov_b32_e32 v3, s41
	s_addc_u32 s5, s5, s20
	s_ashr_i32 s20, s41, 31
	v_alignbit_b32 v3, s20, v3, 2
	v_mul_lo_u32 v4, v3, v57
	v_add_u32_e32 v3, v0, v2
	s_lshr_b32 s20, s20, 2
	v_lshrrev_b32_e32 v3, s21, v3
	v_mul_lo_u32 v5, s20, v57
	v_mul_lo_u32 v3, v3, s22
	s_ashr_i32 s20, s40, 31
	v_mov_b32_e32 v6, s40
	v_sub_u32_e32 v3, v0, v3
	v_alignbit_b32 v6, s20, v6, 2
	v_mad_u64_u32 v[6:7], s[38:39], v6, v3, 0
	v_mov_b32_e32 v8, v7
	s_lshr_b32 s20, s20, 2
	v_mad_u64_u32 v[8:9], s[38:39], s20, v3, v[8:9]
	v_mov_b32_e32 v7, v8
	v_lshl_add_u64 v[4:5], v[4:5], 2, s[4:5]
	v_lshl_add_u64 v[4:5], v[6:7], 2, v[4:5]
	v_lshlrev_b32_e32 v6, 4, v40
	v_mov_b32_e32 v7, 0
	v_lshl_add_u64 v[4:5], v[4:5], 0, v[6:7]
	global_load_dwordx4 v[4:7], v[4:5], off
	s_load_dword s4, s[0:1], 0x40
	v_mul_u32_u24_e32 v3, 40, v1
	s_waitcnt vmcnt(0) lgkmcnt(0)
	v_pk_mul_f32 v[4:5], v[4:5], s[4:5] op_sel_hi:[1,0]
	v_pk_mul_f32 v[6:7], v[6:7], s[4:5] op_sel_hi:[1,0]
	v_cvt_f16_f32_e32 v8, v5
	v_cvt_f16_f32_e32 v5, v7
	;; [unrolled: 1-line block ×4, first 2 shown]
	v_lshlrev_b32_e32 v7, 1, v40
	v_add_lshl_u32 v3, v3, v7, 2
	v_pack_b32_f16 v5, v6, v5
	v_pack_b32_f16 v4, v4, v8
	ds_write_b64 v3, v[4:5] offset:3264
.LBB49_4:
	s_or_b64 exec, exec, s[30:31]
	s_cmp_eq_u64 s[14:15], 0
	s_waitcnt lgkmcnt(0)
	; wave barrier
	s_waitcnt lgkmcnt(0)
	s_cbranch_scc1 .LBB49_6
; %bb.5:
	s_load_dword s4, s[0:1], 0xd0
	s_mov_b32 s5, 0
	s_waitcnt lgkmcnt(0)
	s_mul_i32 s4, s4, s33
	s_add_i32 s4, s4, s2
	s_lshl_b64 s[4:5], s[4:5], 2
	s_add_u32 s4, s14, s4
	s_addc_u32 s5, s15, s5
	s_load_dword s24, s[4:5], 0x0
.LBB49_6:
	s_lshl_b32 s30, s3, 5
	s_waitcnt lgkmcnt(0)
	s_cmp_lt_i32 s30, s24
	v_mbcnt_lo_u32_b32 v3, -1, 0
	s_cbranch_scc1 .LBB49_8
; %bb.7:
	v_mbcnt_hi_u32_b32 v51, -1, v3
	v_and_b32_e32 v4, 0x60, v51
	s_mov_b32 s14, 0
	v_add_u32_e32 v80, 32, v4
	v_xor_b32_e32 v81, 16, v51
	v_xor_b32_e32 v82, 8, v51
	;; [unrolled: 1-line block ×5, first 2 shown]
	s_mov_b64 s[4:5], 0
	s_mov_b32 s15, 0xfeffffff
	s_branch .LBB49_9
.LBB49_8:
	s_mov_b64 s[4:5], -1
                                        ; implicit-def: $sgpr15
                                        ; implicit-def: $sgpr14
                                        ; implicit-def: $vgpr51
                                        ; implicit-def: $vgpr80
                                        ; implicit-def: $vgpr81
                                        ; implicit-def: $vgpr82
                                        ; implicit-def: $vgpr83
                                        ; implicit-def: $vgpr84
                                        ; implicit-def: $vgpr85
.LBB49_9:
	s_andn2_b64 vcc, exec, s[4:5]
	v_mov_b32_e32 v62, s15
	v_mov_b32_e32 v86, s14
	;; [unrolled: 1-line block ×4, first 2 shown]
	s_cbranch_vccnz .LBB49_21
; %bb.10:
	s_sub_i32 s4, 0, s35
	s_mul_i32 s4, s4, s36
	s_mul_hi_u32 s4, s36, s4
	s_add_i32 s14, s36, s4
	s_load_dwordx2 s[4:5], s[0:1], 0x8c
	s_load_dwordx4 s[36:39], s[0:1], 0x98
	s_ashr_i32 s41, s34, 31
	s_abs_i32 s20, s25
	s_ashr_i32 s40, s25, 31
	s_waitcnt lgkmcnt(0)
	s_ashr_i32 s34, s4, 2
	s_ashr_i32 s31, s38, 2
	;; [unrolled: 1-line block ×4, first 2 shown]
	s_mul_i32 s37, s33, s37
	s_mul_hi_u32 s38, s33, s36
	s_add_i32 s37, s38, s37
	s_mul_i32 s38, s29, s36
	s_add_i32 s37, s37, s38
	s_mul_i32 s36, s33, s36
	s_mul_hi_u32 s28, s20, s14
	s_add_u32 s6, s6, s36
	s_addc_u32 s7, s7, s37
	s_mul_i32 s37, s28, s35
	s_sub_i32 s20, s20, s37
	s_xor_b32 s36, s40, s41
	s_add_i32 s37, s28, 1
	s_sub_i32 s38, s20, s35
	s_cmp_ge_u32 s20, s35
	s_cselect_b32 s28, s37, s28
	s_cselect_b32 s20, s38, s20
	s_add_i32 s37, s28, 1
	s_cmp_ge_u32 s20, s35
	s_load_dwordx2 s[14:15], s[0:1], 0xa8
	s_cselect_b32 s20, s37, s28
	s_xor_b32 s20, s20, s36
	s_sub_i32 s20, s20, s36
	s_mul_i32 s5, s20, s5
	s_ashr_i32 s28, s5, 31
	s_add_u32 s35, s6, s5
	s_waitcnt lgkmcnt(0)
	s_mul_i32 s5, s33, s15
	s_mul_hi_u32 s6, s33, s14
	s_addc_u32 s36, s7, s28
	s_add_i32 s5, s6, s5
	s_mul_i32 s29, s29, s14
	s_add_i32 s5, s5, s29
	s_mul_i32 s6, s33, s14
	s_add_u32 s6, s8, s6
	s_mul_i32 s20, s20, s39
	v_add_u32_e32 v2, v0, v2
	s_addc_u32 s5, s9, s5
	s_ashr_i32 s7, s20, 31
	v_lshrrev_b32_e32 v4, 2, v40
	v_lshlrev_b32_e32 v7, 2, v40
	v_lshrrev_b32_e32 v2, s21, v2
	s_add_u32 s37, s6, s20
	v_lshl_add_u32 v6, v1, 3, v4
	v_and_b32_e32 v4, 12, v7
	v_mul_lo_u32 v2, v2, s22
	s_addc_u32 s38, s5, s7
	v_lshl_add_u32 v5, v1, 5, v40
	v_lshlrev_b32_e32 v8, 2, v4
	s_movk_i32 s5, 0x60
	v_sub_u32_e32 v0, v0, v2
	v_mad_u32_u24 v63, v6, s5, v8
	v_mad_u32_u24 v71, v5, s5, 64
	v_mad_u64_u32 v[50:51], s[4:5], v0, s4, v[40:41]
	v_mov_b32_e32 v0, 0xe00
	v_lshl_add_u32 v72, v1, 6, v0
	v_lshrrev_b32_e32 v0, 1, v40
	v_lshl_add_u32 v0, v1, 4, v0
	v_lshrrev_b32_e32 v2, 3, v40
	v_mul_u32_u24_e32 v70, 0xa0, v1
	v_lshl_add_u32 v1, v1, 2, v2
	v_and_b32_e32 v56, 4, v7
	v_mul_u32_u24_e32 v2, 0xa0, v0
	v_cmp_gt_u32_e64 s[4:5], 16, v0
	v_lshl_or_b32 v2, v56, 2, v2
	v_mul_lo_u32 v58, s31, v0
	v_and_b32_e32 v0, 28, v7
	v_mul_lo_u32 v44, s34, v6
	s_movk_i32 s6, 0xa0
	v_mul_lo_u32 v52, s31, v1
	v_add_u32_e32 v75, 0x80, v2
	v_lshlrev_b32_e32 v2, 2, v0
	v_mov_b32_e32 v43, 0
	v_lshl_add_u32 v46, s34, 4, v44
	v_mul_lo_u32 v48, s34, v5
	v_lshl_add_u32 v54, s31, 3, v52
	v_mad_u32_u24 v76, v1, s6, v2
	s_add_u32 s14, s0, 0xd0
	v_cmp_gt_u32_e32 vcc, 32, v5
	v_ashrrev_i32_e32 v45, 31, v44
	v_add_u32_e32 v68, 0x600, v63
	v_ashrrev_i32_e32 v47, 31, v46
	v_mul_u32_u24_e32 v69, 0x60, v40
	v_ashrrev_i32_e32 v49, 31, v48
	v_lshl_add_u32 v73, v40, 1, v72
	v_ashrrev_i32_e32 v53, 31, v52
	v_ashrrev_i32_e32 v55, 31, v54
	v_lshlrev_b32_e32 v74, 3, v40
	v_ashrrev_i32_e32 v59, 31, v58
	v_add_u32_e32 v77, 0x500, v76
	s_addc_u32 s15, s1, 0
	v_mov_b32_e32 v6, 0xfeffffff
	v_lshlrev_b32_e32 v60, 2, v4
	v_mov_b32_e32 v61, v43
	v_mbcnt_hi_u32_b32 v51, -1, v3
	s_mov_b32 s39, 0x3fb8aa3b
	s_mov_b32 s40, 0xc2ce8ed0
	;; [unrolled: 1-line block ×3, first 2 shown]
	v_lshlrev_b32_e32 v42, 2, v0
	v_mov_b32_e32 v78, 0x7f800000
	v_mov_b32_e32 v67, v43
	;; [unrolled: 1-line block ×4, first 2 shown]
.LBB49_11:                              ; =>This Inner Loop Header: Depth=1
	s_mul_hi_i32 s7, s30, s34
	s_mul_i32 s6, s30, s34
	s_lshl_b64 s[6:7], s[6:7], 2
	s_add_u32 s6, s35, s6
	s_addc_u32 s7, s36, s7
	v_lshl_add_u64 v[0:1], v[48:49], 2, s[6:7]
	s_and_saveexec_b64 s[8:9], vcc
	s_cbranch_execz .LBB49_13
; %bb.12:                               ;   in Loop: Header=BB49_11 Depth=1
	global_load_dwordx4 v[2:5], v[0:1], off offset:64
	s_waitcnt vmcnt(0)
	ds_write_b128 v71, v[2:5]
.LBB49_13:                              ;   in Loop: Header=BB49_11 Depth=1
	s_or_b64 exec, exec, s[8:9]
	v_lshl_add_u64 v[2:3], v[44:45], 2, s[6:7]
	v_lshl_add_u64 v[2:3], v[2:3], 0, v[60:61]
	;; [unrolled: 1-line block ×4, first 2 shown]
	global_load_dwordx4 v[8:11], v[2:3], off
	global_load_dwordx4 v[12:15], v[4:5], off
	v_mov_b32_e32 v7, v43
	s_waitcnt vmcnt(1)
	ds_write_b128 v63, v[8:11]
	s_waitcnt vmcnt(0)
	ds_write_b128 v68, v[12:15]
	s_waitcnt lgkmcnt(0)
	; wave barrier
	s_waitcnt lgkmcnt(0)
	ds_read_b128 v[8:11], v69
	ds_read_b128 v[12:15], v70 offset:3264
	s_waitcnt lgkmcnt(0)
	;;#ASMSTART
	v_dot2_f32_f16 v7, v8, v12, v7
	;;#ASMEND
	s_nop 0
	;;#ASMSTART
	v_dot2_f32_f16 v7, v9, v13, v7
	;;#ASMEND
	s_nop 0
	;;#ASMSTART
	v_dot2_f32_f16 v7, v10, v14, v7
	;;#ASMEND
	s_nop 0
	;;#ASMSTART
	v_dot2_f32_f16 v7, v11, v15, v7
	;;#ASMEND
	ds_read_b128 v[8:11], v69 offset:16
	ds_read_b128 v[12:15], v70 offset:3280
	s_waitcnt lgkmcnt(0)
	;;#ASMSTART
	v_dot2_f32_f16 v7, v8, v12, v7
	;;#ASMEND
	s_nop 0
	;;#ASMSTART
	v_dot2_f32_f16 v7, v9, v13, v7
	;;#ASMEND
	s_nop 0
	;;#ASMSTART
	v_dot2_f32_f16 v7, v10, v14, v7
	;;#ASMEND
	s_nop 0
	;;#ASMSTART
	v_dot2_f32_f16 v7, v11, v15, v7
	;;#ASMEND
	ds_read_b128 v[8:11], v69 offset:32
	;; [unrolled: 18-line block ×4, first 2 shown]
	ds_read_b128 v[12:15], v70 offset:3328
	s_waitcnt lgkmcnt(0)
	;;#ASMSTART
	v_dot2_f32_f16 v7, v8, v12, v7
	;;#ASMEND
	s_nop 0
	;;#ASMSTART
	v_dot2_f32_f16 v7, v9, v13, v7
	;;#ASMEND
	s_nop 0
	;; [unrolled: 4-line block ×3, first 2 shown]
	;;#ASMSTART
	v_dot2_f32_f16 v7, v11, v15, v7
	;;#ASMEND
	s_waitcnt lgkmcnt(0)
	; wave barrier
	s_and_saveexec_b64 s[6:7], vcc
	s_cbranch_execz .LBB49_15
; %bb.14:                               ;   in Loop: Header=BB49_11 Depth=1
	global_load_dwordx4 v[8:11], v[0:1], off offset:144
	s_waitcnt vmcnt(0)
	ds_write_b128 v71, v[8:11]
.LBB49_15:                              ;   in Loop: Header=BB49_11 Depth=1
	s_or_b64 exec, exec, s[6:7]
	global_load_dwordx4 v[8:11], v[2:3], off offset:80
	global_load_dwordx4 v[12:15], v[4:5], off offset:80
	v_add_u32_e32 v4, s30, v50
	v_ashrrev_i32_e32 v5, 31, v4
	v_lshl_add_u64 v[4:5], v[4:5], 1, s[26:27]
	v_xor_b32_e32 v81, 16, v51
	v_xor_b32_e32 v82, 8, v51
	;; [unrolled: 1-line block ×5, first 2 shown]
	v_lshlrev_b32_e32 v64, 2, v56
	s_waitcnt vmcnt(1)
	ds_write_b128 v63, v[8:11]
	s_waitcnt vmcnt(0)
	ds_write_b128 v68, v[12:15]
	s_waitcnt lgkmcnt(0)
	; wave barrier
	s_waitcnt lgkmcnt(0)
	ds_read_b128 v[0:3], v69
	ds_read_b128 v[8:11], v70 offset:3344
	s_waitcnt lgkmcnt(0)
	;;#ASMSTART
	v_dot2_f32_f16 v7, v0, v8, v7
	;;#ASMEND
	s_nop 0
	;;#ASMSTART
	v_dot2_f32_f16 v7, v1, v9, v7
	;;#ASMEND
	s_nop 0
	;;#ASMSTART
	v_dot2_f32_f16 v7, v2, v10, v7
	;;#ASMEND
	s_nop 0
	;;#ASMSTART
	v_dot2_f32_f16 v7, v3, v11, v7
	;;#ASMEND
	ds_read_b128 v[0:3], v69 offset:16
	ds_read_b128 v[8:11], v70 offset:3360
	s_waitcnt lgkmcnt(0)
	;;#ASMSTART
	v_dot2_f32_f16 v7, v0, v8, v7
	;;#ASMEND
	s_nop 0
	;;#ASMSTART
	v_dot2_f32_f16 v7, v1, v9, v7
	;;#ASMEND
	s_nop 0
	;;#ASMSTART
	v_dot2_f32_f16 v7, v2, v10, v7
	;;#ASMEND
	s_nop 0
	;;#ASMSTART
	v_dot2_f32_f16 v7, v3, v11, v7
	;;#ASMEND
	ds_read_b128 v[0:3], v69 offset:32
	;; [unrolled: 18-line block ×4, first 2 shown]
	ds_read_b128 v[8:11], v70 offset:3408
	s_waitcnt lgkmcnt(0)
	;;#ASMSTART
	v_dot2_f32_f16 v7, v0, v8, v7
	;;#ASMEND
	s_nop 0
	;;#ASMSTART
	v_dot2_f32_f16 v7, v1, v9, v7
	;;#ASMEND
	v_max_f32_e32 v1, v6, v6
	;;#ASMSTART
	v_dot2_f32_f16 v7, v2, v10, v7
	;;#ASMEND
	v_and_b32_e32 v2, 0x60, v51
	;;#ASMSTART
	v_dot2_f32_f16 v7, v3, v11, v7
	;;#ASMEND
	flat_load_ushort v0, v[4:5]
	v_add_u32_e32 v80, 32, v2
	v_cmp_lt_i32_e64 s[6:7], v81, v80
	s_waitcnt lgkmcnt(0)
	; wave barrier
	s_waitcnt lgkmcnt(0)
	v_cndmask_b32_e64 v2, v51, v81, s[6:7]
	v_lshlrev_b32_e32 v2, 2, v2
	v_cmp_lt_i32_e64 s[6:7], v82, v80
	s_waitcnt vmcnt(0)
	v_cvt_f32_f16_e32 v0, v0
	v_add_f32_e32 v0, v7, v0
	v_add_f32_e32 v3, 0x40051340, v0
	v_max_f32_e32 v1, v1, v3
	ds_bpermute_b32 v2, v2, v1
	v_cndmask_b32_e64 v3, v51, v82, s[6:7]
	v_lshlrev_b32_e32 v3, 2, v3
	v_cmp_lt_i32_e64 s[6:7], v83, v80
	s_waitcnt lgkmcnt(0)
	v_max_f32_e32 v2, v2, v2
	v_max_f32_e32 v1, v1, v2
	ds_bpermute_b32 v2, v3, v1
	v_cndmask_b32_e64 v3, v51, v83, s[6:7]
	v_lshlrev_b32_e32 v3, 2, v3
	v_cmp_lt_i32_e64 s[6:7], v84, v80
	s_waitcnt lgkmcnt(0)
	v_max_f32_e32 v2, v2, v2
	;; [unrolled: 7-line block ×3, first 2 shown]
	v_max_f32_e32 v1, v1, v2
	ds_bpermute_b32 v2, v3, v1
	v_cndmask_b32_e64 v3, v51, v85, s[6:7]
	v_lshlrev_b32_e32 v3, 2, v3
	s_mul_hi_i32 s7, s30, s31
	s_mul_i32 s6, s30, s31
	s_waitcnt lgkmcnt(0)
	v_max_f32_e32 v2, v2, v2
	v_max_f32_e32 v1, v1, v2
	ds_bpermute_b32 v2, v3, v1
	s_lshl_b64 s[8:9], s[6:7], 2
	s_add_u32 s8, s37, s8
	s_addc_u32 s9, s38, s9
	s_waitcnt lgkmcnt(0)
	v_max_f32_e32 v2, v2, v2
	v_max_f32_e32 v62, v1, v2
	v_sub_f32_e32 v0, v0, v62
	v_mul_f32_e32 v1, 0x3fb8aa3b, v0
	v_fma_f32 v2, v0, s39, -v1
	v_rndne_f32_e32 v3, v1
	v_fmac_f32_e32 v2, 0x32a5705f, v0
	v_sub_f32_e32 v1, v1, v3
	v_add_f32_e32 v1, v1, v2
	v_cvt_i32_f32_e32 v3, v3
	v_exp_f32_e32 v1, v1
	v_cmp_ngt_f32_e64 s[6:7], s40, v0
	v_ldexp_f32 v1, v1, v3
	s_nop 0
	v_cndmask_b32_e64 v1, 0, v1, s[6:7]
	v_cmp_nlt_f32_e64 s[6:7], s41, v0
	s_nop 1
	v_cndmask_b32_e64 v86, v78, v1, s[6:7]
	v_cvt_f16_f32_e32 v0, v86
	ds_write_b16 v73, v0
	s_and_saveexec_b64 s[6:7], s[4:5]
	s_cbranch_execz .LBB49_17
; %bb.16:                               ;   in Loop: Header=BB49_11 Depth=1
	v_lshl_add_u64 v[0:1], v[58:59], 2, s[8:9]
	v_mov_b32_e32 v65, v43
	v_lshl_add_u64 v[0:1], v[0:1], 0, v[64:65]
	global_load_dwordx4 v[0:3], v[0:1], off offset:128
	s_waitcnt vmcnt(0)
	ds_write_b128 v75, v[0:3]
.LBB49_17:                              ;   in Loop: Header=BB49_11 Depth=1
	s_or_b64 exec, exec, s[6:7]
	v_lshl_add_u64 v[0:1], v[52:53], 2, s[8:9]
	v_lshl_add_u64 v[4:5], v[0:1], 0, v[42:43]
	;; [unrolled: 1-line block ×4, first 2 shown]
	global_load_dwordx4 v[0:3], v[4:5], off
	global_load_dwordx4 v[8:11], v[12:13], off
	v_sub_f32_e32 v89, v6, v62
	v_add_u32_e32 v88, 0x400, v74
	v_add_u32_e32 v87, 0x800, v74
	s_or_b32 s20, s30, 16
	s_mul_hi_i32 s21, s20, s31
	s_mul_i32 s20, s20, s31
	s_lshl_b64 s[20:21], s[20:21], 2
	s_add_u32 s20, s37, s20
	v_cmp_ngt_f32_e64 s[6:7], s40, v89
	v_cmp_nlt_f32_e64 s[8:9], s41, v89
	s_addc_u32 s21, s38, s21
	s_waitcnt vmcnt(1)
	ds_write_b128 v76, v[0:3]
	s_waitcnt vmcnt(0)
	ds_write_b128 v77, v[8:11]
	s_waitcnt lgkmcnt(0)
	; wave barrier
	s_waitcnt lgkmcnt(0)
	ds_read2_b64 v[36:39], v74 offset1:20
	ds_read_b128 v[16:19], v72
	ds_read_b128 v[0:3], v72 offset:16
	ds_read2_b64 v[32:35], v74 offset0:40 offset1:60
	ds_read2_b64 v[28:31], v74 offset0:80 offset1:100
	ds_read2_b64 v[24:27], v74 offset0:120 offset1:140
	ds_read2_b64 v[20:23], v74 offset0:160 offset1:180
	ds_read2_b64 v[12:15], v74 offset0:200 offset1:220
	ds_read2_b64 v[8:11], v88 offset0:112 offset1:132
	ds_read2_b64 v[4:7], v87 offset0:24 offset1:44
	s_waitcnt lgkmcnt(0)
	; wave barrier
	s_waitcnt lgkmcnt(0)
	s_and_saveexec_b64 s[28:29], s[4:5]
	s_cbranch_execz .LBB49_19
; %bb.18:                               ;   in Loop: Header=BB49_11 Depth=1
	v_lshl_add_u64 v[90:91], v[58:59], 2, s[20:21]
	v_mov_b32_e32 v65, v43
	v_lshl_add_u64 v[64:65], v[90:91], 0, v[64:65]
	global_load_dwordx4 v[90:93], v[64:65], off offset:128
	s_waitcnt vmcnt(0)
	ds_write_b128 v75, v[90:93]
.LBB49_19:                              ;   in Loop: Header=BB49_11 Depth=1
	s_or_b64 exec, exec, s[28:29]
	v_lshl_add_u64 v[64:65], v[52:53], 2, s[20:21]
	v_lshl_add_u64 v[64:65], v[64:65], 0, v[42:43]
	v_lshl_add_u64 v[90:91], v[54:55], 2, s[20:21]
	v_lshl_add_u64 v[98:99], v[90:91], 0, v[42:43]
	global_load_dwordx4 v[90:93], v[64:65], off
	global_load_dwordx4 v[94:97], v[98:99], off
	v_mul_f32_e32 v64, 0x3fb8aa3b, v89
	v_fma_f32 v65, v89, s39, -v64
	v_rndne_f32_e32 v98, v64
	v_fmac_f32_e32 v65, 0x32a5705f, v89
	v_sub_f32_e32 v64, v64, v98
	v_add_f32_e32 v64, v64, v65
	v_cvt_i32_f32_e32 v89, v98
	v_exp_f32_e32 v64, v64
	v_pk_mul_f16 v36, v36, v16 op_sel_hi:[1,0]
	v_pk_mul_f16 v37, v37, v16 op_sel_hi:[1,0]
	s_waitcnt vmcnt(1)
	ds_write_b128 v76, v[90:93]
	s_waitcnt vmcnt(0)
	ds_write_b128 v77, v[94:97]
	v_ldexp_f32 v64, v64, v89
	v_cndmask_b32_e64 v64, 0, v64, s[6:7]
	v_cndmask_b32_e64 v64, v78, v64, s[8:9]
	v_cvt_f16_f32_e32 v65, v64
	v_fmac_f32_e32 v86, v79, v64
	s_waitcnt lgkmcnt(0)
	; wave barrier
	s_waitcnt lgkmcnt(0)
	v_pk_fma_f16 v36, v67, v65, v36 op_sel_hi:[1,0,1]
	v_pk_fma_f16 v37, v66, v65, v37 op_sel_hi:[1,0,1]
	v_pk_fma_f16 v36, v38, v16, v36 op_sel:[0,1,0]
	v_pk_fma_f16 v16, v39, v16, v37 op_sel:[0,1,0]
	v_pk_fma_f16 v32, v32, v17, v36 op_sel_hi:[1,0,1]
	v_pk_fma_f16 v16, v33, v17, v16 op_sel_hi:[1,0,1]
	v_pk_fma_f16 v32, v34, v17, v32 op_sel:[0,1,0]
	v_pk_fma_f16 v16, v35, v17, v16 op_sel:[0,1,0]
	;; [unrolled: 4-line block ×8, first 2 shown]
	ds_read2_b64 v[8:11], v74 offset1:20
	ds_read_b128 v[12:15], v72 offset:32
	ds_read_b128 v[16:19], v72 offset:48
	ds_read2_b64 v[20:23], v74 offset0:40 offset1:60
	ds_read2_b64 v[24:27], v74 offset0:80 offset1:100
	;; [unrolled: 1-line block ×7, first 2 shown]
	s_waitcnt lgkmcnt(8)
	v_pk_fma_f16 v1, v8, v12, v1 op_sel_hi:[1,0,1]
	v_pk_fma_f16 v0, v9, v12, v0 op_sel_hi:[1,0,1]
	v_pk_fma_f16 v1, v10, v12, v1 op_sel:[0,1,0]
	v_pk_fma_f16 v0, v11, v12, v0 op_sel:[0,1,0]
	s_waitcnt lgkmcnt(6)
	v_pk_fma_f16 v1, v20, v13, v1 op_sel_hi:[1,0,1]
	v_pk_fma_f16 v0, v21, v13, v0 op_sel_hi:[1,0,1]
	v_pk_fma_f16 v1, v22, v13, v1 op_sel:[0,1,0]
	v_pk_fma_f16 v0, v23, v13, v0 op_sel:[0,1,0]
	;; [unrolled: 5-line block ×4, first 2 shown]
	s_waitcnt lgkmcnt(0)
	; wave barrier
	s_waitcnt lgkmcnt(0)
	s_load_dword s6, s[14:15], 0x4
	v_pk_fma_f16 v1, v32, v16, v1 op_sel_hi:[1,0,1]
	v_pk_fma_f16 v0, v33, v16, v0 op_sel_hi:[1,0,1]
	v_pk_fma_f16 v1, v34, v16, v1 op_sel:[0,1,0]
	v_pk_fma_f16 v0, v35, v16, v0 op_sel:[0,1,0]
	v_pk_fma_f16 v1, v36, v17, v1 op_sel_hi:[1,0,1]
	v_pk_fma_f16 v0, v37, v17, v0 op_sel_hi:[1,0,1]
	v_pk_fma_f16 v1, v38, v17, v1 op_sel:[0,1,0]
	v_pk_fma_f16 v0, v39, v17, v0 op_sel:[0,1,0]
	v_pk_fma_f16 v1, v64, v18, v1 op_sel_hi:[1,0,1]
	v_pk_fma_f16 v0, v65, v18, v0 op_sel_hi:[1,0,1]
	s_waitcnt lgkmcnt(0)
	s_lshl_b32 s6, s6, 5
	v_pk_fma_f16 v1, v66, v18, v1 op_sel:[0,1,0]
	v_pk_fma_f16 v0, v67, v18, v0 op_sel:[0,1,0]
	s_add_i32 s30, s6, s30
	v_pk_fma_f16 v1, v88, v19, v1 op_sel_hi:[1,0,1]
	v_pk_fma_f16 v0, v89, v19, v0 op_sel_hi:[1,0,1]
	v_pk_fma_f16 v67, v90, v19, v1 op_sel:[0,1,0]
	s_cmp_lt_i32 s30, s24
	v_pk_fma_f16 v66, v91, v19, v0 op_sel:[0,1,0]
	s_cbranch_scc0 .LBB49_21
; %bb.20:                               ;   in Loop: Header=BB49_11 Depth=1
	v_mov_b32_e32 v6, v62
	v_mov_b32_e32 v79, v86
	s_branch .LBB49_11
.LBB49_21:
	v_cmp_lt_i32_e32 vcc, v81, v80
	s_cmp_eq_u64 s[12:13], 0
	s_cselect_b64 s[4:5], -1, 0
	v_cndmask_b32_e32 v0, v51, v81, vcc
	v_lshlrev_b32_e32 v0, 2, v0
	ds_bpermute_b32 v0, v0, v86
	v_cmp_lt_i32_e32 vcc, v82, v80
	s_cmp_lg_u32 s3, 0
	s_cselect_b64 s[6:7], -1, 0
	v_cndmask_b32_e32 v1, v51, v82, vcc
	v_lshlrev_b32_e32 v1, 2, v1
	s_waitcnt lgkmcnt(0)
	v_add_f32_e32 v0, v86, v0
	ds_bpermute_b32 v1, v1, v0
	v_cmp_lt_i32_e32 vcc, v83, v80
	s_or_b64 s[4:5], s[6:7], s[4:5]
	s_waitcnt lgkmcnt(0)
	v_add_f32_e32 v0, v0, v1
	v_cndmask_b32_e32 v2, v51, v83, vcc
	v_lshlrev_b32_e32 v2, 2, v2
	ds_bpermute_b32 v1, v2, v0
	v_cmp_lt_i32_e32 vcc, v84, v80
	s_waitcnt lgkmcnt(0)
	v_add_f32_e32 v1, v0, v1
	v_cndmask_b32_e32 v2, v51, v84, vcc
	v_lshlrev_b32_e32 v2, 2, v2
	ds_bpermute_b32 v2, v2, v1
	v_cmp_lt_i32_e32 vcc, v85, v80
	v_add_u32_e32 v0, s25, v57
	s_waitcnt lgkmcnt(0)
	v_add_f32_e32 v1, v1, v2
	v_cndmask_b32_e32 v3, v51, v85, vcc
	v_lshlrev_b32_e32 v3, 2, v3
	ds_bpermute_b32 v2, v3, v1
	s_and_b64 vcc, exec, s[4:5]
	s_waitcnt lgkmcnt(0)
	v_add_f32_e32 v63, v1, v2
	s_cbranch_vccnz .LBB49_23
; %bb.22:
	v_ashrrev_i32_e32 v1, 31, v0
	v_lshl_add_u64 v[2:3], v[0:1], 2, s[12:13]
	global_load_dword v1, v[2:3], off
	v_max_f32_e32 v2, v62, v62
	s_mov_b32 s4, 0x3fb8aa3b
	s_mov_b32 s5, 0xc2ce8ed0
	s_waitcnt vmcnt(0)
	v_max_f32_e32 v3, v1, v1
	v_max_f32_e32 v2, v2, v3
	v_sub_f32_e32 v3, v62, v2
	v_sub_f32_e32 v1, v1, v2
	v_mul_f32_e32 v4, 0x3fb8aa3b, v3
	v_mul_f32_e32 v5, 0x3fb8aa3b, v1
	v_fma_f32 v6, v3, s4, -v4
	v_rndne_f32_e32 v7, v4
	v_fma_f32 v8, v1, s4, -v5
	v_rndne_f32_e32 v9, v5
	v_fmac_f32_e32 v6, 0x32a5705f, v3
	v_sub_f32_e32 v4, v4, v7
	v_fmac_f32_e32 v8, 0x32a5705f, v1
	v_sub_f32_e32 v5, v5, v9
	v_add_f32_e32 v4, v4, v6
	v_cvt_i32_f32_e32 v7, v7
	v_add_f32_e32 v5, v5, v8
	v_exp_f32_e32 v4, v4
	v_cvt_i32_f32_e32 v9, v9
	v_exp_f32_e32 v5, v5
	v_cmp_ngt_f32_e32 vcc, s5, v3
	v_ldexp_f32 v4, v4, v7
	s_mov_b32 s4, 0x42b17218
	v_ldexp_f32 v5, v5, v9
	v_cndmask_b32_e32 v4, 0, v4, vcc
	v_cmp_ngt_f32_e32 vcc, s5, v1
	v_mov_b32_e32 v6, 0x7f800000
	s_nop 0
	v_cndmask_b32_e32 v5, 0, v5, vcc
	v_cmp_nlt_f32_e32 vcc, s4, v3
	s_nop 1
	v_cndmask_b32_e32 v4, v6, v4, vcc
	v_cvt_f16_f32_e32 v7, v4
	v_cmp_nlt_f32_e32 vcc, s4, v1
	v_pk_mul_f16 v67, v7, v67 op_sel_hi:[0,1]
	s_nop 0
	v_cndmask_b32_e32 v3, v6, v5, vcc
	v_fmac_f32_e32 v3, v63, v4
	v_pk_mul_f16 v66, v7, v66 op_sel_hi:[0,1]
	v_mov_b64_e32 v[62:63], v[2:3]
	s_branch .LBB49_24
.LBB49_23:
	v_mov_b32_e32 v3, v63
.LBB49_24:
	s_load_dword s6, s[0:1], 0xd4
	s_mul_i32 s4, s33, s22
	s_waitcnt lgkmcnt(0)
	s_cmp_lg_u32 s6, 1
	s_cselect_b64 s[0:1], -1, 0
	s_add_i32 s4, s4, s2
	v_add_u32_e32 v1, s4, v41
	v_mad_u64_u32 v[0:1], s[4:5], v1, s23, v[0:1]
	v_mul_lo_u32 v0, s6, v0
	v_add_u32_e32 v0, s3, v0
	s_and_saveexec_b64 s[2:3], s[10:11]
	s_cbranch_execz .LBB49_26
; %bb.25:
	v_div_scale_f32 v1, s[4:5], v3, v3, 1.0
	v_rcp_f32_e32 v2, v1
	v_cvt_f32_f16_sdwa v9, v67 dst_sel:DWORD dst_unused:UNUSED_PAD src0_sel:WORD_1
	v_cvt_f32_f16_sdwa v11, v66 dst_sel:DWORD dst_unused:UNUSED_PAD src0_sel:WORD_1
	v_cvt_f32_f16_e32 v10, v66
	v_fma_f32 v6, -v1, v2, 1.0
	v_fmac_f32_e32 v2, v6, v2
	v_div_scale_f32 v6, vcc, 1.0, v3, 1.0
	v_mul_f32_e32 v7, v6, v2
	v_fma_f32 v8, -v1, v7, v6
	v_fmac_f32_e32 v7, v8, v2
	v_fma_f32 v1, -v1, v7, v6
	v_div_fmas_f32 v1, v1, v2, v7
	v_cvt_f32_f16_e32 v8, v67
	v_div_fixup_f32 v1, v1, v3, 1.0
	s_movk_i32 s4, 0x50
	v_cndmask_b32_e64 v6, v1, 1.0, s[0:1]
	v_mul_lo_u32 v1, v0, s4
	v_mov_b32_e32 v4, s16
	v_mov_b32_e32 v5, s17
	v_lshl_add_u32 v2, v40, 2, v1
	v_mov_b32_e32 v3, 0
	v_lshl_add_u64 v[12:13], v[2:3], 2, v[4:5]
	v_pk_mul_f32 v[2:3], v[6:7], v[8:9] op_sel_hi:[0,1]
	v_pk_mul_f32 v[4:5], v[6:7], v[10:11] op_sel_hi:[0,1]
	global_store_dwordx4 v[12:13], v[2:5], off
.LBB49_26:
	s_or_b64 exec, exec, s[2:3]
	v_cmp_eq_u32_e32 vcc, 0, v40
	s_and_b64 s[0:1], vcc, s[0:1]
	s_and_saveexec_b64 s[2:3], s[0:1]
	s_cbranch_execz .LBB49_28
; %bb.27:
	v_mov_b32_e32 v2, s18
	v_mov_b32_e32 v3, s19
	v_ashrrev_i32_e32 v1, 31, v0
	v_lshl_add_u64 v[0:1], v[0:1], 3, v[2:3]
	global_store_dwordx2 v[0:1], v[62:63], off
.LBB49_28:
	s_endpgm
	.section	.rodata,"a",@progbits
	.p2align	6, 0x0
	.amdhsa_kernel _ZL15flash_attn_tileILi80ELi80ELi1ELi2ELb0EEvPKcS1_S1_S1_S1_PKiPfP15HIP_vector_typeIfLj2EEffffjfiS5_IjLj3EEiiiiiiiiiiiliiliiiiil
		.amdhsa_group_segment_fixed_size 3712
		.amdhsa_private_segment_fixed_size 0
		.amdhsa_kernarg_size 464
		.amdhsa_user_sgpr_count 2
		.amdhsa_user_sgpr_dispatch_ptr 0
		.amdhsa_user_sgpr_queue_ptr 0
		.amdhsa_user_sgpr_kernarg_segment_ptr 1
		.amdhsa_user_sgpr_dispatch_id 0
		.amdhsa_user_sgpr_kernarg_preload_length 0
		.amdhsa_user_sgpr_kernarg_preload_offset 0
		.amdhsa_user_sgpr_private_segment_size 0
		.amdhsa_uses_dynamic_stack 0
		.amdhsa_enable_private_segment 0
		.amdhsa_system_sgpr_workgroup_id_x 1
		.amdhsa_system_sgpr_workgroup_id_y 1
		.amdhsa_system_sgpr_workgroup_id_z 1
		.amdhsa_system_sgpr_workgroup_info 0
		.amdhsa_system_vgpr_workitem_id 1
		.amdhsa_next_free_vgpr 100
		.amdhsa_next_free_sgpr 44
		.amdhsa_accum_offset 100
		.amdhsa_reserve_vcc 1
		.amdhsa_float_round_mode_32 0
		.amdhsa_float_round_mode_16_64 0
		.amdhsa_float_denorm_mode_32 3
		.amdhsa_float_denorm_mode_16_64 3
		.amdhsa_dx10_clamp 1
		.amdhsa_ieee_mode 1
		.amdhsa_fp16_overflow 0
		.amdhsa_tg_split 0
		.amdhsa_exception_fp_ieee_invalid_op 0
		.amdhsa_exception_fp_denorm_src 0
		.amdhsa_exception_fp_ieee_div_zero 0
		.amdhsa_exception_fp_ieee_overflow 0
		.amdhsa_exception_fp_ieee_underflow 0
		.amdhsa_exception_fp_ieee_inexact 0
		.amdhsa_exception_int_div_zero 0
	.end_amdhsa_kernel
	.section	.text._ZL15flash_attn_tileILi80ELi80ELi1ELi2ELb0EEvPKcS1_S1_S1_S1_PKiPfP15HIP_vector_typeIfLj2EEffffjfiS5_IjLj3EEiiiiiiiiiiiliiliiiiil,"axG",@progbits,_ZL15flash_attn_tileILi80ELi80ELi1ELi2ELb0EEvPKcS1_S1_S1_S1_PKiPfP15HIP_vector_typeIfLj2EEffffjfiS5_IjLj3EEiiiiiiiiiiiliiliiiiil,comdat
.Lfunc_end49:
	.size	_ZL15flash_attn_tileILi80ELi80ELi1ELi2ELb0EEvPKcS1_S1_S1_S1_PKiPfP15HIP_vector_typeIfLj2EEffffjfiS5_IjLj3EEiiiiiiiiiiiliiliiiiil, .Lfunc_end49-_ZL15flash_attn_tileILi80ELi80ELi1ELi2ELb0EEvPKcS1_S1_S1_S1_PKiPfP15HIP_vector_typeIfLj2EEffffjfiS5_IjLj3EEiiiiiiiiiiiliiliiiiil
                                        ; -- End function
	.section	.AMDGPU.csdata,"",@progbits
; Kernel info:
; codeLenInByte = 4724
; NumSgprs: 50
; NumVgprs: 100
; NumAgprs: 0
; TotalNumVgprs: 100
; ScratchSize: 0
; MemoryBound: 0
; FloatMode: 240
; IeeeMode: 1
; LDSByteSize: 3712 bytes/workgroup (compile time only)
; SGPRBlocks: 6
; VGPRBlocks: 12
; NumSGPRsForWavesPerEU: 50
; NumVGPRsForWavesPerEU: 100
; AccumOffset: 100
; Occupancy: 4
; WaveLimiterHint : 1
; COMPUTE_PGM_RSRC2:SCRATCH_EN: 0
; COMPUTE_PGM_RSRC2:USER_SGPR: 2
; COMPUTE_PGM_RSRC2:TRAP_HANDLER: 0
; COMPUTE_PGM_RSRC2:TGID_X_EN: 1
; COMPUTE_PGM_RSRC2:TGID_Y_EN: 1
; COMPUTE_PGM_RSRC2:TGID_Z_EN: 1
; COMPUTE_PGM_RSRC2:TIDIG_COMP_CNT: 1
; COMPUTE_PGM_RSRC3_GFX90A:ACCUM_OFFSET: 24
; COMPUTE_PGM_RSRC3_GFX90A:TG_SPLIT: 0
	.section	.text._ZL33flash_attn_stream_k_fixup_uniformILi80ELi1ELi2EEvPfPK15HIP_vector_typeIfLj2EEiiiiiiS1_IjLj3EES5_S5_,"axG",@progbits,_ZL33flash_attn_stream_k_fixup_uniformILi80ELi1ELi2EEvPfPK15HIP_vector_typeIfLj2EEiiiiiiS1_IjLj3EES5_S5_,comdat
	.globl	_ZL33flash_attn_stream_k_fixup_uniformILi80ELi1ELi2EEvPfPK15HIP_vector_typeIfLj2EEiiiiiiS1_IjLj3EES5_S5_ ; -- Begin function _ZL33flash_attn_stream_k_fixup_uniformILi80ELi1ELi2EEvPfPK15HIP_vector_typeIfLj2EEiiiiiiS1_IjLj3EES5_S5_
	.p2align	8
	.type	_ZL33flash_attn_stream_k_fixup_uniformILi80ELi1ELi2EEvPfPK15HIP_vector_typeIfLj2EEiiiiiiS1_IjLj3EES5_S5_,@function
_ZL33flash_attn_stream_k_fixup_uniformILi80ELi1ELi2EEvPfPK15HIP_vector_typeIfLj2EEiiiiiiS1_IjLj3EES5_S5_: ; @_ZL33flash_attn_stream_k_fixup_uniformILi80ELi1ELi2EEvPfPK15HIP_vector_typeIfLj2EEiiiiiiS1_IjLj3EES5_S5_
; %bb.0:
	s_load_dwordx8 s[8:15], s[0:1], 0x1c
	s_load_dwordx2 s[6:7], s[0:1], 0x10
	s_load_dwordx4 s[16:19], s[0:1], 0x3c
	s_waitcnt lgkmcnt(0)
	s_mul_hi_u32 s5, s11, s2
	s_add_i32 s5, s2, s5
	s_lshr_b32 s5, s5, s12
	s_mul_i32 s11, s5, s13
	s_sub_i32 s12, s2, s11
	s_mul_hi_u32 s11, s12, s14
	s_add_i32 s11, s12, s11
	s_lshr_b32 s11, s11, s15
	s_mul_i32 s13, s11, s16
	s_sub_i32 s12, s12, s13
	;; [unrolled: 5-line block ×3, first 2 shown]
	s_lshl_b32 s16, s13, 1
	s_add_i32 s17, s17, s3
	s_cmp_lt_i32 s17, s6
	s_cselect_b64 s[12:13], -1, 0
	s_add_i32 s16, s16, s4
	s_cmp_lt_i32 s16, s9
	s_cselect_b64 s[14:15], -1, 0
	s_and_b64 s[12:13], s[12:13], s[14:15]
	s_andn2_b64 vcc, exec, s[12:13]
	s_cbranch_vccnz .LBB50_6
; %bb.1:
	s_mul_i32 s5, s5, s6
	s_load_dwordx4 s[12:15], s[0:1], 0x0
	s_mul_i32 s11, s11, s9
	s_add_i32 s0, s17, s5
	s_mul_i32 s0, s0, s7
	s_add_i32 s1, s16, s11
	s_add_i32 s0, s1, s0
	s_mulk_i32 s0, 0x50
	v_add_u32_e32 v4, s0, v0
	s_waitcnt lgkmcnt(0)
	v_mov_b32_e32 v2, s12
	v_mov_b32_e32 v3, s13
	v_ashrrev_i32_e32 v5, 31, v4
	v_lshl_add_u64 v[2:3], v[4:5], 2, v[2:3]
	global_load_dword v7, v[2:3], off
	s_mul_i32 s5, s2, s10
	s_add_i32 s11, s5, s10
	s_add_i32 s0, s3, s11
	s_lshl_b32 s0, s0, 1
	s_add_i32 s0, s0, s4
	s_add_i32 s0, s0, -2
	s_ashr_i32 s1, s0, 31
	s_lshl_b64 s[0:1], s[0:1], 3
	s_add_u32 s0, s14, s0
	s_addc_u32 s1, s15, s1
	s_load_dword s12, s[0:1], 0x4
	s_add_i32 s6, s11, -2
	s_cmp_lt_i32 s6, s5
	s_cbranch_scc1 .LBB50_4
; %bb.2:
	s_lshl_b32 s6, s8, 3
	s_ashr_i32 s7, s6, 31
	s_lshl_b64 s[6:7], s[6:7], 2
	s_add_u32 s6, s14, s6
	s_addc_u32 s7, s15, s7
	s_add_i32 s2, s2, 1
	s_load_dword s0, s[0:1], 0x0
	s_mul_i32 s1, s10, s2
	s_mul_i32 s2, s3, 0xa0
	;; [unrolled: 1-line block ×3, first 2 shown]
	s_mulk_i32 s1, 0xa0
	s_add_i32 s2, s10, s2
	s_add_i32 s2, s2, s1
	;; [unrolled: 1-line block ×4, first 2 shown]
	s_lshl_b32 s1, s1, 1
	v_add_u32_e32 v0, s2, v0
	s_add_i32 s1, s4, s1
	s_add_i32 s9, s11, -1
	v_add_u32_e32 v0, 0xfffffec0, v0
	s_add_i32 s2, s1, -4
	s_waitcnt lgkmcnt(0)
	v_mov_b32_e32 v6, s12
	v_mov_b32_e32 v5, s0
	s_mov_b32 s4, 0x3fb8aa3b
	s_mov_b32 s8, 0xc2ce8ed0
	;; [unrolled: 1-line block ×3, first 2 shown]
	v_mov_b32_e32 v4, 0x7f800000
	s_mov_b32 s11, 0xc1a00000
.LBB50_3:                               ; =>This Inner Loop Header: Depth=1
	v_ashrrev_i32_e32 v1, 31, v0
	v_lshl_add_u64 v[8:9], v[0:1], 2, s[6:7]
	global_load_dword v1, v[8:9], off
	s_ashr_i32 s3, s2, 31
	s_lshl_b64 s[0:1], s[2:3], 3
	s_add_u32 s0, s14, s0
	s_addc_u32 s1, s15, s1
	s_load_dwordx2 s[12:13], s[0:1], 0x0
	s_waitcnt vmcnt(1)
	v_mov_b32_e32 v8, v7
	v_max_f32_e32 v7, v5, v5
	v_mov_b32_e32 v9, v6
	s_add_i32 s9, s9, -1
	s_waitcnt lgkmcnt(0)
	v_max_f32_e64 v6, s12, s12
	v_max_f32_e32 v6, v7, v6
	v_sub_f32_e32 v10, s12, v6
	v_sub_f32_e32 v7, v5, v6
	v_mul_f32_e32 v11, 0x3fb8aa3b, v10
	v_mov_b32_e32 v5, v6
	v_mul_f32_e32 v6, 0x3fb8aa3b, v7
	v_fma_f32 v14, v10, s4, -v11
	v_rndne_f32_e32 v15, v11
	v_fma_f32 v12, v7, s4, -v6
	v_rndne_f32_e32 v13, v6
	v_fmac_f32_e32 v14, 0x32a5705f, v10
	v_sub_f32_e32 v11, v11, v15
	v_fmac_f32_e32 v12, 0x32a5705f, v7
	v_sub_f32_e32 v6, v6, v13
	v_add_f32_e32 v11, v11, v14
	v_cvt_i32_f32_e32 v15, v15
	v_add_f32_e32 v6, v6, v12
	v_exp_f32_e32 v11, v11
	v_cvt_i32_f32_e32 v13, v13
	v_exp_f32_e32 v6, v6
	v_cmp_ngt_f32_e32 vcc, s8, v10
	v_ldexp_f32 v11, v11, v15
	v_cmp_ngt_f32_e64 s[0:1], s8, v7
	v_ldexp_f32 v6, v6, v13
	v_cndmask_b32_e32 v11, 0, v11, vcc
	v_cmp_nlt_f32_e32 vcc, s10, v10
	v_cndmask_b32_e64 v6, 0, v6, s[0:1]
	v_cmp_nlt_f32_e64 s[0:1], s10, v7
	v_cndmask_b32_e32 v11, v4, v11, vcc
	v_cmp_le_f32_e32 vcc, s11, v10
	v_cndmask_b32_e64 v6, v4, v6, s[0:1]
	v_cmp_le_f32_e64 s[0:1], s11, v7
	v_cndmask_b32_e32 v7, 0, v11, vcc
	s_add_i32 s2, s2, -2
	v_cndmask_b32_e64 v10, 0, v6, s[0:1]
	v_mul_f32_e32 v6, s13, v7
	v_add_u32_e32 v0, 0xffffff60, v0
	s_cmp_le_i32 s9, s5
	v_fmac_f32_e32 v6, v9, v10
	s_waitcnt vmcnt(0)
	v_mul_f32_e32 v7, v1, v7
	v_fmac_f32_e32 v7, v8, v10
	s_cbranch_scc0 .LBB50_3
	s_branch .LBB50_5
.LBB50_4:
	s_waitcnt lgkmcnt(0)
	v_mov_b32_e32 v6, s12
.LBB50_5:
	s_waitcnt vmcnt(0)
	v_div_scale_f32 v0, s[0:1], v6, v6, v7
	v_rcp_f32_e32 v1, v0
	v_div_scale_f32 v4, vcc, v7, v6, v7
	v_fma_f32 v5, -v0, v1, 1.0
	v_fmac_f32_e32 v1, v5, v1
	v_mul_f32_e32 v5, v4, v1
	v_fma_f32 v8, -v0, v5, v4
	v_fmac_f32_e32 v5, v8, v1
	v_fma_f32 v0, -v0, v5, v4
	v_div_fmas_f32 v0, v0, v1, v5
	v_div_fixup_f32 v0, v0, v6, v7
	global_store_dword v[2:3], v0, off
.LBB50_6:
	s_endpgm
	.section	.rodata,"a",@progbits
	.p2align	6, 0x0
	.amdhsa_kernel _ZL33flash_attn_stream_k_fixup_uniformILi80ELi1ELi2EEvPfPK15HIP_vector_typeIfLj2EEiiiiiiS1_IjLj3EES5_S5_
		.amdhsa_group_segment_fixed_size 0
		.amdhsa_private_segment_fixed_size 0
		.amdhsa_kernarg_size 76
		.amdhsa_user_sgpr_count 2
		.amdhsa_user_sgpr_dispatch_ptr 0
		.amdhsa_user_sgpr_queue_ptr 0
		.amdhsa_user_sgpr_kernarg_segment_ptr 1
		.amdhsa_user_sgpr_dispatch_id 0
		.amdhsa_user_sgpr_kernarg_preload_length 0
		.amdhsa_user_sgpr_kernarg_preload_offset 0
		.amdhsa_user_sgpr_private_segment_size 0
		.amdhsa_uses_dynamic_stack 0
		.amdhsa_enable_private_segment 0
		.amdhsa_system_sgpr_workgroup_id_x 1
		.amdhsa_system_sgpr_workgroup_id_y 1
		.amdhsa_system_sgpr_workgroup_id_z 1
		.amdhsa_system_sgpr_workgroup_info 0
		.amdhsa_system_vgpr_workitem_id 0
		.amdhsa_next_free_vgpr 16
		.amdhsa_next_free_sgpr 20
		.amdhsa_accum_offset 16
		.amdhsa_reserve_vcc 1
		.amdhsa_float_round_mode_32 0
		.amdhsa_float_round_mode_16_64 0
		.amdhsa_float_denorm_mode_32 3
		.amdhsa_float_denorm_mode_16_64 3
		.amdhsa_dx10_clamp 1
		.amdhsa_ieee_mode 1
		.amdhsa_fp16_overflow 0
		.amdhsa_tg_split 0
		.amdhsa_exception_fp_ieee_invalid_op 0
		.amdhsa_exception_fp_denorm_src 0
		.amdhsa_exception_fp_ieee_div_zero 0
		.amdhsa_exception_fp_ieee_overflow 0
		.amdhsa_exception_fp_ieee_underflow 0
		.amdhsa_exception_fp_ieee_inexact 0
		.amdhsa_exception_int_div_zero 0
	.end_amdhsa_kernel
	.section	.text._ZL33flash_attn_stream_k_fixup_uniformILi80ELi1ELi2EEvPfPK15HIP_vector_typeIfLj2EEiiiiiiS1_IjLj3EES5_S5_,"axG",@progbits,_ZL33flash_attn_stream_k_fixup_uniformILi80ELi1ELi2EEvPfPK15HIP_vector_typeIfLj2EEiiiiiiS1_IjLj3EES5_S5_,comdat
.Lfunc_end50:
	.size	_ZL33flash_attn_stream_k_fixup_uniformILi80ELi1ELi2EEvPfPK15HIP_vector_typeIfLj2EEiiiiiiS1_IjLj3EES5_S5_, .Lfunc_end50-_ZL33flash_attn_stream_k_fixup_uniformILi80ELi1ELi2EEvPfPK15HIP_vector_typeIfLj2EEiiiiiiS1_IjLj3EES5_S5_
                                        ; -- End function
	.section	.AMDGPU.csdata,"",@progbits
; Kernel info:
; codeLenInByte = 820
; NumSgprs: 26
; NumVgprs: 16
; NumAgprs: 0
; TotalNumVgprs: 16
; ScratchSize: 0
; MemoryBound: 0
; FloatMode: 240
; IeeeMode: 1
; LDSByteSize: 0 bytes/workgroup (compile time only)
; SGPRBlocks: 3
; VGPRBlocks: 1
; NumSGPRsForWavesPerEU: 26
; NumVGPRsForWavesPerEU: 16
; AccumOffset: 16
; Occupancy: 8
; WaveLimiterHint : 0
; COMPUTE_PGM_RSRC2:SCRATCH_EN: 0
; COMPUTE_PGM_RSRC2:USER_SGPR: 2
; COMPUTE_PGM_RSRC2:TRAP_HANDLER: 0
; COMPUTE_PGM_RSRC2:TGID_X_EN: 1
; COMPUTE_PGM_RSRC2:TGID_Y_EN: 1
; COMPUTE_PGM_RSRC2:TGID_Z_EN: 1
; COMPUTE_PGM_RSRC2:TIDIG_COMP_CNT: 0
; COMPUTE_PGM_RSRC3_GFX90A:ACCUM_OFFSET: 3
; COMPUTE_PGM_RSRC3_GFX90A:TG_SPLIT: 0
	.section	.text._ZL33flash_attn_stream_k_fixup_generalILi80ELi1ELi2EEvPfPK15HIP_vector_typeIfLj2EEiiiiS1_IjLj3EES5_S5_S5_,"axG",@progbits,_ZL33flash_attn_stream_k_fixup_generalILi80ELi1ELi2EEvPfPK15HIP_vector_typeIfLj2EEiiiiS1_IjLj3EES5_S5_S5_,comdat
	.globl	_ZL33flash_attn_stream_k_fixup_generalILi80ELi1ELi2EEvPfPK15HIP_vector_typeIfLj2EEiiiiS1_IjLj3EES5_S5_S5_ ; -- Begin function _ZL33flash_attn_stream_k_fixup_generalILi80ELi1ELi2EEvPfPK15HIP_vector_typeIfLj2EEiiiiS1_IjLj3EES5_S5_S5_
	.p2align	8
	.type	_ZL33flash_attn_stream_k_fixup_generalILi80ELi1ELi2EEvPfPK15HIP_vector_typeIfLj2EEiiiiS1_IjLj3EES5_S5_S5_,@function
_ZL33flash_attn_stream_k_fixup_generalILi80ELi1ELi2EEvPfPK15HIP_vector_typeIfLj2EEiiiiS1_IjLj3EES5_S5_S5_: ; @_ZL33flash_attn_stream_k_fixup_generalILi80ELi1ELi2EEvPfPK15HIP_vector_typeIfLj2EEiiiiS1_IjLj3EES5_S5_S5_
; %bb.0:
	s_load_dwordx4 s[12:15], s[0:1], 0x10
	s_load_dword s5, s[0:1], 0x50
	s_mov_b32 s8, 0
	s_waitcnt lgkmcnt(0)
	s_mul_hi_i32 s9, s15, s2
	s_cmp_lg_u64 s[8:9], 0
	s_mul_i32 s8, s15, s2
	s_cbranch_scc0 .LBB51_21
; %bb.1:
	v_cvt_f32_u32_e32 v1, s5
	v_cvt_f32_ubyte0_e32 v2, 0
	s_sub_u32 s10, 0, s5
	s_subb_u32 s11, 0, 0
	v_fmamk_f32 v1, v2, 0x4f800000, v1
	v_rcp_f32_e32 v1, v1
	s_nop 0
	v_mul_f32_e32 v1, 0x5f7ffffc, v1
	v_mul_f32_e32 v2, 0x2f800000, v1
	v_trunc_f32_e32 v2, v2
	v_fmamk_f32 v1, v2, 0xcf800000, v1
	v_cvt_u32_f32_e32 v2, v2
	v_cvt_u32_f32_e32 v1, v1
	v_readfirstlane_b32 s16, v2
	v_readfirstlane_b32 s17, v1
	s_mul_i32 s18, s10, s16
	s_mul_hi_u32 s20, s10, s17
	s_mul_i32 s19, s11, s17
	s_add_i32 s18, s20, s18
	s_add_i32 s18, s18, s19
	s_mul_i32 s21, s10, s17
	s_mul_hi_u32 s19, s17, s18
	s_mul_i32 s20, s17, s18
	s_mul_hi_u32 s17, s17, s21
	s_add_u32 s17, s17, s20
	s_addc_u32 s19, 0, s19
	s_mul_hi_u32 s22, s16, s21
	s_mul_i32 s21, s16, s21
	s_add_u32 s17, s17, s21
	s_mul_hi_u32 s20, s16, s18
	s_addc_u32 s17, s19, s22
	s_addc_u32 s19, s20, 0
	s_mul_i32 s18, s16, s18
	s_add_u32 s17, s17, s18
	s_addc_u32 s18, 0, s19
	v_add_co_u32_e32 v1, vcc, s17, v1
	s_cmp_lg_u64 vcc, 0
	s_addc_u32 s16, s16, s18
	v_readfirstlane_b32 s18, v1
	s_mul_i32 s17, s10, s16
	s_mul_hi_u32 s19, s10, s18
	s_add_i32 s17, s19, s17
	s_mul_i32 s11, s11, s18
	s_add_i32 s17, s17, s11
	s_mul_i32 s10, s10, s18
	s_mul_hi_u32 s19, s16, s10
	s_mul_i32 s20, s16, s10
	s_mul_i32 s22, s18, s17
	s_mul_hi_u32 s10, s18, s10
	s_mul_hi_u32 s21, s18, s17
	s_add_u32 s10, s10, s22
	s_addc_u32 s18, 0, s21
	s_add_u32 s10, s10, s20
	s_mul_hi_u32 s11, s16, s17
	s_addc_u32 s10, s18, s19
	s_addc_u32 s11, s11, 0
	s_mul_i32 s17, s16, s17
	s_add_u32 s10, s10, s17
	s_addc_u32 s11, 0, s11
	v_add_co_u32_e32 v1, vcc, s10, v1
	s_cmp_lg_u64 vcc, 0
	s_addc_u32 s18, s16, s11
	s_ashr_i32 s10, s9, 31
	s_add_u32 s16, s8, s10
	s_mov_b32 s11, s10
	s_addc_u32 s17, s9, s10
	s_xor_b64 s[16:17], s[16:17], s[10:11]
	v_readfirstlane_b32 s20, v1
	s_mul_i32 s19, s16, s18
	s_mul_hi_u32 s21, s16, s20
	s_mul_hi_u32 s9, s16, s18
	s_add_u32 s19, s21, s19
	s_addc_u32 s9, 0, s9
	s_mul_hi_u32 s22, s17, s20
	s_mul_i32 s20, s17, s20
	s_add_u32 s19, s19, s20
	s_mul_hi_u32 s21, s17, s18
	s_addc_u32 s9, s9, s22
	s_addc_u32 s19, s21, 0
	s_mul_i32 s18, s17, s18
	s_add_u32 s9, s9, s18
	s_addc_u32 s18, 0, s19
	s_add_u32 s19, s9, 1
	s_addc_u32 s20, s18, 0
	s_add_u32 s21, s9, 2
	s_mul_i32 s23, s5, s18
	s_mul_hi_u32 s24, s5, s9
	s_addc_u32 s22, s18, 0
	s_add_i32 s24, s24, s23
	s_mul_i32 s23, s5, s9
	v_mov_b32_e32 v1, s23
	v_sub_co_u32_e32 v1, vcc, s16, v1
	s_cmp_lg_u64 vcc, 0
	s_subb_u32 s16, s17, s24
	v_subrev_co_u32_e32 v2, vcc, s5, v1
	s_cmp_lg_u64 vcc, 0
	s_subb_u32 s17, s16, 0
	v_readfirstlane_b32 s23, v2
	s_cmp_ge_u32 s23, s5
	s_cselect_b32 s23, -1, 0
	s_cmp_eq_u32 s17, 0
	s_cselect_b32 s17, s23, -1
	s_cmp_lg_u32 s17, 0
	s_cselect_b32 s17, s22, s20
	v_readfirstlane_b32 s20, v1
	s_cselect_b32 s19, s21, s19
	s_cmp_ge_u32 s20, s5
	s_cselect_b32 s20, -1, 0
	s_cmp_eq_u32 s16, 0
	s_cselect_b32 s16, s20, -1
	s_cmp_lg_u32 s16, 0
	s_cselect_b32 s17, s17, s18
	s_cselect_b32 s16, s19, s9
	s_xor_b64 s[16:17], s[16:17], s[10:11]
	s_sub_u32 s20, s16, s10
	s_load_dwordx4 s[16:19], s[0:1], 0x44
	s_cbranch_execnz .LBB51_3
.LBB51_2:
	v_cvt_f32_u32_e32 v1, s5
	s_sub_i32 s6, 0, s5
	v_rcp_iflag_f32_e32 v1, v1
	s_nop 0
	v_mul_f32_e32 v1, 0x4f7ffffe, v1
	v_cvt_u32_f32_e32 v1, v1
	s_nop 0
	v_readfirstlane_b32 s7, v1
	s_mul_i32 s6, s6, s7
	s_mul_hi_u32 s6, s7, s6
	s_add_i32 s7, s7, s6
	s_mul_hi_u32 s6, s8, s7
	s_mul_i32 s9, s6, s5
	s_sub_i32 s8, s8, s9
	s_add_i32 s7, s6, 1
	s_sub_i32 s9, s8, s5
	s_cmp_ge_u32 s8, s5
	s_cselect_b32 s6, s7, s6
	s_cselect_b32 s8, s9, s8
	s_add_i32 s7, s6, 1
	s_cmp_ge_u32 s8, s5
	s_cselect_b32 s20, s7, s6
.LBB51_3:
	s_add_i32 s6, s2, 1
	s_mul_hi_i32 s9, s15, s6
	s_mov_b32 s8, 0
	s_cmp_lg_u64 s[8:9], 0
	s_mul_i32 s8, s15, s6
	s_cbranch_scc0 .LBB51_22
; %bb.4:
	v_cvt_f32_u32_e32 v1, s5
	v_cvt_f32_ubyte0_e32 v2, 0
	s_sub_u32 s10, 0, s5
	s_subb_u32 s11, 0, 0
	v_fmamk_f32 v1, v2, 0x4f800000, v1
	v_rcp_f32_e32 v1, v1
	s_nop 0
	v_mul_f32_e32 v1, 0x5f7ffffc, v1
	v_mul_f32_e32 v2, 0x2f800000, v1
	v_trunc_f32_e32 v2, v2
	v_fmamk_f32 v1, v2, 0xcf800000, v1
	v_cvt_u32_f32_e32 v2, v2
	v_cvt_u32_f32_e32 v1, v1
	s_waitcnt lgkmcnt(0)
	v_readfirstlane_b32 s19, v2
	v_readfirstlane_b32 s21, v1
	s_mul_i32 s22, s10, s19
	s_mul_hi_u32 s24, s10, s21
	s_mul_i32 s23, s11, s21
	s_add_i32 s22, s24, s22
	s_add_i32 s22, s22, s23
	s_mul_i32 s25, s10, s21
	s_mul_hi_u32 s23, s21, s22
	s_mul_i32 s24, s21, s22
	s_mul_hi_u32 s21, s21, s25
	s_add_u32 s21, s21, s24
	s_addc_u32 s23, 0, s23
	s_mul_hi_u32 s26, s19, s25
	s_mul_i32 s25, s19, s25
	s_add_u32 s21, s21, s25
	s_mul_hi_u32 s24, s19, s22
	s_addc_u32 s21, s23, s26
	s_addc_u32 s23, s24, 0
	s_mul_i32 s22, s19, s22
	s_add_u32 s21, s21, s22
	s_addc_u32 s22, 0, s23
	v_add_co_u32_e32 v1, vcc, s21, v1
	s_cmp_lg_u64 vcc, 0
	s_addc_u32 s19, s19, s22
	v_readfirstlane_b32 s22, v1
	s_mul_i32 s21, s10, s19
	s_mul_hi_u32 s23, s10, s22
	s_add_i32 s21, s23, s21
	s_mul_i32 s11, s11, s22
	s_add_i32 s21, s21, s11
	s_mul_i32 s10, s10, s22
	s_mul_hi_u32 s23, s19, s10
	s_mul_i32 s24, s19, s10
	s_mul_i32 s26, s22, s21
	s_mul_hi_u32 s10, s22, s10
	s_mul_hi_u32 s25, s22, s21
	s_add_u32 s10, s10, s26
	s_addc_u32 s22, 0, s25
	s_add_u32 s10, s10, s24
	s_mul_hi_u32 s11, s19, s21
	s_addc_u32 s10, s22, s23
	s_addc_u32 s11, s11, 0
	s_mul_i32 s21, s19, s21
	s_add_u32 s10, s10, s21
	s_addc_u32 s11, 0, s11
	v_add_co_u32_e32 v1, vcc, s10, v1
	s_cmp_lg_u64 vcc, 0
	s_addc_u32 s19, s19, s11
	s_ashr_i32 s10, s9, 31
	s_add_u32 s22, s8, s10
	s_mov_b32 s11, s10
	s_addc_u32 s23, s9, s10
	s_xor_b64 s[22:23], s[22:23], s[10:11]
	v_readfirstlane_b32 s21, v1
	s_mul_i32 s11, s22, s19
	s_mul_hi_u32 s24, s22, s21
	s_mul_hi_u32 s9, s22, s19
	s_add_u32 s11, s24, s11
	s_addc_u32 s9, 0, s9
	s_mul_hi_u32 s25, s23, s21
	s_mul_i32 s21, s23, s21
	s_add_u32 s11, s11, s21
	s_mul_hi_u32 s24, s23, s19
	s_addc_u32 s9, s9, s25
	s_addc_u32 s11, s24, 0
	s_mul_i32 s19, s23, s19
	s_add_u32 s9, s9, s19
	s_addc_u32 s11, 0, s11
	s_mul_i32 s11, s5, s11
	s_mul_hi_u32 s24, s5, s9
	s_add_i32 s24, s24, s11
	s_mul_i32 s11, s5, s9
	v_mov_b32_e32 v1, s11
	s_add_u32 s19, s9, 1
	s_add_u32 s21, s9, 2
	v_sub_co_u32_e32 v1, vcc, s22, v1
	s_cmp_lg_u64 vcc, 0
	s_subb_u32 s11, s23, s24
	v_subrev_co_u32_e32 v2, vcc, s5, v1
	s_cmp_lg_u64 vcc, 0
	s_subb_u32 s22, s11, 0
	v_cmp_le_u32_e32 vcc, s5, v2
	s_cmp_eq_u32 s22, 0
	v_mov_b32_e32 v3, s19
	v_cndmask_b32_e64 v2, 0, -1, vcc
	s_cselect_b64 vcc, -1, 0
	v_cndmask_b32_e32 v2, -1, v2, vcc
	v_mov_b32_e32 v4, s21
	v_cmp_ne_u32_e32 vcc, 0, v2
	s_cmp_eq_u32 s11, 0
	s_nop 0
	v_cndmask_b32_e32 v2, v3, v4, vcc
	v_cmp_le_u32_e32 vcc, s5, v1
	v_mov_b32_e32 v3, s9
	s_nop 0
	v_cndmask_b32_e64 v1, 0, -1, vcc
	s_cselect_b64 vcc, -1, 0
	v_cndmask_b32_e32 v1, -1, v1, vcc
	v_cmp_ne_u32_e32 vcc, 0, v1
	s_nop 1
	v_cndmask_b32_e32 v1, v3, v2, vcc
	v_xor_b32_e32 v1, s10, v1
	v_subrev_co_u32_e32 v2, vcc, s10, v1
	s_cbranch_execnz .LBB51_6
.LBB51_5:
	v_cvt_f32_u32_e32 v1, s5
	s_sub_i32 s6, 0, s5
	s_mov_b32 s7, 0
	v_rcp_iflag_f32_e32 v1, v1
	s_nop 0
	v_mul_f32_e32 v1, 0x4f7ffffe, v1
	v_cvt_u32_f32_e32 v1, v1
	s_nop 0
	v_readfirstlane_b32 s9, v1
	s_mul_i32 s6, s6, s9
	s_mul_hi_u32 s6, s9, s6
	s_add_i32 s9, s9, s6
	s_mul_hi_u32 s6, s8, s9
	s_mul_i32 s10, s6, s5
	s_sub_i32 s8, s8, s10
	s_add_i32 s9, s6, 1
	s_sub_i32 s10, s8, s5
	s_cmp_ge_u32 s8, s5
	s_cselect_b32 s6, s9, s6
	s_cselect_b32 s8, s10, s8
	s_add_i32 s9, s6, 1
	s_cmp_ge_u32 s8, s5
	s_cselect_b32 s6, s9, s6
	v_mov_b64_e32 v[2:3], s[6:7]
.LBB51_6:
	s_waitcnt lgkmcnt(0)
	s_mul_hi_u32 s6, s20, s16
	s_add_i32 s6, s6, s20
	v_mul_hi_u32 v1, v2, s16
	s_lshr_b32 s19, s6, s17
	v_add_u32_e32 v1, v1, v2
	s_mul_i32 s6, s19, s18
	v_lshrrev_b32_e32 v1, s17, v1
	s_cmp_eq_u32 s6, s20
	v_cmp_eq_u32_e64 s[6:7], s19, v1
	v_mul_lo_u32 v1, v1, s18
	v_cmp_eq_u32_e32 vcc, s20, v2
	s_cselect_b64 s[10:11], -1, 0
	v_cmp_ne_u32_e64 s[8:9], v1, v2
	s_and_b64 s[6:7], s[6:7], s[8:9]
	s_or_b64 s[8:9], vcc, s[10:11]
	s_or_b64 s[6:7], s[8:9], s[6:7]
	s_and_b64 vcc, exec, s[6:7]
	s_cbranch_vccnz .LBB51_24
; %bb.7:
	s_load_dwordx8 s[24:31], s[0:1], 0x20
	s_load_dword s6, s[0:1], 0x40
	s_waitcnt lgkmcnt(0)
	s_mul_hi_u32 s7, s20, s24
	s_add_i32 s7, s7, s20
	s_lshr_b32 s7, s7, s25
	s_mul_i32 s8, s7, s26
	s_sub_i32 s8, s20, s8
	s_mul_hi_u32 s9, s8, s27
	s_add_i32 s9, s8, s9
	s_lshr_b32 s21, s9, s28
	s_mul_i32 s9, s21, s29
	s_sub_i32 s8, s8, s9
	;; [unrolled: 5-line block ×3, first 2 shown]
	s_mul_hi_u32 s8, s6, s16
	s_add_i32 s6, s6, s8
	s_lshr_b32 s22, s6, s17
	s_lshl_b32 s23, s9, 1
	s_add_i32 s22, s22, s3
	s_cmp_lt_i32 s22, s12
	s_cselect_b64 s[8:9], -1, 0
	s_add_i32 s23, s23, s4
	s_cmp_lt_i32 s23, s14
	s_cselect_b64 s[10:11], -1, 0
	s_and_b64 s[8:9], s[8:9], s[10:11]
	s_andn2_b64 vcc, exec, s[8:9]
	s_mov_b32 s6, 0
	s_cbranch_vccnz .LBB51_24
; %bb.8:
	s_load_dwordx4 s[8:11], s[0:1], 0x0
	s_lshl_b32 s1, s3, 1
	s_lshl_b32 s0, s5, 3
	s_add_i32 s24, s1, s4
	s_mov_b32 s1, s6
	s_lshl_b64 s[0:1], s[0:1], 2
	s_waitcnt lgkmcnt(0)
	v_mov_b32_e32 v2, s8
	s_add_u32 s8, s10, s0
	s_mul_i32 s7, s7, s12
	v_mov_b32_e32 v3, s9
	s_addc_u32 s9, s11, s1
	s_mul_i32 s21, s21, s14
	s_add_i32 s0, s22, s7
	s_mul_i32 s0, s0, s13
	s_add_i32 s1, s23, s21
	s_add_i32 s0, s1, s0
	s_mulk_i32 s0, 0x50
	v_add_u32_e32 v4, s0, v0
	v_ashrrev_i32_e32 v5, 31, v4
	v_lshl_add_u64 v[2:3], v[4:5], 2, v[2:3]
	global_load_dword v5, v[2:3], off
	s_mulk_i32 s24, 0x50
	v_add_u32_e32 v4, s24, v0
	v_cvt_f32_u32_e32 v0, s5
	v_cvt_f32_ubyte0_e32 v1, 0
	s_add_i32 s0, s3, s2
	s_lshl_b32 s0, s0, 1
	v_fmamk_f32 v0, v1, 0x4f800000, v0
	v_rcp_f32_e32 v0, v0
	v_cvt_f32_u32_e32 v1, s5
	s_add_i32 s0, s0, s4
	s_ashr_i32 s1, s0, 31
	s_lshl_b64 s[0:1], s[0:1], 3
	v_mul_f32_e32 v0, 0x5f7ffffc, v0
	v_rcp_iflag_f32_e32 v1, v1
	s_add_u32 s0, s10, s0
	v_mul_f32_e32 v6, 0x2f800000, v0
	s_addc_u32 s1, s11, s1
	v_trunc_f32_e32 v7, v6
	s_load_dwordx2 s[0:1], s[0:1], 0x0
	v_fmamk_f32 v0, v7, 0xcf800000, v0
	v_cvt_u32_f32_e32 v6, v0
	v_mul_f32_e32 v0, 0x4f7ffffe, v1
	v_cvt_u32_f32_e32 v7, v7
	v_cvt_u32_f32_e32 v9, v0
	s_add_i32 s13, s2, -1
	s_add_i32 s12, s5, s3
	s_waitcnt lgkmcnt(0)
	v_mov_b32_e32 v8, s1
	v_mov_b32_e32 v10, s0
	;; [unrolled: 1-line block ×3, first 2 shown]
	s_mov_b32 s14, 0x3fb8aa3b
	s_mov_b32 s20, 0xc2ce8ed0
	;; [unrolled: 1-line block ×4, first 2 shown]
	v_mov_b32_e32 v12, 0x7f800000
	s_mul_hi_i32 s7, s13, s15
	s_cmp_lg_u64 s[6:7], 0
	s_mul_i32 s2, s13, s15
	s_cbranch_scc0 .LBB51_15
.LBB51_9:
	s_sub_u32 s0, 0, s5
	v_readfirstlane_b32 s3, v6
	v_readfirstlane_b32 s25, v7
	s_subb_u32 s1, 0, 0
	s_mul_hi_u32 s24, s0, s3
	s_mul_i32 s26, s0, s25
	s_mul_i32 s23, s1, s3
	s_add_i32 s24, s24, s26
	s_add_i32 s24, s24, s23
	s_mul_i32 s27, s0, s3
	s_mul_hi_u32 s23, s3, s24
	s_mul_i32 s26, s3, s24
	s_mul_hi_u32 s3, s3, s27
	s_add_u32 s3, s3, s26
	s_addc_u32 s23, 0, s23
	s_mul_hi_u32 s28, s25, s27
	s_mul_i32 s27, s25, s27
	s_add_u32 s3, s3, s27
	s_mul_hi_u32 s26, s25, s24
	s_addc_u32 s3, s23, s28
	s_addc_u32 s23, s26, 0
	s_mul_i32 s24, s25, s24
	s_add_u32 s3, s3, s24
	s_addc_u32 s23, 0, s23
	v_add_co_u32_e32 v0, vcc, s3, v6
	s_cmp_lg_u64 vcc, 0
	s_addc_u32 s3, s25, s23
	v_readfirstlane_b32 s24, v0
	s_mul_i32 s23, s0, s3
	s_mul_hi_u32 s25, s0, s24
	s_add_i32 s23, s25, s23
	s_mul_i32 s1, s1, s24
	s_add_i32 s23, s23, s1
	s_mul_i32 s0, s0, s24
	s_mul_hi_u32 s25, s3, s0
	s_mul_i32 s26, s3, s0
	s_mul_i32 s28, s24, s23
	s_mul_hi_u32 s0, s24, s0
	s_mul_hi_u32 s27, s24, s23
	s_add_u32 s0, s0, s28
	s_addc_u32 s24, 0, s27
	s_add_u32 s0, s0, s26
	s_mul_hi_u32 s1, s3, s23
	s_addc_u32 s0, s24, s25
	s_addc_u32 s1, s1, 0
	s_mul_i32 s23, s3, s23
	s_add_u32 s0, s0, s23
	s_addc_u32 s1, 0, s1
	v_add_co_u32_e32 v0, vcc, s0, v0
	s_cmp_lg_u64 vcc, 0
	s_addc_u32 s3, s3, s1
	s_ashr_i32 s0, s7, 31
	s_add_u32 s24, s2, s0
	s_mov_b32 s1, s0
	s_addc_u32 s25, s7, s0
	s_xor_b64 s[24:25], s[24:25], s[0:1]
	v_readfirstlane_b32 s23, v0
	s_mul_i32 s7, s24, s3
	s_mul_hi_u32 s26, s24, s23
	s_mul_hi_u32 s1, s24, s3
	s_add_u32 s7, s26, s7
	s_addc_u32 s1, 0, s1
	s_mul_hi_u32 s27, s25, s23
	s_mul_i32 s23, s25, s23
	s_add_u32 s7, s7, s23
	s_mul_hi_u32 s26, s25, s3
	s_addc_u32 s1, s1, s27
	s_addc_u32 s7, s26, 0
	s_mul_i32 s3, s25, s3
	s_add_u32 s1, s1, s3
	s_addc_u32 s3, 0, s7
	s_mul_i32 s3, s5, s3
	s_mul_hi_u32 s26, s5, s1
	s_add_i32 s26, s26, s3
	s_mul_i32 s3, s5, s1
	v_mov_b32_e32 v0, s3
	s_add_u32 s7, s1, 1
	s_add_u32 s23, s1, 2
	v_sub_co_u32_e32 v0, vcc, s24, v0
	s_cmp_lg_u64 vcc, 0
	s_subb_u32 s3, s25, s26
	v_subrev_co_u32_e32 v1, vcc, s5, v0
	s_cmp_lg_u64 vcc, 0
	s_subb_u32 s24, s3, 0
	v_cmp_le_u32_e32 vcc, s5, v1
	s_cmp_eq_u32 s24, 0
	v_mov_b32_e32 v13, s7
	v_cndmask_b32_e64 v1, 0, -1, vcc
	s_cselect_b64 vcc, -1, 0
	v_cndmask_b32_e32 v1, -1, v1, vcc
	v_mov_b32_e32 v14, s23
	v_cmp_ne_u32_e32 vcc, 0, v1
	s_cmp_eq_u32 s3, 0
	s_nop 0
	v_cndmask_b32_e32 v1, v13, v14, vcc
	v_cmp_le_u32_e32 vcc, s5, v0
	v_mov_b32_e32 v13, s1
	s_nop 0
	v_cndmask_b32_e64 v0, 0, -1, vcc
	s_cselect_b64 vcc, -1, 0
	v_cndmask_b32_e32 v0, -1, v0, vcc
	v_cmp_ne_u32_e32 vcc, 0, v0
	s_nop 1
	v_cndmask_b32_e32 v0, v13, v1, vcc
	v_xor_b32_e32 v0, s0, v0
	v_subrev_co_u32_e32 v0, vcc, s0, v0
	s_cbranch_execnz .LBB51_11
.LBB51_10:
	s_sub_i32 s0, 0, s5
	v_mul_lo_u32 v0, s0, v9
	v_mul_hi_u32 v0, v9, v0
	v_add_u32_e32 v0, v9, v0
	v_mul_hi_u32 v0, s2, v0
	v_mul_lo_u32 v13, v0, s5
	v_sub_u32_e32 v13, s2, v13
	v_add_u32_e32 v1, 1, v0
	v_subrev_u32_e32 v14, s5, v13
	v_cmp_le_u32_e32 vcc, s5, v13
	s_nop 1
	v_cndmask_b32_e32 v13, v13, v14, vcc
	v_cndmask_b32_e32 v0, v0, v1, vcc
	v_add_u32_e32 v1, 1, v0
	v_cmp_le_u32_e32 vcc, s5, v13
	s_nop 1
	v_cndmask_b32_e32 v0, v0, v1, vcc
.LBB51_11:
	v_cmp_ne_u32_e32 vcc, v11, v0
	s_cbranch_vccz .LBB51_14
; %bb.12:
	s_add_i32 s0, s12, s13
	s_lshl_b32 s0, s0, 1
	v_mul_hi_u32 v1, v0, s16
	s_add_i32 s0, s0, s4
	s_mov_b32 s1, s6
	v_add_u32_e32 v1, v1, v0
	s_lshl_b64 s[0:1], s[0:1], 3
	v_lshrrev_b32_e32 v1, s17, v1
	s_add_u32 s2, s10, s0
	v_mul_lo_u32 v13, v1, s18
	s_addc_u32 s3, s11, s1
	v_cmp_eq_u32_e32 vcc, v13, v0
	v_cmp_gt_u32_e64 s[0:1], s19, v1
	s_or_b64 s[0:1], s[0:1], vcc
	s_and_b64 vcc, exec, s[0:1]
	s_cbranch_vccnz .LBB51_16
; %bb.13:
	s_add_i32 s7, s13, -1
	s_mov_b64 s[0:1], 0
	s_branch .LBB51_17
.LBB51_14:
                                        ; implicit-def: $sgpr0_sgpr1
                                        ; implicit-def: $vgpr14
                                        ; implicit-def: $vgpr1
                                        ; implicit-def: $vgpr13
                                        ; implicit-def: $sgpr7
                                        ; implicit-def: $vgpr0
	s_branch .LBB51_18
.LBB51_15:
                                        ; implicit-def: $vgpr0_vgpr1
	s_branch .LBB51_10
.LBB51_16:
	s_mov_b64 s[0:1], -1
	s_mov_b32 s7, s13
	v_mov_b32_e32 v0, v11
.LBB51_17:
	s_mul_i32 s23, s13, 0xa0
	v_add_u32_e32 v14, s23, v4
	v_ashrrev_i32_e32 v15, 31, v14
	v_lshl_add_u64 v[14:15], v[14:15], 2, s[8:9]
	global_load_dword v14, v[14:15], off
	s_load_dwordx2 s[2:3], s[2:3], 0x0
	v_max_f32_e32 v1, v10, v10
	s_waitcnt lgkmcnt(0)
	v_max_f32_e64 v13, s2, s2
	v_max_f32_e32 v1, v1, v13
	v_sub_f32_e32 v13, v10, v1
	v_sub_f32_e32 v15, s2, v1
	v_mul_f32_e32 v16, 0x3fb8aa3b, v13
	v_mul_f32_e32 v17, 0x3fb8aa3b, v15
	v_fma_f32 v18, v13, s14, -v16
	v_rndne_f32_e32 v19, v16
	v_fma_f32 v20, v15, s14, -v17
	v_rndne_f32_e32 v21, v17
	v_fmac_f32_e32 v18, 0x32a5705f, v13
	v_sub_f32_e32 v16, v16, v19
	v_fmac_f32_e32 v20, 0x32a5705f, v15
	v_sub_f32_e32 v17, v17, v21
	v_add_f32_e32 v16, v16, v18
	v_cvt_i32_f32_e32 v19, v19
	v_add_f32_e32 v17, v17, v20
	v_exp_f32_e32 v16, v16
	v_cvt_i32_f32_e32 v21, v21
	v_exp_f32_e32 v17, v17
	v_cmp_ngt_f32_e32 vcc, s20, v13
	v_ldexp_f32 v16, v16, v19
	v_ldexp_f32 v17, v17, v21
	v_cndmask_b32_e32 v16, 0, v16, vcc
	v_cmp_ngt_f32_e32 vcc, s20, v15
	s_nop 1
	v_cndmask_b32_e32 v17, 0, v17, vcc
	v_cmp_nlt_f32_e32 vcc, s21, v13
	s_nop 1
	v_cndmask_b32_e32 v16, v12, v16, vcc
	v_cmp_nlt_f32_e32 vcc, s21, v15
	s_nop 1
	v_cndmask_b32_e32 v17, v12, v17, vcc
	v_cmp_le_f32_e32 vcc, s22, v13
	s_nop 1
	v_cndmask_b32_e32 v16, 0, v16, vcc
	v_cmp_le_f32_e32 vcc, s22, v15
	s_nop 1
	v_cndmask_b32_e32 v15, 0, v17, vcc
	v_mul_f32_e32 v13, s3, v15
	v_fmac_f32_e32 v13, v8, v16
	s_waitcnt vmcnt(0)
	v_mul_f32_e32 v14, v14, v15
	v_fmac_f32_e32 v14, v5, v16
	s_cbranch_execnz .LBB51_19
.LBB51_18:
	s_add_i32 s7, s13, -1
	s_mov_b64 s[0:1], 0
	v_mov_b32_e32 v0, v11
	v_mov_b32_e32 v13, v8
	;; [unrolled: 1-line block ×3, first 2 shown]
	s_waitcnt vmcnt(0)
	v_mov_b32_e32 v14, v5
.LBB51_19:
	s_andn2_b64 vcc, exec, s[0:1]
	s_cbranch_vccz .LBB51_23
; %bb.20:
	v_mov_b32_e32 v11, v0
	s_mov_b32 s13, s7
	v_mov_b32_e32 v8, v13
	v_mov_b32_e32 v10, v1
	s_waitcnt vmcnt(0)
	v_mov_b32_e32 v5, v14
	s_mul_hi_i32 s7, s13, s15
	s_cmp_lg_u64 s[6:7], 0
	s_mul_i32 s2, s13, s15
	s_cbranch_scc1 .LBB51_9
	s_branch .LBB51_15
.LBB51_21:
                                        ; implicit-def: $sgpr20_sgpr21
	s_load_dwordx4 s[16:19], s[0:1], 0x44
	s_branch .LBB51_2
.LBB51_22:
                                        ; implicit-def: $vgpr2_vgpr3
	s_branch .LBB51_5
.LBB51_23:
	v_div_scale_f32 v0, s[0:1], v13, v13, v14
	v_rcp_f32_e32 v1, v0
	v_div_scale_f32 v4, vcc, v14, v13, v14
	s_waitcnt vmcnt(0)
	v_fma_f32 v5, -v0, v1, 1.0
	v_fmac_f32_e32 v1, v5, v1
	v_mul_f32_e32 v5, v4, v1
	v_fma_f32 v6, -v0, v5, v4
	v_fmac_f32_e32 v5, v6, v1
	v_fma_f32 v0, -v0, v5, v4
	v_div_fmas_f32 v0, v0, v1, v5
	v_div_fixup_f32 v0, v0, v13, v14
	global_store_dword v[2:3], v0, off
.LBB51_24:
	s_endpgm
	.section	.rodata,"a",@progbits
	.p2align	6, 0x0
	.amdhsa_kernel _ZL33flash_attn_stream_k_fixup_generalILi80ELi1ELi2EEvPfPK15HIP_vector_typeIfLj2EEiiiiS1_IjLj3EES5_S5_S5_
		.amdhsa_group_segment_fixed_size 0
		.amdhsa_private_segment_fixed_size 0
		.amdhsa_kernarg_size 336
		.amdhsa_user_sgpr_count 2
		.amdhsa_user_sgpr_dispatch_ptr 0
		.amdhsa_user_sgpr_queue_ptr 0
		.amdhsa_user_sgpr_kernarg_segment_ptr 1
		.amdhsa_user_sgpr_dispatch_id 0
		.amdhsa_user_sgpr_kernarg_preload_length 0
		.amdhsa_user_sgpr_kernarg_preload_offset 0
		.amdhsa_user_sgpr_private_segment_size 0
		.amdhsa_uses_dynamic_stack 0
		.amdhsa_enable_private_segment 0
		.amdhsa_system_sgpr_workgroup_id_x 1
		.amdhsa_system_sgpr_workgroup_id_y 1
		.amdhsa_system_sgpr_workgroup_id_z 1
		.amdhsa_system_sgpr_workgroup_info 0
		.amdhsa_system_vgpr_workitem_id 0
		.amdhsa_next_free_vgpr 22
		.amdhsa_next_free_sgpr 32
		.amdhsa_accum_offset 24
		.amdhsa_reserve_vcc 1
		.amdhsa_float_round_mode_32 0
		.amdhsa_float_round_mode_16_64 0
		.amdhsa_float_denorm_mode_32 3
		.amdhsa_float_denorm_mode_16_64 3
		.amdhsa_dx10_clamp 1
		.amdhsa_ieee_mode 1
		.amdhsa_fp16_overflow 0
		.amdhsa_tg_split 0
		.amdhsa_exception_fp_ieee_invalid_op 0
		.amdhsa_exception_fp_denorm_src 0
		.amdhsa_exception_fp_ieee_div_zero 0
		.amdhsa_exception_fp_ieee_overflow 0
		.amdhsa_exception_fp_ieee_underflow 0
		.amdhsa_exception_fp_ieee_inexact 0
		.amdhsa_exception_int_div_zero 0
	.end_amdhsa_kernel
	.section	.text._ZL33flash_attn_stream_k_fixup_generalILi80ELi1ELi2EEvPfPK15HIP_vector_typeIfLj2EEiiiiS1_IjLj3EES5_S5_S5_,"axG",@progbits,_ZL33flash_attn_stream_k_fixup_generalILi80ELi1ELi2EEvPfPK15HIP_vector_typeIfLj2EEiiiiS1_IjLj3EES5_S5_S5_,comdat
.Lfunc_end51:
	.size	_ZL33flash_attn_stream_k_fixup_generalILi80ELi1ELi2EEvPfPK15HIP_vector_typeIfLj2EEiiiiS1_IjLj3EES5_S5_S5_, .Lfunc_end51-_ZL33flash_attn_stream_k_fixup_generalILi80ELi1ELi2EEvPfPK15HIP_vector_typeIfLj2EEiiiiS1_IjLj3EES5_S5_S5_
                                        ; -- End function
	.section	.AMDGPU.csdata,"",@progbits
; Kernel info:
; codeLenInByte = 2856
; NumSgprs: 38
; NumVgprs: 22
; NumAgprs: 0
; TotalNumVgprs: 22
; ScratchSize: 0
; MemoryBound: 0
; FloatMode: 240
; IeeeMode: 1
; LDSByteSize: 0 bytes/workgroup (compile time only)
; SGPRBlocks: 4
; VGPRBlocks: 2
; NumSGPRsForWavesPerEU: 38
; NumVGPRsForWavesPerEU: 22
; AccumOffset: 24
; Occupancy: 8
; WaveLimiterHint : 0
; COMPUTE_PGM_RSRC2:SCRATCH_EN: 0
; COMPUTE_PGM_RSRC2:USER_SGPR: 2
; COMPUTE_PGM_RSRC2:TRAP_HANDLER: 0
; COMPUTE_PGM_RSRC2:TGID_X_EN: 1
; COMPUTE_PGM_RSRC2:TGID_Y_EN: 1
; COMPUTE_PGM_RSRC2:TGID_Z_EN: 1
; COMPUTE_PGM_RSRC2:TIDIG_COMP_CNT: 0
; COMPUTE_PGM_RSRC3_GFX90A:ACCUM_OFFSET: 5
; COMPUTE_PGM_RSRC3_GFX90A:TG_SPLIT: 0
	.section	.text._ZL15flash_attn_tileILi80ELi80ELi64ELi1ELb0EEvPKcS1_S1_S1_S1_PKiPfP15HIP_vector_typeIfLj2EEffffjfiS5_IjLj3EEiiiiiiiiiiiliiliiiiil,"axG",@progbits,_ZL15flash_attn_tileILi80ELi80ELi64ELi1ELb0EEvPKcS1_S1_S1_S1_PKiPfP15HIP_vector_typeIfLj2EEffffjfiS5_IjLj3EEiiiiiiiiiiiliiliiiiil,comdat
	.globl	_ZL15flash_attn_tileILi80ELi80ELi64ELi1ELb0EEvPKcS1_S1_S1_S1_PKiPfP15HIP_vector_typeIfLj2EEffffjfiS5_IjLj3EEiiiiiiiiiiiliiliiiiil ; -- Begin function _ZL15flash_attn_tileILi80ELi80ELi64ELi1ELb0EEvPKcS1_S1_S1_S1_PKiPfP15HIP_vector_typeIfLj2EEffffjfiS5_IjLj3EEiiiiiiiiiiiliiliiiiil
	.p2align	8
	.type	_ZL15flash_attn_tileILi80ELi80ELi64ELi1ELb0EEvPKcS1_S1_S1_S1_PKiPfP15HIP_vector_typeIfLj2EEffffjfiS5_IjLj3EEiiiiiiiiiiiliiliiiiil,@function
_ZL15flash_attn_tileILi80ELi80ELi64ELi1ELb0EEvPKcS1_S1_S1_S1_PKiPfP15HIP_vector_typeIfLj2EEffffjfiS5_IjLj3EEiiiiiiiiiiiliiliiiiil: ; @_ZL15flash_attn_tileILi80ELi80ELi64ELi1ELb0EEvPKcS1_S1_S1_S1_PKiPfP15HIP_vector_typeIfLj2EEffffjfiS5_IjLj3EEiiiiiiiiiiiliiliiiiil
; %bb.0:
	s_load_dwordx4 s[56:59], s[2:3], 0x5c
	s_load_dwordx2 s[64:65], s[2:3], 0x80
	s_load_dwordx16 s[40:55], s[2:3], 0x0
	s_load_dwordx2 s[16:17], s[2:3], 0xb8
	s_mov_b64 s[62:63], 0
	s_waitcnt lgkmcnt(0)
	v_cvt_f32_u32_e32 v1, s59
	s_sub_i32 s7, 0, s59
	v_rcp_iflag_f32_e32 v1, v1
	s_nop 0
	v_mul_f32_e32 v1, 0x4f7ffffe, v1
	v_cvt_u32_f32_e32 v1, v1
	s_nop 0
	v_readfirstlane_b32 s8, v1
	s_mul_i32 s7, s7, s8
	s_mul_hi_u32 s7, s8, s7
	s_add_i32 s8, s8, s7
	s_mul_hi_u32 s7, s6, s8
	s_mul_i32 s8, s7, s59
	s_sub_i32 s8, s6, s8
	s_add_i32 s9, s7, 1
	s_sub_i32 s10, s8, s59
	s_cmp_ge_u32 s8, s59
	s_cselect_b32 s7, s9, s7
	s_cselect_b32 s8, s10, s8
	s_add_i32 s9, s7, 1
	s_cmp_ge_u32 s8, s59
	s_cselect_b32 s72, s9, s7
	s_abs_i32 s7, s65
	v_cvt_f32_u32_e32 v1, s7
	s_sub_i32 s10, 0, s7
	s_abs_i32 s9, s59
	s_xor_b32 s8, s59, s65
	v_rcp_iflag_f32_e32 v1, v1
	s_ashr_i32 s8, s8, 31
	v_mul_f32_e32 v1, 0x4f7ffffe, v1
	v_cvt_u32_f32_e32 v1, v1
	s_nop 0
	v_readfirstlane_b32 s11, v1
	s_mul_i32 s10, s10, s11
	s_mul_hi_u32 s10, s11, s10
	s_add_i32 s11, s11, s10
	s_mul_hi_u32 s10, s9, s11
	s_mul_i32 s11, s10, s7
	s_sub_i32 s9, s9, s11
	s_add_i32 s12, s10, 1
	s_sub_i32 s11, s9, s7
	s_cmp_ge_u32 s9, s7
	s_cselect_b32 s10, s12, s10
	s_cselect_b32 s9, s11, s9
	s_add_i32 s11, s10, 1
	s_cmp_ge_u32 s9, s7
	s_cselect_b32 s7, s11, s10
	s_xor_b32 s7, s7, s8
	s_sub_i32 s19, s7, s8
	s_abs_i32 s18, s19
	v_cvt_f32_u32_e32 v1, s18
	s_mul_i32 s7, s72, s59
	s_cmp_eq_u64 s[46:47], 0
	v_rcp_iflag_f32_e32 v1, v1
	s_nop 0
	v_mul_f32_e32 v1, 0x4f7ffffe, v1
	v_cvt_u32_f32_e32 v1, v1
	s_nop 0
	v_readfirstlane_b32 s20, v1
	s_cbranch_scc1 .LBB52_2
; %bb.1:
	s_abs_i32 s10, s16
	v_cvt_f32_u32_e32 v1, s10
	s_sub_i32 s13, 0, s10
	s_abs_i32 s12, s72
	s_ashr_i32 s11, s72, 31
	v_rcp_iflag_f32_e32 v1, v1
	s_load_dwordx2 s[8:9], s[2:3], 0xc8
	v_mul_f32_e32 v1, 0x4f7ffffe, v1
	v_cvt_u32_f32_e32 v1, v1
	s_nop 0
	v_readfirstlane_b32 s14, v1
	s_mul_i32 s13, s13, s14
	s_mul_hi_u32 s13, s14, s13
	s_add_i32 s14, s14, s13
	s_mul_hi_u32 s13, s12, s14
	s_mul_i32 s13, s13, s10
	s_sub_i32 s12, s12, s13
	s_sub_i32 s13, s12, s10
	s_cmp_ge_u32 s12, s10
	s_cselect_b32 s12, s13, s12
	s_sub_i32 s13, s12, s10
	s_cmp_ge_u32 s12, s10
	s_cselect_b32 s10, s13, s12
	s_xor_b32 s10, s10, s11
	s_sub_i32 s10, s10, s11
	s_ashr_i32 s11, s10, 31
	s_waitcnt lgkmcnt(0)
	s_mul_i32 s9, s10, s9
	s_mul_hi_u32 s12, s10, s8
	s_add_i32 s9, s12, s9
	s_mul_i32 s11, s11, s8
	s_add_i32 s9, s9, s11
	s_mul_i32 s10, s10, s8
	s_add_u32 s62, s46, s10
	s_addc_u32 s63, s47, s9
.LBB52_2:
	s_load_dwordx4 s[12:15], s[2:3], 0x40
	s_sub_i32 s60, s6, s7
	s_load_dword s6, s[2:3], 0x50
	v_mov_b32_e32 v117, 1.0
	s_waitcnt lgkmcnt(0)
	v_cmp_le_f32_e64 s[8:9], s13, 0
	s_and_b64 vcc, exec, s[8:9]
	s_cbranch_vccnz .LBB52_4
; %bb.3:
	s_sub_i32 s7, s60, s6
	s_lshl_b32 s7, s7, 1
	s_add_i32 s8, s60, 1
	s_or_b32 s9, s7, 1
	s_cmp_lt_u32 s60, s6
	s_cselect_b64 vcc, -1, 0
	s_and_b64 s[6:7], vcc, exec
	v_mov_b32_e32 v1, s15
	v_mov_b32_e32 v2, s14
	s_cselect_b32 s6, s8, s9
	v_cndmask_b32_e32 v18, v1, v2, vcc
	v_cvt_f32_i32_e32 v1, s6
	v_cmp_neq_f32_e32 vcc, 1.0, v18
	s_mov_b32 s6, 0x3f2aaaab
	s_movk_i32 s8, 0x204
	v_cndmask_b32_e32 v19, 1.0, v1, vcc
	v_cmp_eq_f32_e32 vcc, 0, v19
	s_mov_b32 s10, 0x42b17218
	s_mov_b32 s9, 0x7f800000
	v_cndmask_b32_e64 v20, |v18|, 1.0, vcc
	v_frexp_mant_f32_e32 v1, v20
	v_cmp_gt_f32_e64 s[6:7], s6, v1
	s_brev_b32 s13, -2
	s_nop 0
	v_cndmask_b32_e64 v2, 1.0, 2.0, s[6:7]
	v_mul_f32_e32 v1, v1, v2
	v_add_f32_e32 v2, 1.0, v1
	v_rcp_f32_e32 v10, v2
	v_add_f32_e32 v3, -1.0, v2
	v_sub_f32_e32 v5, v1, v3
	v_add_f32_e32 v3, -1.0, v1
	v_mul_f32_e32 v1, v3, v10
	v_mul_f32_e32 v4, v2, v1
	v_fma_f32 v6, v1, v2, -v4
	v_fmac_f32_e32 v6, v1, v5
	v_add_f32_e32 v2, v4, v6
	v_sub_f32_e32 v5, v3, v2
	v_pk_add_f32 v[8:9], v[2:3], v[4:5] neg_lo:[0,1] neg_hi:[0,1]
	v_mov_b32_e32 v7, v2
	v_pk_add_f32 v[2:3], v[8:9], v[6:7] neg_lo:[0,1] neg_hi:[0,1]
	v_mov_b32_e32 v6, 0x3e91f4c4
	v_add_f32_e32 v2, v2, v3
	v_add_f32_e32 v2, v5, v2
	v_mul_f32_e32 v3, v10, v2
	v_add_f32_e32 v2, v1, v3
	v_sub_f32_e32 v1, v2, v1
	v_sub_f32_e32 v1, v3, v1
	v_mul_f32_e32 v3, v2, v2
	v_fma_f32 v5, v2, v2, -v3
	v_add_f32_e32 v4, v1, v1
	v_fmac_f32_e32 v5, v2, v4
	v_add_f32_e32 v4, v3, v5
	v_fmac_f32_e32 v6, 0x3e76c4e1, v4
	v_fmaak_f32 v6, v4, v6, 0x3ecccdef
	v_sub_f32_e32 v3, v4, v3
	v_sub_f32_e32 v12, v5, v3
	v_mul_f32_e32 v3, v4, v6
	v_fma_f32 v5, v4, v6, -v3
	v_fmac_f32_e32 v5, v12, v6
	v_add_f32_e32 v6, v3, v5
	v_add_f32_e32 v7, 0x3f2aaaaa, v6
	v_sub_f32_e32 v3, v6, v3
	v_sub_f32_e32 v3, v5, v3
	v_add_f32_e32 v5, 0xbf2aaaaa, v7
	v_add_f32_e32 v3, 0x31739010, v3
	v_sub_f32_e32 v5, v6, v5
	v_pk_mul_f32 v[8:9], v[2:3], v[4:5]
	v_pk_add_f32 v[10:11], v[2:3], v[4:5]
	v_fma_f32 v6, v4, v2, -v8
	v_fmac_f32_e32 v6, v4, v1
	v_mov_b32_e32 v9, v11
	v_fmac_f32_e32 v6, v12, v2
	v_pk_add_f32 v[4:5], v[8:9], v[6:7]
	v_ldexp_f32 v1, v1, 1
	v_sub_f32_e32 v3, v4, v8
	v_sub_f32_e32 v3, v6, v3
	;; [unrolled: 1-line block ×3, first 2 shown]
	v_add_f32_e32 v9, v11, v6
	v_mov_b32_e32 v6, v5
	v_pk_mul_f32 v[6:7], v[4:5], v[6:7]
	v_cvt_f64_f32_e32 v[10:11], v20
	v_frexp_exp_i32_f64_e32 v7, v[10:11]
	v_subbrev_co_u32_e64 v7, s[6:7], 0, v7, s[6:7]
	v_cvt_f32_i32_e32 v7, v7
	v_fma_f32 v8, v4, v5, -v6
	v_fmac_f32_e32 v8, v4, v9
	s_mov_b32 s6, 0x3f317218
	v_mul_f32_e32 v4, 0x3f317218, v7
	v_fmac_f32_e32 v8, v3, v5
	v_fma_f32 v3, v7, s6, -v4
	v_fmamk_f32 v10, v7, 0xb102e308, v3
	v_ldexp_f32 v11, v2, 1
	v_add_f32_e32 v5, v6, v8
	v_pk_add_f32 v[2:3], v[4:5], v[10:11]
	v_mov_b32_e32 v12, v5
	v_mov_b32_e32 v13, v3
	;; [unrolled: 1-line block ×3, first 2 shown]
	v_pk_add_f32 v[6:7], v[12:13], v[6:7] neg_lo:[0,1] neg_hi:[0,1]
	v_mov_b32_e32 v9, v5
	v_pk_add_f32 v[6:7], v[8:9], v[6:7] neg_lo:[0,1] neg_hi:[0,1]
	v_mov_b32_e32 v11, v2
	v_add_f32_e32 v1, v1, v6
	v_add_f32_e32 v5, v1, v7
	v_pk_add_f32 v[6:7], v[2:3], v[4:5] neg_lo:[0,1] neg_hi:[0,1]
	v_pk_add_f32 v[8:9], v[2:3], v[4:5]
	v_mov_b32_e32 v12, v6
	v_mov_b32_e32 v13, v9
	v_pk_add_f32 v[12:13], v[10:11], v[12:13]
	v_pk_add_f32 v[6:7], v[10:11], v[6:7] neg_lo:[0,1] neg_hi:[0,1]
	v_mov_b32_e32 v4, v13
	v_pk_add_f32 v[14:15], v[4:5], v[2:3] neg_lo:[0,1] neg_hi:[0,1]
	v_mov_b32_e32 v12, v9
	v_mov_b32_e32 v1, v14
	;; [unrolled: 1-line block ×4, first 2 shown]
	v_pk_add_f32 v[16:17], v[8:9], v[0:1] neg_lo:[0,1] neg_hi:[0,1]
	v_pk_add_f32 v[2:3], v[12:13], v[2:3] neg_lo:[0,1] neg_hi:[0,1]
	v_mov_b32_e32 v10, v5
	v_pk_add_f32 v[2:3], v[10:11], v[2:3] neg_lo:[0,1] neg_hi:[0,1]
	v_mov_b32_e32 v16, v6
	v_pk_add_f32 v[8:9], v[16:17], v[2:3]
	v_mov_b32_e32 v7, v13
	v_mov_b32_e32 v10, v9
	v_pk_add_f32 v[10:11], v[8:9], v[10:11]
	s_nop 0
	v_pk_add_f32 v[4:5], v[4:5], v[10:11]
	v_mov_b32_e32 v3, v10
	v_mov_b32_e32 v9, v4
	v_pk_add_f32 v[12:13], v[8:9], v[6:7] neg_lo:[0,1] neg_hi:[0,1]
	s_nop 0
	v_sub_f32_e32 v1, v8, v12
	v_pk_add_f32 v[2:3], v[2:3], v[12:13] neg_lo:[0,1] neg_hi:[0,1]
	v_sub_f32_e32 v1, v6, v1
	v_add_f32_e32 v1, v2, v1
	v_add_f32_e32 v1, v1, v3
	;; [unrolled: 1-line block ×3, first 2 shown]
	v_sub_f32_e32 v3, v2, v4
	v_sub_f32_e32 v1, v1, v3
	v_mul_f32_e32 v3, v19, v2
	v_fma_f32 v2, v19, v2, -v3
	v_fmac_f32_e32 v2, v19, v1
	v_add_f32_e32 v1, v3, v2
	v_cmp_class_f32_e64 s[6:7], v3, s8
	v_sub_f32_e32 v4, v1, v3
	v_sub_f32_e32 v2, v2, v4
	v_cndmask_b32_e64 v1, v1, v3, s[6:7]
	v_mov_b32_e32 v3, 0x37000000
	v_cmp_eq_f32_e64 s[6:7], s10, v1
	s_nop 1
	v_cndmask_b32_e64 v3, 0, v3, s[6:7]
	v_sub_f32_e32 v4, v1, v3
	s_mov_b32 s6, 0x3fb8aa3b
	v_mul_f32_e32 v5, 0x3fb8aa3b, v4
	v_fma_f32 v6, v4, s6, -v5
	v_rndne_f32_e32 v7, v5
	v_fmamk_f32 v6, v4, 0x32a5705f, v6
	v_sub_f32_e32 v5, v5, v7
	v_add_f32_e32 v5, v5, v6
	v_exp_f32_e32 v5, v5
	v_cvt_i32_f32_e32 v6, v7
	v_cmp_neq_f32_e64 s[6:7], |v1|, s9
	s_nop 1
	v_cndmask_b32_e64 v1, 0, v2, s[6:7]
	s_mov_b32 s6, 0xc2ce8ed0
	v_ldexp_f32 v2, v5, v6
	v_cmp_ngt_f32_e64 s[6:7], s6, v4
	v_add_f32_e32 v1, v3, v1
	v_mov_b32_e32 v3, 0x7f800000
	v_cndmask_b32_e64 v2, 0, v2, s[6:7]
	v_cmp_nlt_f32_e64 s[6:7], s10, v4
	v_trunc_f32_e32 v4, v19
	v_mov_b32_e32 v5, 0x7fc00000
	v_cndmask_b32_e64 v2, v3, v2, s[6:7]
	v_fma_f32 v1, v2, v1, v2
	v_cmp_class_f32_e64 s[6:7], v2, s8
	v_cmp_gt_f32_e64 s[10:11], 0, v19
	s_nop 0
	v_cndmask_b32_e64 v1, v1, v2, s[6:7]
	v_cndmask_b32_e64 v2, v18, 1.0, vcc
	v_cmp_eq_f32_e32 vcc, v4, v19
	v_mul_f32_e32 v4, 0.5, v19
	v_trunc_f32_e32 v6, v4
	v_cmp_neq_f32_e64 s[6:7], v6, v4
	s_and_b64 s[6:7], vcc, s[6:7]
	s_nop 0
	v_cndmask_b32_e64 v4, 1.0, v2, s[6:7]
	v_bfi_b32 v1, s13, v1, v4
	v_cndmask_b32_e32 v4, v5, v1, vcc
	v_cmp_gt_f32_e32 vcc, 0, v2
	s_nop 1
	v_cndmask_b32_e32 v1, v1, v4, vcc
	v_cmp_eq_f32_e32 vcc, s9, v20
	v_cmp_eq_f32_e64 s[8:9], 0, v2
	s_xor_b64 s[10:11], s[10:11], s[8:9]
	v_cndmask_b32_e64 v3, v3, 0, s[10:11]
	v_cndmask_b32_e64 v4, 0, v2, s[6:7]
	v_bfi_b32 v3, s13, v3, v4
	s_or_b64 vcc, vcc, s[8:9]
	v_cndmask_b32_e32 v1, v1, v3, vcc
	v_cmp_o_f32_e32 vcc, v2, v2
	s_nop 1
	v_cndmask_b32_e32 v117, v5, v1, vcc
.LBB52_4:
	s_load_dwordx4 s[8:11], s[2:3], 0x70
	s_lshl_b32 s33, s4, 6
	v_and_b32_e32 v157, 0x3ff, v0
	v_bfe_u32 v115, v0, 10, 10
	v_lshlrev_b32_e32 v160, 3, v115
	s_waitcnt lgkmcnt(0)
	s_mul_i32 s6, s72, s10
	s_mul_i32 s7, s60, s9
	s_ashr_i32 s9, s6, 31
	s_add_u32 s6, s40, s6
	s_addc_u32 s9, s41, s9
	s_ashr_i32 s11, s7, 31
	s_add_u32 s10, s6, s7
	s_addc_u32 s11, s9, s11
	s_ashr_i32 s9, s8, 31
	v_lshlrev_b32_e32 v2, 4, v157
	v_mov_b32_e32 v3, 0
	v_cmp_gt_u32_e64 s[46:47], 20, v157
	s_lshr_b64 s[6:7], s[8:9], 2
	v_lshl_add_u64 v[4:5], s[10:11], 0, v[2:3]
	v_lshlrev_b32_e32 v1, 1, v157
	v_add_u32_e32 v161, s33, v160
	s_and_saveexec_b64 s[8:9], s[46:47]
	s_cbranch_execz .LBB52_6
; %bb.5:
	v_mul_hi_u32 v3, v161, s56
	v_add_u32_e32 v3, v161, v3
	v_lshrrev_b32_e32 v3, s57, v3
	v_mul_lo_u32 v3, v3, s58
	v_sub_u32_e32 v3, v161, v3
	v_mad_u64_u32 v[6:7], s[10:11], s6, v3, 0
	v_mov_b32_e32 v8, v7
	v_mad_u64_u32 v[8:9], s[10:11], s7, v3, v[8:9]
	v_mov_b32_e32 v7, v8
	v_lshl_add_u64 v[6:7], v[6:7], 2, v[4:5]
	global_load_dwordx4 v[6:9], v[6:7], off
	v_mul_u32_u24_e32 v3, 0x140, v115
	v_or_b32_e32 v3, v3, v1
	v_lshlrev_b32_e32 v3, 2, v3
	s_waitcnt vmcnt(0)
	v_pk_mul_f32 v[6:7], v[6:7], s[12:13] op_sel_hi:[1,0]
	v_pk_mul_f32 v[8:9], v[8:9], s[12:13] op_sel_hi:[1,0]
	v_cvt_f16_f32_e32 v10, v7
	v_cvt_f16_f32_e32 v7, v9
	;; [unrolled: 1-line block ×4, first 2 shown]
	v_pack_b32_f16 v7, v8, v7
	v_pack_b32_f16 v6, v6, v10
	ds_write_b64 v3, v[6:7]
.LBB52_6:
	s_or_b64 exec, exec, s[8:9]
	v_or_b32_e32 v158, 1, v160
	v_add_u32_e32 v159, s33, v158
	s_and_saveexec_b64 s[8:9], s[46:47]
	s_cbranch_execz .LBB52_8
; %bb.7:
	v_mul_hi_u32 v3, v159, s56
	v_add_u32_e32 v3, v159, v3
	v_lshrrev_b32_e32 v3, s57, v3
	v_mul_lo_u32 v3, v3, s58
	v_sub_u32_e32 v3, v159, v3
	v_mad_u64_u32 v[6:7], s[10:11], s6, v3, 0
	v_mov_b32_e32 v8, v7
	v_mad_u64_u32 v[8:9], s[10:11], s7, v3, v[8:9]
	v_mov_b32_e32 v7, v8
	v_lshl_add_u64 v[6:7], v[6:7], 2, v[4:5]
	global_load_dwordx4 v[6:9], v[6:7], off
	s_waitcnt vmcnt(0)
	v_pk_mul_f32 v[6:7], v[6:7], s[12:13] op_sel_hi:[1,0]
	v_pk_mul_f32 v[8:9], v[8:9], s[12:13] op_sel_hi:[1,0]
	v_cvt_f16_f32_e32 v3, v7
	v_cvt_f16_f32_e32 v7, v9
	;; [unrolled: 1-line block ×4, first 2 shown]
	v_mul_u32_u24_e32 v9, 40, v158
	v_add_lshl_u32 v9, v9, v1, 2
	v_pack_b32_f16 v7, v8, v7
	v_pack_b32_f16 v6, v6, v3
	ds_write_b64 v9, v[6:7]
.LBB52_8:
	s_or_b64 exec, exec, s[8:9]
	v_or_b32_e32 v156, 2, v160
	s_and_saveexec_b64 s[8:9], s[46:47]
	s_cbranch_execz .LBB52_10
; %bb.9:
	v_add_u32_e32 v3, s33, v156
	v_mul_hi_u32 v6, v3, s56
	v_add_u32_e32 v6, v3, v6
	v_lshrrev_b32_e32 v6, s57, v6
	v_mul_lo_u32 v6, v6, s58
	v_sub_u32_e32 v3, v3, v6
	v_mad_u64_u32 v[6:7], s[10:11], s6, v3, 0
	v_mov_b32_e32 v8, v7
	v_mad_u64_u32 v[8:9], s[10:11], s7, v3, v[8:9]
	v_mov_b32_e32 v7, v8
	v_lshl_add_u64 v[6:7], v[6:7], 2, v[4:5]
	global_load_dwordx4 v[6:9], v[6:7], off
	s_waitcnt vmcnt(0)
	v_pk_mul_f32 v[6:7], v[6:7], s[12:13] op_sel_hi:[1,0]
	v_pk_mul_f32 v[8:9], v[8:9], s[12:13] op_sel_hi:[1,0]
	v_cvt_f16_f32_e32 v3, v7
	v_cvt_f16_f32_e32 v7, v9
	;; [unrolled: 1-line block ×4, first 2 shown]
	v_mul_u32_u24_e32 v9, 40, v156
	v_add_lshl_u32 v9, v9, v1, 2
	v_pack_b32_f16 v7, v8, v7
	v_pack_b32_f16 v6, v6, v3
	ds_write_b64 v9, v[6:7]
.LBB52_10:
	s_or_b64 exec, exec, s[8:9]
	s_sub_i32 s10, 0, s18
	v_or_b32_e32 v155, 3, v160
	s_and_saveexec_b64 s[8:9], s[46:47]
	s_cbranch_execz .LBB52_12
; %bb.11:
	v_add_u32_e32 v3, s33, v155
	v_mul_hi_u32 v6, v3, s56
	v_add_u32_e32 v6, v3, v6
	v_lshrrev_b32_e32 v6, s57, v6
	v_mul_lo_u32 v6, v6, s58
	v_sub_u32_e32 v3, v3, v6
	v_mad_u64_u32 v[6:7], s[14:15], s6, v3, 0
	v_mov_b32_e32 v8, v7
	v_mad_u64_u32 v[8:9], s[14:15], s7, v3, v[8:9]
	v_mov_b32_e32 v7, v8
	v_lshl_add_u64 v[6:7], v[6:7], 2, v[4:5]
	global_load_dwordx4 v[6:9], v[6:7], off
	s_waitcnt vmcnt(0)
	v_pk_mul_f32 v[6:7], v[6:7], s[12:13] op_sel_hi:[1,0]
	v_pk_mul_f32 v[8:9], v[8:9], s[12:13] op_sel_hi:[1,0]
	v_cvt_f16_f32_e32 v3, v7
	v_cvt_f16_f32_e32 v7, v9
	;; [unrolled: 1-line block ×4, first 2 shown]
	v_mul_u32_u24_e32 v9, 40, v155
	v_add_lshl_u32 v9, v9, v1, 2
	v_pack_b32_f16 v7, v8, v7
	v_pack_b32_f16 v6, v6, v3
	ds_write_b64 v9, v[6:7]
.LBB52_12:
	s_or_b64 exec, exec, s[8:9]
	s_mul_i32 s10, s10, s20
	v_or_b32_e32 v154, 4, v160
	s_and_saveexec_b64 s[8:9], s[46:47]
	s_cbranch_execz .LBB52_14
; %bb.13:
	v_add_u32_e32 v3, s33, v154
	v_mul_hi_u32 v6, v3, s56
	v_add_u32_e32 v6, v3, v6
	v_lshrrev_b32_e32 v6, s57, v6
	v_mul_lo_u32 v6, v6, s58
	v_sub_u32_e32 v3, v3, v6
	v_mad_u64_u32 v[6:7], s[14:15], s6, v3, 0
	v_mov_b32_e32 v8, v7
	v_mad_u64_u32 v[8:9], s[14:15], s7, v3, v[8:9]
	v_mov_b32_e32 v7, v8
	v_lshl_add_u64 v[6:7], v[6:7], 2, v[4:5]
	global_load_dwordx4 v[6:9], v[6:7], off
	s_waitcnt vmcnt(0)
	v_pk_mul_f32 v[6:7], v[6:7], s[12:13] op_sel_hi:[1,0]
	v_pk_mul_f32 v[8:9], v[8:9], s[12:13] op_sel_hi:[1,0]
	v_cvt_f16_f32_e32 v3, v7
	v_cvt_f16_f32_e32 v7, v9
	;; [unrolled: 1-line block ×4, first 2 shown]
	v_mul_u32_u24_e32 v9, 40, v154
	v_add_lshl_u32 v9, v9, v1, 2
	v_pack_b32_f16 v7, v8, v7
	v_pack_b32_f16 v6, v6, v3
	ds_write_b64 v9, v[6:7]
.LBB52_14:
	s_or_b64 exec, exec, s[8:9]
	s_mul_hi_u32 s11, s20, s10
	v_or_b32_e32 v153, 5, v160
	s_and_saveexec_b64 s[8:9], s[46:47]
	s_cbranch_execz .LBB52_16
; %bb.15:
	v_add_u32_e32 v3, s33, v153
	v_mul_hi_u32 v6, v3, s56
	v_add_u32_e32 v6, v3, v6
	v_lshrrev_b32_e32 v6, s57, v6
	v_mul_lo_u32 v6, v6, s58
	v_sub_u32_e32 v3, v3, v6
	v_mad_u64_u32 v[6:7], s[14:15], s6, v3, 0
	v_mov_b32_e32 v8, v7
	v_mad_u64_u32 v[8:9], s[14:15], s7, v3, v[8:9]
	v_mov_b32_e32 v7, v8
	v_lshl_add_u64 v[6:7], v[6:7], 2, v[4:5]
	global_load_dwordx4 v[6:9], v[6:7], off
	s_waitcnt vmcnt(0)
	v_pk_mul_f32 v[6:7], v[6:7], s[12:13] op_sel_hi:[1,0]
	v_pk_mul_f32 v[8:9], v[8:9], s[12:13] op_sel_hi:[1,0]
	v_cvt_f16_f32_e32 v3, v7
	v_cvt_f16_f32_e32 v7, v9
	;; [unrolled: 1-line block ×4, first 2 shown]
	v_mul_u32_u24_e32 v9, 40, v153
	v_add_lshl_u32 v9, v9, v1, 2
	v_pack_b32_f16 v7, v8, v7
	v_pack_b32_f16 v6, v6, v3
	ds_write_b64 v9, v[6:7]
.LBB52_16:
	s_or_b64 exec, exec, s[8:9]
	s_abs_i32 s10, s60
	s_add_i32 s20, s20, s11
	v_or_b32_e32 v152, 6, v160
	s_and_saveexec_b64 s[8:9], s[46:47]
	s_cbranch_execz .LBB52_18
; %bb.17:
	v_add_u32_e32 v3, s33, v152
	v_mul_hi_u32 v6, v3, s56
	v_add_u32_e32 v6, v3, v6
	v_lshrrev_b32_e32 v6, s57, v6
	v_mul_lo_u32 v6, v6, s58
	v_sub_u32_e32 v3, v3, v6
	v_mad_u64_u32 v[6:7], s[14:15], s6, v3, 0
	v_mov_b32_e32 v8, v7
	v_mad_u64_u32 v[8:9], s[14:15], s7, v3, v[8:9]
	v_mov_b32_e32 v7, v8
	v_lshl_add_u64 v[6:7], v[6:7], 2, v[4:5]
	global_load_dwordx4 v[6:9], v[6:7], off
	s_waitcnt vmcnt(0)
	v_pk_mul_f32 v[6:7], v[6:7], s[12:13] op_sel_hi:[1,0]
	v_pk_mul_f32 v[8:9], v[8:9], s[12:13] op_sel_hi:[1,0]
	v_cvt_f16_f32_e32 v3, v7
	v_cvt_f16_f32_e32 v7, v9
	;; [unrolled: 1-line block ×4, first 2 shown]
	v_mul_u32_u24_e32 v9, 40, v152
	v_add_lshl_u32 v9, v9, v1, 2
	v_pack_b32_f16 v7, v8, v7
	v_pack_b32_f16 v6, v6, v3
	ds_write_b64 v9, v[6:7]
.LBB52_18:
	s_or_b64 exec, exec, s[8:9]
	s_mul_hi_u32 s11, s10, s20
	v_or_b32_e32 v125, 7, v160
	s_and_saveexec_b64 s[8:9], s[46:47]
	s_cbranch_execz .LBB52_20
; %bb.19:
	v_add_u32_e32 v3, s33, v125
	v_mul_hi_u32 v6, v3, s56
	v_add_u32_e32 v6, v3, v6
	v_lshrrev_b32_e32 v6, s57, v6
	v_mul_lo_u32 v6, v6, s58
	v_sub_u32_e32 v3, v3, v6
	v_mad_u64_u32 v[6:7], s[14:15], s6, v3, 0
	v_mov_b32_e32 v8, v7
	v_mad_u64_u32 v[8:9], s[6:7], s7, v3, v[8:9]
	v_mov_b32_e32 v7, v8
	v_lshl_add_u64 v[4:5], v[6:7], 2, v[4:5]
	global_load_dwordx4 v[4:7], v[4:5], off
	s_waitcnt vmcnt(0)
	v_pk_mul_f32 v[4:5], v[4:5], s[12:13] op_sel_hi:[1,0]
	v_pk_mul_f32 v[6:7], v[6:7], s[12:13] op_sel_hi:[1,0]
	v_cvt_f16_f32_e32 v3, v5
	v_cvt_f16_f32_e32 v5, v7
	;; [unrolled: 1-line block ×4, first 2 shown]
	v_mul_u32_u24_e32 v7, 40, v125
	v_add_lshl_u32 v1, v7, v1, 2
	v_pack_b32_f16 v5, v6, v5
	v_pack_b32_f16 v4, v4, v3
	ds_write_b64 v1, v[4:5]
.LBB52_20:
	s_or_b64 exec, exec, s[8:9]
	s_ashr_i32 s61, s60, 31
	s_ashr_i32 s6, s19, 31
	s_cmp_eq_u64 s[50:51], 0
	s_waitcnt lgkmcnt(0)
	s_barrier
	s_cbranch_scc1 .LBB52_22
; %bb.21:
	s_load_dword s7, s[2:3], 0xd0
	s_mov_b32 s9, 0
	s_waitcnt lgkmcnt(0)
	s_mul_i32 s7, s7, s72
	s_add_i32 s8, s7, s4
	s_lshl_b64 s[8:9], s[8:9], 2
	s_add_u32 s8, s50, s8
	s_addc_u32 s9, s51, s9
	s_load_dword s64, s[8:9], 0x0
.LBB52_22:
	s_nop 0
	s_load_dwordx2 s[8:9], s[2:3], 0x8c
	s_load_dwordx4 s[12:15], s[2:3], 0x98
	s_ashr_i32 s7, s72, 31
	s_ashr_i32 s75, s17, 1
	s_load_dwordx2 s[20:21], s[2:3], 0xa8
	s_waitcnt lgkmcnt(0)
	s_ashr_i32 s76, s8, 2
	s_mul_i32 s8, s72, s13
	s_mul_hi_u32 s13, s72, s12
	s_add_i32 s8, s13, s8
	s_mul_i32 s13, s7, s12
	s_ashr_i32 s4, s14, 2
	s_add_i32 s8, s8, s13
	s_mul_i32 s12, s72, s12
	s_add_u32 s12, s42, s12
	s_mul_i32 s13, s11, s18
	s_addc_u32 s8, s43, s8
	s_sub_i32 s10, s10, s13
	s_xor_b32 s6, s61, s6
	s_add_i32 s13, s11, 1
	s_sub_i32 s14, s10, s18
	s_cmp_ge_u32 s10, s18
	s_cselect_b32 s11, s13, s11
	s_cselect_b32 s10, s14, s10
	s_add_i32 s13, s11, 1
	s_cmp_ge_u32 s10, s18
	s_cselect_b32 s10, s13, s11
	s_xor_b32 s10, s10, s6
	s_sub_i32 s6, s10, s6
	s_mul_i32 s9, s6, s9
	s_ashr_i32 s10, s9, 31
	s_add_u32 s77, s12, s9
	s_addc_u32 s78, s8, s10
	s_mul_i32 s8, s72, s21
	s_mul_hi_u32 s9, s72, s20
	s_add_i32 s8, s9, s8
	s_mul_i32 s7, s7, s20
	s_add_i32 s8, s8, s7
	s_mul_i32 s7, s72, s20
	s_add_u32 s7, s44, s7
	s_mul_i32 s6, s6, s15
	s_addc_u32 s8, s45, s8
	s_ashr_i32 s9, s6, 31
	s_add_u32 s65, s7, s6
	v_lshlrev_b32_e32 v124, 2, v157
	s_addc_u32 s73, s8, s9
	s_lshl_b32 s74, s5, 5
	s_sub_i32 s79, s64, 32
	s_mov_b32 s8, 0xfeffffff
	s_cmp_ge_i32 s74, s79
	v_mov_b32_e32 v9, 0
	v_mov_b32_e32 v177, 0
	v_lshl_add_u32 v181, v115, 5, v157
	v_lshrrev_b32_e32 v1, 2, v157
	v_and_b32_e32 v118, 12, v124
	v_lshrrev_b32_e32 v179, 1, v157
	v_lshrrev_b32_e32 v119, 3, v157
	v_lshlrev_b32_e32 v164, 3, v157
	v_and_b32_e32 v116, 4, v124
	v_and_b32_e32 v114, 28, v124
	v_mbcnt_lo_u32_b32 v180, -1, 0
	s_cbranch_scc1 .LBB52_58
; %bb.23:
	v_add_u32_e32 v3, v160, v1
	s_movk_i32 s10, 0x60
	v_mov_b32_e32 v4, 0x3840
	v_cmp_gt_u32_e64 s[8:9], 32, v3
	v_mad_u32_u24 v184, v181, s10, v4
	v_mul_u32_u24_e32 v4, 0x60, v3
	v_mul_lo_u32 v126, s76, v3
	v_mul_hi_u32 v3, s56, v161
	v_add_u32_e32 v3, v161, v3
	v_lshrrev_b32_e32 v3, s57, v3
	v_mul_lo_u32 v3, v3, s58
	v_sub_u32_e32 v3, v161, v3
	v_lshlrev_b32_e32 v5, 2, v118
	s_movk_i32 s14, 0x3800
	v_mul_lo_u32 v186, v3, s75
	v_or_b32_e32 v3, 1, v161
	v_add3_u32 v185, v4, v5, s14
	v_mul_hi_u32 v4, s56, v3
	v_add_u32_e32 v4, v3, v4
	v_lshrrev_b32_e32 v4, s57, v4
	v_mul_lo_u32 v4, v4, s58
	v_sub_u32_e32 v3, v3, v4
	v_mul_lo_u32 v187, v3, s75
	v_or_b32_e32 v3, 2, v161
	v_mul_hi_u32 v4, s56, v3
	v_add_u32_e32 v4, v3, v4
	v_lshrrev_b32_e32 v4, s57, v4
	v_mul_lo_u32 v4, v4, s58
	v_sub_u32_e32 v3, v3, v4
	v_mul_lo_u32 v188, v3, s75
	v_or_b32_e32 v3, 3, v161
	v_mul_hi_u32 v4, s56, v3
	v_add_u32_e32 v4, v3, v4
	v_lshrrev_b32_e32 v4, s57, v4
	v_mul_lo_u32 v4, v4, s58
	v_sub_u32_e32 v3, v3, v4
	v_mul_lo_u32 v189, v3, s75
	v_or_b32_e32 v3, 4, v161
	v_mul_hi_u32 v4, s56, v3
	v_add_u32_e32 v4, v3, v4
	v_lshrrev_b32_e32 v4, s57, v4
	v_mul_lo_u32 v4, v4, s58
	v_sub_u32_e32 v3, v3, v4
	v_mul_lo_u32 v190, v3, s75
	v_or_b32_e32 v3, 5, v161
	v_mul_hi_u32 v4, s56, v3
	v_add_u32_e32 v4, v3, v4
	v_lshrrev_b32_e32 v4, s57, v4
	v_mul_lo_u32 v4, v4, s58
	v_sub_u32_e32 v3, v3, v4
	v_mul_lo_u32 v191, v3, s75
	v_or_b32_e32 v3, 6, v161
	v_mul_hi_u32 v4, s56, v3
	v_add_u32_e32 v4, v3, v4
	v_lshrrev_b32_e32 v4, s57, v4
	v_mul_lo_u32 v4, v4, s58
	v_sub_u32_e32 v3, v3, v4
	v_mul_lo_u32 v192, v3, s75
	v_or_b32_e32 v3, 7, v161
	v_mul_hi_u32 v4, s56, v3
	v_add_u32_e32 v4, v3, v4
	v_lshrrev_b32_e32 v4, s57, v4
	v_mul_lo_u32 v4, v4, s58
	v_sub_u32_e32 v3, v3, v4
	v_mul_lo_u32 v193, v3, s75
	v_mov_b32_e32 v3, 0x2800
	v_lshl_add_u32 v194, v115, 9, v3
	v_lshl_add_u32 v3, v115, 4, v179
	v_mul_u32_u24_e32 v5, 0xa0, v3
	s_cmp_lg_u64 s[62:63], 0
	v_lshl_add_u32 v4, v115, 2, v119
	v_lshl_or_b32 v5, v116, 2, v5
	v_mul_lo_u32 v120, s76, v181
	v_mov_b32_e32 v123, 0
	s_cselect_b64 s[50:51], -1, 0
	v_cmp_gt_u32_e64 s[10:11], 16, v3
	v_add_u32_e32 v195, 0x3880, v5
	v_mul_lo_u32 v128, s4, v3
	v_mul_u32_u24_e32 v3, 0xa0, v4
	v_lshlrev_b32_e32 v5, 2, v114
	v_mul_lo_u32 v130, s4, v4
	s_add_u32 s66, s2, 0xd0
	v_mov_b32_e32 v18, 0xfeffffff
	v_cmp_gt_u32_e64 s[6:7], 32, v181
	v_mul_u32_u24_e32 v182, 0x60, v157
	v_mul_u32_u24_e32 v183, 0x500, v115
	v_ashrrev_i32_e32 v121, 31, v120
	v_ashrrev_i32_e32 v127, 31, v126
	v_cmp_gt_u32_e64 s[12:13], 16, v4
	v_ashrrev_i32_e32 v129, 31, v128
	v_add3_u32 v196, v3, v5, s14
	v_ashrrev_i32_e32 v131, 31, v130
	s_addc_u32 s67, s3, 0
	v_mbcnt_hi_u32_b32 v197, -1, v180
	s_mov_b32 s80, 0x3fb8aa3b
	s_mov_b32 s81, 0xc2ce8ed0
	;; [unrolled: 1-line block ×3, first 2 shown]
	v_add_u32_e32 v198, v194, v2
	v_lshlrev_b32_e32 v122, 2, v118
	v_mov_b32_e32 v199, 0x7f800000
	v_mov_b32_e32 v163, v123
	;; [unrolled: 1-line block ×32, first 2 shown]
.LBB52_24:                              ; =>This Inner Loop Header: Depth=1
	s_mul_hi_i32 s15, s74, s76
	s_mul_i32 s14, s74, s76
	s_lshl_b64 s[14:15], s[14:15], 2
	s_add_u32 s14, s77, s14
	s_addc_u32 s15, s78, s15
	v_lshl_add_u64 v[12:13], v[120:121], 2, s[14:15]
	s_and_saveexec_b64 s[16:17], s[6:7]
	s_cbranch_execz .LBB52_26
; %bb.25:                               ;   in Loop: Header=BB52_24 Depth=1
	global_load_dwordx4 v[14:17], v[12:13], off offset:64
	s_waitcnt vmcnt(0)
	ds_write_b128 v184, v[14:17]
.LBB52_26:                              ;   in Loop: Header=BB52_24 Depth=1
	s_or_b64 exec, exec, s[16:17]
	v_lshl_add_u64 v[10:11], v[126:127], 2, s[14:15]
	s_and_saveexec_b64 s[14:15], s[8:9]
	s_cbranch_execz .LBB52_28
; %bb.27:                               ;   in Loop: Header=BB52_24 Depth=1
	v_lshl_add_u64 v[14:15], v[10:11], 0, v[122:123]
	global_load_dwordx4 v[14:17], v[14:15], off
	s_waitcnt vmcnt(0)
	ds_write_b128 v185, v[14:17]
.LBB52_28:                              ;   in Loop: Header=BB52_24 Depth=1
	s_or_b64 exec, exec, s[14:15]
	v_mov_b32_e32 v26, 0
	s_waitcnt lgkmcnt(0)
	s_barrier
	ds_read_b128 v[30:33], v182 offset:14336
	ds_read_b128 v[14:17], v183
	ds_read_b128 v[34:37], v183 offset:160
	ds_read_b128 v[38:41], v183 offset:320
	;; [unrolled: 1-line block ×7, first 2 shown]
	s_waitcnt lgkmcnt(7)
	;;#ASMSTART
	v_dot2_f32_f16 v26, v30, v14, v26
	;;#ASMEND
	v_mov_b32_e32 v27, 0
	;;#ASMSTART
	v_dot2_f32_f16 v26, v31, v15, v26
	;;#ASMEND
	v_mov_b32_e32 v28, 0
	;; [unrolled: 4-line block ×3, first 2 shown]
	;;#ASMSTART
	v_dot2_f32_f16 v26, v33, v17, v26
	;;#ASMEND
	s_waitcnt lgkmcnt(6)
	;;#ASMSTART
	v_dot2_f32_f16 v27, v30, v34, v27
	;;#ASMEND
	v_mov_b32_e32 v17, 0
	;;#ASMSTART
	v_dot2_f32_f16 v27, v31, v35, v27
	;;#ASMEND
	v_mov_b32_e32 v16, 0
	;; [unrolled: 4-line block ×3, first 2 shown]
	;;#ASMSTART
	v_dot2_f32_f16 v27, v33, v37, v27
	;;#ASMEND
	s_waitcnt lgkmcnt(5)
	;;#ASMSTART
	v_dot2_f32_f16 v28, v30, v38, v28
	;;#ASMEND
	v_mov_b32_e32 v14, 0
	;;#ASMSTART
	v_dot2_f32_f16 v28, v31, v39, v28
	;;#ASMEND
	s_nop 0
	;;#ASMSTART
	v_dot2_f32_f16 v28, v32, v40, v28
	;;#ASMEND
	s_nop 0
	;;#ASMSTART
	v_dot2_f32_f16 v28, v33, v41, v28
	;;#ASMEND
	s_waitcnt lgkmcnt(4)
	;;#ASMSTART
	v_dot2_f32_f16 v29, v30, v42, v29
	;;#ASMEND
	s_nop 0
	;;#ASMSTART
	v_dot2_f32_f16 v29, v31, v43, v29
	;;#ASMEND
	s_nop 0
	;;#ASMSTART
	v_dot2_f32_f16 v29, v32, v44, v29
	;;#ASMEND
	s_nop 0
	;;#ASMSTART
	v_dot2_f32_f16 v29, v33, v45, v29
	;;#ASMEND
	s_waitcnt lgkmcnt(3)
	;;#ASMSTART
	v_dot2_f32_f16 v17, v30, v46, v17
	;;#ASMEND
	s_nop 0
	;; [unrolled: 16-line block ×5, first 2 shown]
	;;#ASMSTART
	v_dot2_f32_f16 v14, v31, v59, v14
	;;#ASMEND
	s_nop 0
	;;#ASMSTART
	v_dot2_f32_f16 v14, v32, v60, v14
	;;#ASMEND
	s_nop 0
	;;#ASMSTART
	v_dot2_f32_f16 v14, v33, v61, v14
	;;#ASMEND
	ds_read_b128 v[30:33], v182 offset:14352
	ds_read_b128 v[34:37], v183 offset:16
	;; [unrolled: 1-line block ×9, first 2 shown]
	s_waitcnt lgkmcnt(7)
	;;#ASMSTART
	v_dot2_f32_f16 v26, v30, v34, v26
	;;#ASMEND
	s_nop 0
	;;#ASMSTART
	v_dot2_f32_f16 v26, v31, v35, v26
	;;#ASMEND
	s_nop 0
	;;#ASMSTART
	v_dot2_f32_f16 v26, v32, v36, v26
	;;#ASMEND
	s_nop 0
	;;#ASMSTART
	v_dot2_f32_f16 v26, v33, v37, v26
	;;#ASMEND
	s_waitcnt lgkmcnt(6)
	;;#ASMSTART
	v_dot2_f32_f16 v27, v30, v38, v27
	;;#ASMEND
	s_nop 0
	;;#ASMSTART
	v_dot2_f32_f16 v27, v31, v39, v27
	;;#ASMEND
	s_nop 0
	;;#ASMSTART
	v_dot2_f32_f16 v27, v32, v40, v27
	;;#ASMEND
	s_nop 0
	;;#ASMSTART
	v_dot2_f32_f16 v27, v33, v41, v27
	;;#ASMEND
	;; [unrolled: 16-line block ×8, first 2 shown]
	ds_read_b128 v[30:33], v182 offset:14368
	ds_read_b128 v[34:37], v183 offset:32
	;; [unrolled: 1-line block ×9, first 2 shown]
	s_waitcnt lgkmcnt(7)
	;;#ASMSTART
	v_dot2_f32_f16 v26, v30, v34, v26
	;;#ASMEND
	s_nop 0
	;;#ASMSTART
	v_dot2_f32_f16 v26, v31, v35, v26
	;;#ASMEND
	s_nop 0
	;;#ASMSTART
	v_dot2_f32_f16 v26, v32, v36, v26
	;;#ASMEND
	s_nop 0
	;;#ASMSTART
	v_dot2_f32_f16 v26, v33, v37, v26
	;;#ASMEND
	s_waitcnt lgkmcnt(6)
	;;#ASMSTART
	v_dot2_f32_f16 v27, v30, v38, v27
	;;#ASMEND
	s_nop 0
	;;#ASMSTART
	v_dot2_f32_f16 v27, v31, v39, v27
	;;#ASMEND
	s_nop 0
	;;#ASMSTART
	v_dot2_f32_f16 v27, v32, v40, v27
	;;#ASMEND
	s_nop 0
	;;#ASMSTART
	v_dot2_f32_f16 v27, v33, v41, v27
	;;#ASMEND
	s_waitcnt lgkmcnt(5)
	;;#ASMSTART
	v_dot2_f32_f16 v28, v30, v42, v28
	;;#ASMEND
	s_nop 0
	;;#ASMSTART
	v_dot2_f32_f16 v28, v31, v43, v28
	;;#ASMEND
	s_nop 0
	;;#ASMSTART
	v_dot2_f32_f16 v28, v32, v44, v28
	;;#ASMEND
	s_nop 0
	;;#ASMSTART
	v_dot2_f32_f16 v28, v33, v45, v28
	;;#ASMEND
	s_waitcnt lgkmcnt(4)
	;;#ASMSTART
	v_dot2_f32_f16 v29, v30, v46, v29
	;;#ASMEND
	s_nop 0
	;;#ASMSTART
	v_dot2_f32_f16 v29, v31, v47, v29
	;;#ASMEND
	s_nop 0
	;;#ASMSTART
	v_dot2_f32_f16 v29, v32, v48, v29
	;;#ASMEND
	s_nop 0
	;;#ASMSTART
	v_dot2_f32_f16 v29, v33, v49, v29
	;;#ASMEND
	s_waitcnt lgkmcnt(3)
	;;#ASMSTART
	v_dot2_f32_f16 v17, v30, v50, v17
	;;#ASMEND
	s_nop 0
	;;#ASMSTART
	v_dot2_f32_f16 v17, v31, v51, v17
	;;#ASMEND
	s_nop 0
	;;#ASMSTART
	v_dot2_f32_f16 v17, v32, v52, v17
	;;#ASMEND
	s_nop 0
	;;#ASMSTART
	v_dot2_f32_f16 v17, v33, v53, v17
	;;#ASMEND
	s_waitcnt lgkmcnt(2)
	;;#ASMSTART
	v_dot2_f32_f16 v16, v30, v54, v16
	;;#ASMEND
	s_nop 0
	;;#ASMSTART
	v_dot2_f32_f16 v16, v31, v55, v16
	;;#ASMEND
	s_nop 0
	;;#ASMSTART
	v_dot2_f32_f16 v16, v32, v56, v16
	;;#ASMEND
	s_nop 0
	;;#ASMSTART
	v_dot2_f32_f16 v16, v33, v57, v16
	;;#ASMEND
	s_waitcnt lgkmcnt(1)
	;;#ASMSTART
	v_dot2_f32_f16 v15, v30, v58, v15
	;;#ASMEND
	s_nop 0
	;;#ASMSTART
	v_dot2_f32_f16 v15, v31, v59, v15
	;;#ASMEND
	s_nop 0
	;;#ASMSTART
	v_dot2_f32_f16 v15, v32, v60, v15
	;;#ASMEND
	s_nop 0
	;;#ASMSTART
	v_dot2_f32_f16 v15, v33, v61, v15
	;;#ASMEND
	s_waitcnt lgkmcnt(0)
	;;#ASMSTART
	v_dot2_f32_f16 v14, v30, v62, v14
	;;#ASMEND
	s_nop 0
	;;#ASMSTART
	v_dot2_f32_f16 v14, v31, v63, v14
	;;#ASMEND
	s_nop 0
	;;#ASMSTART
	v_dot2_f32_f16 v14, v32, v64, v14
	;;#ASMEND
	s_nop 0
	;;#ASMSTART
	v_dot2_f32_f16 v14, v33, v65, v14
	;;#ASMEND
	ds_read_b128 v[30:33], v182 offset:14384
	ds_read_b128 v[34:37], v183 offset:48
	;; [unrolled: 1-line block ×9, first 2 shown]
	s_waitcnt lgkmcnt(7)
	;;#ASMSTART
	v_dot2_f32_f16 v26, v30, v34, v26
	;;#ASMEND
	s_nop 0
	;;#ASMSTART
	v_dot2_f32_f16 v26, v31, v35, v26
	;;#ASMEND
	s_nop 0
	;;#ASMSTART
	v_dot2_f32_f16 v26, v32, v36, v26
	;;#ASMEND
	s_nop 0
	;;#ASMSTART
	v_dot2_f32_f16 v26, v33, v37, v26
	;;#ASMEND
	s_waitcnt lgkmcnt(6)
	;;#ASMSTART
	v_dot2_f32_f16 v27, v30, v38, v27
	;;#ASMEND
	s_nop 0
	;;#ASMSTART
	v_dot2_f32_f16 v27, v31, v39, v27
	;;#ASMEND
	s_nop 0
	;;#ASMSTART
	v_dot2_f32_f16 v27, v32, v40, v27
	;;#ASMEND
	s_nop 0
	;;#ASMSTART
	v_dot2_f32_f16 v27, v33, v41, v27
	;;#ASMEND
	;; [unrolled: 16-line block ×8, first 2 shown]
	ds_read_b128 v[30:33], v182 offset:14400
	ds_read_b128 v[34:37], v183 offset:64
	;; [unrolled: 1-line block ×9, first 2 shown]
	s_waitcnt lgkmcnt(7)
	;;#ASMSTART
	v_dot2_f32_f16 v26, v30, v34, v26
	;;#ASMEND
	s_nop 0
	;;#ASMSTART
	v_dot2_f32_f16 v26, v31, v35, v26
	;;#ASMEND
	s_nop 0
	;;#ASMSTART
	v_dot2_f32_f16 v26, v32, v36, v26
	;;#ASMEND
	s_nop 0
	;;#ASMSTART
	v_dot2_f32_f16 v26, v33, v37, v26
	;;#ASMEND
	s_waitcnt lgkmcnt(6)
	;;#ASMSTART
	v_dot2_f32_f16 v27, v30, v38, v27
	;;#ASMEND
	s_nop 0
	;;#ASMSTART
	v_dot2_f32_f16 v27, v31, v39, v27
	;;#ASMEND
	s_nop 0
	;;#ASMSTART
	v_dot2_f32_f16 v27, v32, v40, v27
	;;#ASMEND
	s_nop 0
	;;#ASMSTART
	v_dot2_f32_f16 v27, v33, v41, v27
	;;#ASMEND
	;; [unrolled: 16-line block ×8, first 2 shown]
	s_barrier
	s_and_saveexec_b64 s[14:15], s[6:7]
	s_cbranch_execz .LBB52_30
; %bb.29:                               ;   in Loop: Header=BB52_24 Depth=1
	global_load_dwordx4 v[30:33], v[12:13], off offset:144
	s_waitcnt vmcnt(0)
	ds_write_b128 v184, v[30:33]
.LBB52_30:                              ;   in Loop: Header=BB52_24 Depth=1
	s_or_b64 exec, exec, s[14:15]
	s_and_saveexec_b64 s[14:15], s[8:9]
	s_cbranch_execz .LBB52_32
; %bb.31:                               ;   in Loop: Header=BB52_24 Depth=1
	v_lshl_add_u64 v[10:11], v[10:11], 0, v[122:123]
	global_load_dwordx4 v[10:13], v[10:11], off offset:80
	s_waitcnt vmcnt(0)
	ds_write_b128 v185, v[10:13]
.LBB52_32:                              ;   in Loop: Header=BB52_24 Depth=1
	s_or_b64 exec, exec, s[14:15]
	s_waitcnt lgkmcnt(0)
	s_barrier
	ds_read_b128 v[10:13], v182 offset:14336
	ds_read_b128 v[30:33], v183 offset:80
	;; [unrolled: 1-line block ×9, first 2 shown]
	s_waitcnt lgkmcnt(7)
	;;#ASMSTART
	v_dot2_f32_f16 v26, v10, v30, v26
	;;#ASMEND
	s_andn2_b64 vcc, exec, s[50:51]
	;;#ASMSTART
	v_dot2_f32_f16 v26, v11, v31, v26
	;;#ASMEND
	s_nop 0
	;;#ASMSTART
	v_dot2_f32_f16 v26, v12, v32, v26
	;;#ASMEND
	s_nop 0
	;;#ASMSTART
	v_dot2_f32_f16 v26, v13, v33, v26
	;;#ASMEND
	s_waitcnt lgkmcnt(6)
	;;#ASMSTART
	v_dot2_f32_f16 v27, v10, v34, v27
	;;#ASMEND
	s_nop 0
	;;#ASMSTART
	v_dot2_f32_f16 v27, v11, v35, v27
	;;#ASMEND
	s_nop 0
	;;#ASMSTART
	v_dot2_f32_f16 v27, v12, v36, v27
	;;#ASMEND
	s_nop 0
	;;#ASMSTART
	v_dot2_f32_f16 v27, v13, v37, v27
	;;#ASMEND
	s_waitcnt lgkmcnt(5)
	;;#ASMSTART
	v_dot2_f32_f16 v28, v10, v38, v28
	;;#ASMEND
	s_nop 0
	;; [unrolled: 16-line block ×7, first 2 shown]
	;;#ASMSTART
	v_dot2_f32_f16 v14, v11, v59, v14
	;;#ASMEND
	s_nop 0
	;;#ASMSTART
	v_dot2_f32_f16 v14, v12, v60, v14
	;;#ASMEND
	s_nop 0
	;;#ASMSTART
	v_dot2_f32_f16 v14, v13, v61, v14
	;;#ASMEND
	ds_read_b128 v[10:13], v182 offset:14352
	ds_read_b128 v[30:33], v183 offset:96
	;; [unrolled: 1-line block ×9, first 2 shown]
	s_waitcnt lgkmcnt(7)
	;;#ASMSTART
	v_dot2_f32_f16 v26, v10, v30, v26
	;;#ASMEND
	s_nop 0
	;;#ASMSTART
	v_dot2_f32_f16 v26, v11, v31, v26
	;;#ASMEND
	s_nop 0
	;;#ASMSTART
	v_dot2_f32_f16 v26, v12, v32, v26
	;;#ASMEND
	s_nop 0
	;;#ASMSTART
	v_dot2_f32_f16 v26, v13, v33, v26
	;;#ASMEND
	s_waitcnt lgkmcnt(6)
	;;#ASMSTART
	v_dot2_f32_f16 v27, v10, v34, v27
	;;#ASMEND
	s_nop 0
	;;#ASMSTART
	v_dot2_f32_f16 v27, v11, v35, v27
	;;#ASMEND
	s_nop 0
	;;#ASMSTART
	v_dot2_f32_f16 v27, v12, v36, v27
	;;#ASMEND
	s_nop 0
	;;#ASMSTART
	v_dot2_f32_f16 v27, v13, v37, v27
	;;#ASMEND
	;; [unrolled: 16-line block ×8, first 2 shown]
	ds_read_b128 v[10:13], v182 offset:14368
	ds_read_b128 v[30:33], v183 offset:112
	;; [unrolled: 1-line block ×9, first 2 shown]
	s_waitcnt lgkmcnt(7)
	;;#ASMSTART
	v_dot2_f32_f16 v26, v10, v30, v26
	;;#ASMEND
	s_nop 0
	;;#ASMSTART
	v_dot2_f32_f16 v26, v11, v31, v26
	;;#ASMEND
	s_nop 0
	;;#ASMSTART
	v_dot2_f32_f16 v26, v12, v32, v26
	;;#ASMEND
	s_nop 0
	;;#ASMSTART
	v_dot2_f32_f16 v26, v13, v33, v26
	;;#ASMEND
	s_waitcnt lgkmcnt(6)
	;;#ASMSTART
	v_dot2_f32_f16 v27, v10, v34, v27
	;;#ASMEND
	s_nop 0
	;;#ASMSTART
	v_dot2_f32_f16 v27, v11, v35, v27
	;;#ASMEND
	s_nop 0
	;;#ASMSTART
	v_dot2_f32_f16 v27, v12, v36, v27
	;;#ASMEND
	s_nop 0
	;;#ASMSTART
	v_dot2_f32_f16 v27, v13, v37, v27
	;;#ASMEND
	;; [unrolled: 16-line block ×8, first 2 shown]
	ds_read_b128 v[10:13], v182 offset:14384
	ds_read_b128 v[30:33], v183 offset:128
	;; [unrolled: 1-line block ×9, first 2 shown]
	s_waitcnt lgkmcnt(7)
	;;#ASMSTART
	v_dot2_f32_f16 v26, v10, v30, v26
	;;#ASMEND
	s_nop 0
	;;#ASMSTART
	v_dot2_f32_f16 v26, v11, v31, v26
	;;#ASMEND
	s_nop 0
	;;#ASMSTART
	v_dot2_f32_f16 v26, v12, v32, v26
	;;#ASMEND
	s_nop 0
	;;#ASMSTART
	v_dot2_f32_f16 v26, v13, v33, v26
	;;#ASMEND
	s_waitcnt lgkmcnt(6)
	;;#ASMSTART
	v_dot2_f32_f16 v27, v10, v34, v27
	;;#ASMEND
	s_nop 0
	;;#ASMSTART
	v_dot2_f32_f16 v27, v11, v35, v27
	;;#ASMEND
	s_nop 0
	;;#ASMSTART
	v_dot2_f32_f16 v27, v12, v36, v27
	;;#ASMEND
	s_nop 0
	;;#ASMSTART
	v_dot2_f32_f16 v27, v13, v37, v27
	;;#ASMEND
	;; [unrolled: 16-line block ×8, first 2 shown]
	ds_read_b128 v[10:13], v182 offset:14400
	ds_read_b128 v[30:33], v183 offset:144
	;; [unrolled: 1-line block ×9, first 2 shown]
	s_waitcnt lgkmcnt(7)
	;;#ASMSTART
	v_dot2_f32_f16 v26, v10, v30, v26
	;;#ASMEND
	v_mov_b32_e32 v30, 0
	;;#ASMSTART
	v_dot2_f32_f16 v26, v11, v31, v26
	;;#ASMEND
	s_nop 0
	;;#ASMSTART
	v_dot2_f32_f16 v26, v12, v32, v26
	;;#ASMEND
	s_nop 0
	;;#ASMSTART
	v_dot2_f32_f16 v26, v13, v33, v26
	;;#ASMEND
	s_waitcnt lgkmcnt(6)
	;;#ASMSTART
	v_dot2_f32_f16 v27, v10, v34, v27
	;;#ASMEND
	s_nop 0
	;;#ASMSTART
	v_dot2_f32_f16 v27, v11, v35, v27
	;;#ASMEND
	s_nop 0
	;;#ASMSTART
	v_dot2_f32_f16 v27, v12, v36, v27
	;;#ASMEND
	s_nop 0
	;;#ASMSTART
	v_dot2_f32_f16 v27, v13, v37, v27
	;;#ASMEND
	s_waitcnt lgkmcnt(5)
	;;#ASMSTART
	v_dot2_f32_f16 v28, v10, v38, v28
	;;#ASMEND
	s_nop 0
	;;#ASMSTART
	v_dot2_f32_f16 v28, v11, v39, v28
	;;#ASMEND
	s_nop 0
	;;#ASMSTART
	v_dot2_f32_f16 v28, v12, v40, v28
	;;#ASMEND
	s_nop 0
	;;#ASMSTART
	v_dot2_f32_f16 v28, v13, v41, v28
	;;#ASMEND
	s_waitcnt lgkmcnt(4)
	;;#ASMSTART
	v_dot2_f32_f16 v29, v10, v42, v29
	;;#ASMEND
	s_nop 0
	;;#ASMSTART
	v_dot2_f32_f16 v29, v11, v43, v29
	;;#ASMEND
	s_nop 0
	;;#ASMSTART
	v_dot2_f32_f16 v29, v12, v44, v29
	;;#ASMEND
	s_nop 0
	;;#ASMSTART
	v_dot2_f32_f16 v29, v13, v45, v29
	;;#ASMEND
	s_waitcnt lgkmcnt(3)
	;;#ASMSTART
	v_dot2_f32_f16 v17, v10, v46, v17
	;;#ASMEND
	s_nop 0
	;;#ASMSTART
	v_dot2_f32_f16 v17, v11, v47, v17
	;;#ASMEND
	s_nop 0
	;;#ASMSTART
	v_dot2_f32_f16 v17, v12, v48, v17
	;;#ASMEND
	s_nop 0
	;;#ASMSTART
	v_dot2_f32_f16 v17, v13, v49, v17
	;;#ASMEND
	s_waitcnt lgkmcnt(2)
	;;#ASMSTART
	v_dot2_f32_f16 v16, v10, v50, v16
	;;#ASMEND
	s_nop 0
	;;#ASMSTART
	v_dot2_f32_f16 v16, v11, v51, v16
	;;#ASMEND
	s_nop 0
	;;#ASMSTART
	v_dot2_f32_f16 v16, v12, v52, v16
	;;#ASMEND
	s_nop 0
	;;#ASMSTART
	v_dot2_f32_f16 v16, v13, v53, v16
	;;#ASMEND
	s_waitcnt lgkmcnt(1)
	;;#ASMSTART
	v_dot2_f32_f16 v15, v10, v54, v15
	;;#ASMEND
	s_nop 0
	;;#ASMSTART
	v_dot2_f32_f16 v15, v11, v55, v15
	;;#ASMEND
	s_nop 0
	;;#ASMSTART
	v_dot2_f32_f16 v15, v12, v56, v15
	;;#ASMEND
	s_nop 0
	;;#ASMSTART
	v_dot2_f32_f16 v15, v13, v57, v15
	;;#ASMEND
	s_waitcnt lgkmcnt(0)
	;;#ASMSTART
	v_dot2_f32_f16 v14, v10, v58, v14
	;;#ASMEND
	v_cndmask_b32_e64 v10, 0, 1, s[50:51]
	;;#ASMSTART
	v_dot2_f32_f16 v14, v11, v59, v14
	;;#ASMEND
	v_add_u32_e32 v11, s74, v157
	;;#ASMSTART
	v_dot2_f32_f16 v14, v12, v60, v14
	;;#ASMEND
	v_cmp_ne_u32_e64 s[14:15], 1, v10
	v_mov_b32_e32 v12, 0
	;;#ASMSTART
	v_dot2_f32_f16 v14, v13, v61, v14
	;;#ASMEND
	s_cbranch_vccnz .LBB52_34
; %bb.33:                               ;   in Loop: Header=BB52_24 Depth=1
	v_add_u32_e32 v12, v11, v186
	v_ashrrev_i32_e32 v13, 31, v12
	v_lshl_add_u64 v[12:13], v[12:13], 1, s[62:63]
	flat_load_ushort v10, v[12:13]
	s_waitcnt vmcnt(0) lgkmcnt(0)
	v_cvt_f32_f16_e32 v10, v10
	v_mul_f32_e32 v12, v117, v10
.LBB52_34:                              ;   in Loop: Header=BB52_24 Depth=1
	v_and_b32_e32 v10, 0x60, v197
	v_add_u32_e32 v31, 32, v10
	v_xor_b32_e32 v10, 16, v197
	v_cmp_lt_i32_e32 vcc, v10, v31
	v_add_f32_e32 v26, v26, v12
	v_add_f32_e32 v12, 0x40051340, v26
	v_cndmask_b32_e32 v10, v197, v10, vcc
	v_max_f32_e32 v13, v18, v18
	v_lshlrev_b32_e32 v10, 2, v10
	v_max_f32_e32 v13, v13, v12
	ds_bpermute_b32 v32, v10, v13
	v_xor_b32_e32 v12, 8, v197
	v_cmp_lt_i32_e32 vcc, v12, v31
	v_xor_b32_e32 v34, 2, v197
	s_waitcnt lgkmcnt(0)
	v_max_f32_e32 v32, v32, v32
	v_cndmask_b32_e32 v12, v197, v12, vcc
	v_lshlrev_b32_e32 v12, 2, v12
	v_max_f32_e32 v32, v13, v32
	ds_bpermute_b32 v33, v12, v32
	v_xor_b32_e32 v13, 4, v197
	v_cmp_lt_i32_e32 vcc, v13, v31
	s_waitcnt lgkmcnt(0)
	v_max_f32_e32 v33, v33, v33
	v_cndmask_b32_e32 v13, v197, v13, vcc
	v_lshlrev_b32_e32 v13, 2, v13
	v_max_f32_e32 v32, v32, v33
	ds_bpermute_b32 v33, v13, v32
	v_cmp_lt_i32_e32 vcc, v34, v31
	s_waitcnt lgkmcnt(0)
	v_max_f32_e32 v33, v33, v33
	v_cndmask_b32_e32 v34, v197, v34, vcc
	v_lshlrev_b32_e32 v35, 2, v34
	v_max_f32_e32 v32, v32, v33
	ds_bpermute_b32 v33, v35, v32
	v_xor_b32_e32 v34, 1, v197
	v_cmp_lt_i32_e32 vcc, v34, v31
	s_nop 1
	v_cndmask_b32_e32 v31, v197, v34, vcc
	v_lshlrev_b32_e32 v36, 2, v31
	s_waitcnt lgkmcnt(0)
	v_max_f32_e32 v31, v33, v33
	v_max_f32_e32 v34, v32, v31
	ds_bpermute_b32 v37, v36, v34
	s_and_b64 vcc, exec, s[14:15]
	s_cbranch_vccnz .LBB52_36
; %bb.35:                               ;   in Loop: Header=BB52_24 Depth=1
	v_add_u32_e32 v30, v11, v187
	v_ashrrev_i32_e32 v31, 31, v30
	v_lshl_add_u64 v[30:31], v[30:31], 1, s[62:63]
	flat_load_ushort v30, v[30:31]
	s_waitcnt vmcnt(0) lgkmcnt(0)
	v_cvt_f32_f16_e32 v30, v30
	v_mul_f32_e32 v30, v117, v30
.LBB52_36:                              ;   in Loop: Header=BB52_24 Depth=1
	v_add_f32_e32 v27, v27, v30
	v_add_f32_e32 v30, 0x40051340, v27
	v_max_f32_e32 v31, v19, v19
	v_max_f32_e32 v30, v31, v30
	ds_bpermute_b32 v31, v10, v30
	s_and_b64 vcc, exec, s[14:15]
	s_waitcnt lgkmcnt(0)
	v_max_f32_e32 v31, v31, v31
	v_max_f32_e32 v30, v30, v31
	ds_bpermute_b32 v31, v12, v30
	s_waitcnt lgkmcnt(0)
	v_max_f32_e32 v31, v31, v31
	v_max_f32_e32 v30, v30, v31
	ds_bpermute_b32 v31, v13, v30
	;; [unrolled: 4-line block ×4, first 2 shown]
	v_mov_b32_e32 v30, 0
	v_mov_b32_e32 v31, 0
	s_cbranch_vccnz .LBB52_38
; %bb.37:                               ;   in Loop: Header=BB52_24 Depth=1
	v_add_u32_e32 v32, v11, v188
	v_ashrrev_i32_e32 v33, 31, v32
	v_lshl_add_u64 v[32:33], v[32:33], 1, s[62:63]
	flat_load_ushort v31, v[32:33]
	s_waitcnt vmcnt(0) lgkmcnt(0)
	v_cvt_f32_f16_e32 v31, v31
	v_mul_f32_e32 v31, v117, v31
.LBB52_38:                              ;   in Loop: Header=BB52_24 Depth=1
	v_add_f32_e32 v28, v28, v31
	v_add_f32_e32 v31, 0x40051340, v28
	v_max_f32_e32 v32, v24, v24
	v_max_f32_e32 v31, v32, v31
	ds_bpermute_b32 v32, v10, v31
	s_and_b64 vcc, exec, s[14:15]
	s_waitcnt lgkmcnt(0)
	v_max_f32_e32 v32, v32, v32
	v_max_f32_e32 v31, v31, v32
	ds_bpermute_b32 v32, v12, v31
	s_waitcnt lgkmcnt(0)
	v_max_f32_e32 v32, v32, v32
	v_max_f32_e32 v31, v31, v32
	ds_bpermute_b32 v32, v13, v31
	;; [unrolled: 4-line block ×4, first 2 shown]
	s_cbranch_vccnz .LBB52_40
; %bb.39:                               ;   in Loop: Header=BB52_24 Depth=1
	v_add_u32_e32 v30, v11, v189
	v_ashrrev_i32_e32 v31, 31, v30
	v_lshl_add_u64 v[30:31], v[30:31], 1, s[62:63]
	flat_load_ushort v30, v[30:31]
	s_waitcnt vmcnt(0) lgkmcnt(0)
	v_cvt_f32_f16_e32 v30, v30
	v_mul_f32_e32 v30, v117, v30
.LBB52_40:                              ;   in Loop: Header=BB52_24 Depth=1
	v_add_f32_e32 v29, v29, v30
	v_add_f32_e32 v30, 0x40051340, v29
	v_max_f32_e32 v31, v25, v25
	v_max_f32_e32 v30, v31, v30
	ds_bpermute_b32 v31, v10, v30
	s_and_b64 vcc, exec, s[14:15]
	s_waitcnt lgkmcnt(0)
	v_max_f32_e32 v31, v31, v31
	v_max_f32_e32 v30, v30, v31
	ds_bpermute_b32 v31, v12, v30
	s_waitcnt lgkmcnt(0)
	v_max_f32_e32 v31, v31, v31
	v_max_f32_e32 v30, v30, v31
	ds_bpermute_b32 v31, v13, v30
	s_waitcnt lgkmcnt(0)
	v_max_f32_e32 v31, v31, v31
	v_max_f32_e32 v30, v30, v31
	ds_bpermute_b32 v31, v35, v30
	s_waitcnt lgkmcnt(0)
	v_max_f32_e32 v31, v31, v31
	v_max_f32_e32 v42, v30, v31
	ds_bpermute_b32 v43, v36, v42
	v_mov_b32_e32 v31, 0
	v_mov_b32_e32 v30, 0
	s_cbranch_vccnz .LBB52_42
; %bb.41:                               ;   in Loop: Header=BB52_24 Depth=1
	v_add_u32_e32 v32, v11, v190
	v_ashrrev_i32_e32 v33, 31, v32
	v_lshl_add_u64 v[32:33], v[32:33], 1, s[62:63]
	flat_load_ushort v30, v[32:33]
	s_waitcnt vmcnt(0) lgkmcnt(0)
	v_cvt_f32_f16_e32 v30, v30
	v_mul_f32_e32 v30, v117, v30
.LBB52_42:                              ;   in Loop: Header=BB52_24 Depth=1
	v_add_f32_e32 v30, v17, v30
	v_add_f32_e32 v17, 0x40051340, v30
	v_max_f32_e32 v32, v22, v22
	v_max_f32_e32 v17, v32, v17
	ds_bpermute_b32 v32, v10, v17
	s_and_b64 vcc, exec, s[14:15]
	s_waitcnt lgkmcnt(0)
	v_max_f32_e32 v32, v32, v32
	v_max_f32_e32 v17, v17, v32
	ds_bpermute_b32 v32, v12, v17
	s_waitcnt lgkmcnt(0)
	v_max_f32_e32 v32, v32, v32
	v_max_f32_e32 v17, v17, v32
	ds_bpermute_b32 v32, v13, v17
	;; [unrolled: 4-line block ×4, first 2 shown]
	s_cbranch_vccnz .LBB52_44
; %bb.43:                               ;   in Loop: Header=BB52_24 Depth=1
	v_add_u32_e32 v32, v11, v191
	v_ashrrev_i32_e32 v33, 31, v32
	v_lshl_add_u64 v[32:33], v[32:33], 1, s[62:63]
	flat_load_ushort v31, v[32:33]
	s_waitcnt vmcnt(0) lgkmcnt(0)
	v_cvt_f32_f16_e32 v31, v31
	v_mul_f32_e32 v31, v117, v31
.LBB52_44:                              ;   in Loop: Header=BB52_24 Depth=1
	v_add_f32_e32 v31, v16, v31
	v_add_f32_e32 v16, 0x40051340, v31
	v_max_f32_e32 v32, v23, v23
	v_max_f32_e32 v16, v32, v16
	ds_bpermute_b32 v32, v10, v16
	s_and_b64 vcc, exec, s[14:15]
	s_waitcnt lgkmcnt(0)
	v_max_f32_e32 v32, v32, v32
	v_max_f32_e32 v16, v16, v32
	ds_bpermute_b32 v32, v12, v16
	s_waitcnt lgkmcnt(0)
	v_max_f32_e32 v32, v32, v32
	v_max_f32_e32 v16, v16, v32
	ds_bpermute_b32 v32, v13, v16
	;; [unrolled: 4-line block ×4, first 2 shown]
	v_mov_b32_e32 v16, 0
	v_mov_b32_e32 v32, 0
	s_cbranch_vccnz .LBB52_46
; %bb.45:                               ;   in Loop: Header=BB52_24 Depth=1
	v_add_u32_e32 v32, v11, v192
	v_ashrrev_i32_e32 v33, 31, v32
	v_lshl_add_u64 v[32:33], v[32:33], 1, s[62:63]
	flat_load_ushort v32, v[32:33]
	s_waitcnt vmcnt(0) lgkmcnt(0)
	v_cvt_f32_f16_e32 v32, v32
	v_mul_f32_e32 v32, v117, v32
.LBB52_46:                              ;   in Loop: Header=BB52_24 Depth=1
	v_add_f32_e32 v32, v15, v32
	v_add_f32_e32 v15, 0x40051340, v32
	v_max_f32_e32 v33, v20, v20
	v_max_f32_e32 v15, v33, v15
	ds_bpermute_b32 v33, v10, v15
	s_and_b64 vcc, exec, s[14:15]
	s_waitcnt lgkmcnt(0)
	v_max_f32_e32 v33, v33, v33
	v_max_f32_e32 v15, v15, v33
	ds_bpermute_b32 v33, v12, v15
	s_waitcnt lgkmcnt(0)
	v_max_f32_e32 v33, v33, v33
	v_max_f32_e32 v15, v15, v33
	ds_bpermute_b32 v33, v13, v15
	;; [unrolled: 4-line block ×4, first 2 shown]
	s_cbranch_vccnz .LBB52_48
; %bb.47:                               ;   in Loop: Header=BB52_24 Depth=1
	v_add_u32_e32 v48, v11, v193
	v_ashrrev_i32_e32 v49, 31, v48
	v_lshl_add_u64 v[48:49], v[48:49], 1, s[62:63]
	flat_load_ushort v11, v[48:49]
	s_waitcnt vmcnt(0) lgkmcnt(0)
	v_cvt_f32_f16_e32 v11, v11
	v_mul_f32_e32 v16, v117, v11
.LBB52_48:                              ;   in Loop: Header=BB52_24 Depth=1
	s_waitcnt lgkmcnt(0)
	v_max_f32_e32 v11, v33, v33
	v_add_f32_e32 v33, v14, v16
	v_add_f32_e32 v14, 0x40051340, v33
	v_max_f32_e32 v16, v21, v21
	v_max_f32_e32 v14, v16, v14
	ds_bpermute_b32 v10, v10, v14
	v_max_f32_e32 v15, v15, v15
	v_max_f32_e32 v16, v15, v11
	v_max_f32_e32 v11, v46, v46
	v_max_f32_e32 v15, v45, v45
	s_waitcnt lgkmcnt(0)
	v_max_f32_e32 v10, v10, v10
	v_max_f32_e32 v10, v14, v10
	ds_bpermute_b32 v12, v12, v10
	v_max_f32_e32 v15, v15, v11
	v_max_f32_e32 v11, v44, v44
	v_max_f32_e32 v14, v17, v17
	v_max_f32_e32 v14, v14, v11
	s_waitcnt lgkmcnt(0)
	;; [unrolled: 8-line block ×4, first 2 shown]
	v_max_f32_e32 v11, v11, v11
	v_max_f32_e32 v38, v10, v11
	ds_bpermute_b32 v36, v36, v38
	v_max_f32_e32 v11, v35, v17
	v_max_f32_e32 v10, v37, v37
	;; [unrolled: 1-line block ×4, first 2 shown]
	v_pk_add_f32 v[26:27], v[26:27], v[10:11] neg_lo:[0,1] neg_hi:[0,1]
	s_waitcnt lgkmcnt(0)
	v_max_f32_e32 v17, v36, v36
	v_mul_f32_e32 v34, 0x3fb8aa3b, v27
	v_fma_f32 v35, v27, s80, -v34
	v_rndne_f32_e32 v36, v34
	v_fmac_f32_e32 v35, 0x32a5705f, v27
	v_sub_f32_e32 v34, v34, v36
	v_add_f32_e32 v34, v34, v35
	v_exp_f32_e32 v34, v34
	v_cvt_i32_f32_e32 v35, v36
	v_cmp_ngt_f32_e32 vcc, s81, v27
	v_pk_add_f32 v[28:29], v[28:29], v[12:13] neg_lo:[0,1] neg_hi:[0,1]
	v_max_f32_e32 v17, v38, v17
	v_ldexp_f32 v34, v34, v35
	v_mul_f32_e32 v35, 0x3fb8aa3b, v26
	v_fma_f32 v36, v26, s80, -v35
	v_rndne_f32_e32 v37, v35
	v_fmac_f32_e32 v36, 0x32a5705f, v26
	v_sub_f32_e32 v35, v35, v37
	v_add_f32_e32 v35, v35, v36
	v_exp_f32_e32 v35, v35
	v_cvt_i32_f32_e32 v36, v37
	v_cndmask_b32_e32 v34, 0, v34, vcc
	v_cmp_nlt_f32_e32 vcc, s82, v27
	s_mul_hi_i32 s15, s74, s4
	v_ldexp_f32 v27, v35, v36
	v_cndmask_b32_e32 v133, v199, v34, vcc
	v_mul_f32_e32 v34, 0x3fb8aa3b, v29
	v_fma_f32 v35, v29, s80, -v34
	v_rndne_f32_e32 v36, v34
	v_fmac_f32_e32 v35, 0x32a5705f, v29
	v_sub_f32_e32 v34, v34, v36
	v_add_f32_e32 v34, v34, v35
	v_exp_f32_e32 v34, v34
	v_cvt_i32_f32_e32 v35, v36
	v_cmp_ngt_f32_e32 vcc, s81, v26
	s_mul_i32 s14, s74, s4
	s_lshl_b64 s[14:15], s[14:15], 2
	v_cndmask_b32_e32 v27, 0, v27, vcc
	v_cmp_nlt_f32_e32 vcc, s82, v26
	v_ldexp_f32 v26, v34, v35
	s_add_u32 s14, s65, s14
	v_cndmask_b32_e32 v132, v199, v27, vcc
	v_mul_f32_e32 v27, 0x3fb8aa3b, v28
	v_fma_f32 v34, v28, s80, -v27
	v_rndne_f32_e32 v35, v27
	v_fmac_f32_e32 v34, 0x32a5705f, v28
	v_sub_f32_e32 v27, v27, v35
	v_add_f32_e32 v27, v27, v34
	v_exp_f32_e32 v27, v27
	v_cvt_i32_f32_e32 v34, v35
	v_cmp_ngt_f32_e32 vcc, s81, v29
	v_cvt_f16_f32_e32 v36, v132
	s_addc_u32 s15, s73, s15
	v_cndmask_b32_e32 v26, 0, v26, vcc
	v_cmp_nlt_f32_e32 vcc, s82, v29
	v_lshlrev_b32_e32 v148, 2, v116
	s_nop 0
	v_cndmask_b32_e32 v135, v199, v26, vcc
	v_ldexp_f32 v26, v27, v34
	v_cmp_ngt_f32_e32 vcc, s81, v28
	s_barrier
	s_nop 0
	v_cndmask_b32_e32 v29, 0, v26, vcc
	v_pk_add_f32 v[26:27], v[30:31], v[14:15] neg_lo:[0,1] neg_hi:[0,1]
	v_cmp_nlt_f32_e32 vcc, s82, v28
	v_mul_f32_e32 v30, 0x3fb8aa3b, v27
	v_fma_f32 v31, v27, s80, -v30
	v_rndne_f32_e32 v34, v30
	v_fmac_f32_e32 v31, 0x32a5705f, v27
	v_sub_f32_e32 v30, v30, v34
	v_add_f32_e32 v30, v30, v31
	v_exp_f32_e32 v30, v30
	v_cvt_i32_f32_e32 v31, v34
	v_cndmask_b32_e32 v134, v199, v29, vcc
	v_mul_f32_e32 v29, 0x3fb8aa3b, v26
	v_cmp_ngt_f32_e32 vcc, s81, v27
	v_ldexp_f32 v28, v30, v31
	v_fma_f32 v30, v26, s80, -v29
	v_rndne_f32_e32 v31, v29
	v_fmac_f32_e32 v30, 0x32a5705f, v26
	v_sub_f32_e32 v29, v29, v31
	v_add_f32_e32 v29, v29, v30
	v_exp_f32_e32 v29, v29
	v_cvt_i32_f32_e32 v30, v31
	v_cndmask_b32_e32 v28, 0, v28, vcc
	v_cmp_nlt_f32_e32 vcc, s82, v27
	v_cvt_f16_f32_e32 v34, v134
	v_ldexp_f32 v27, v29, v30
	v_cndmask_b32_e32 v137, v199, v28, vcc
	v_pk_add_f32 v[28:29], v[32:33], v[16:17] neg_lo:[0,1] neg_hi:[0,1]
	v_cmp_ngt_f32_e32 vcc, s81, v26
	v_mul_f32_e32 v30, 0x3fb8aa3b, v29
	v_fma_f32 v31, v29, s80, -v30
	v_rndne_f32_e32 v32, v30
	v_fmac_f32_e32 v31, 0x32a5705f, v29
	v_sub_f32_e32 v30, v30, v32
	v_add_f32_e32 v30, v30, v31
	v_exp_f32_e32 v30, v30
	v_cvt_i32_f32_e32 v31, v32
	v_cndmask_b32_e32 v27, 0, v27, vcc
	v_cmp_nlt_f32_e32 vcc, s82, v26
	s_nop 1
	v_cndmask_b32_e32 v136, v199, v27, vcc
	v_ldexp_f32 v27, v30, v31
	v_mul_f32_e32 v30, 0x3fb8aa3b, v28
	v_fma_f32 v31, v28, s80, -v30
	v_rndne_f32_e32 v32, v30
	v_fmac_f32_e32 v31, 0x32a5705f, v28
	v_sub_f32_e32 v30, v30, v32
	v_add_f32_e32 v30, v30, v31
	v_exp_f32_e32 v30, v30
	v_cvt_i32_f32_e32 v31, v32
	v_cmp_ngt_f32_e32 vcc, s81, v29
	v_cvt_f16_f32_e32 v26, v136
	v_cvt_f16_f32_e32 v32, v133
	v_cndmask_b32_e32 v27, 0, v27, vcc
	v_cmp_nlt_f32_e32 vcc, s82, v29
	s_nop 1
	v_cndmask_b32_e32 v139, v199, v27, vcc
	v_ldexp_f32 v27, v30, v31
	v_cmp_ngt_f32_e32 vcc, s81, v28
	v_cvt_f16_f32_e32 v30, v137
	v_cvt_f16_f32_e32 v31, v135
	v_cndmask_b32_e32 v27, 0, v27, vcc
	v_cmp_nlt_f32_e32 vcc, s82, v28
	v_cvt_f16_f32_e32 v28, v139
	s_nop 0
	v_cndmask_b32_e32 v138, v199, v27, vcc
	v_cvt_f16_f32_e32 v27, v138
	v_pack_b32_f16 v29, v27, v28
	v_pack_b32_f16 v28, v26, v30
	;; [unrolled: 1-line block ×4, first 2 shown]
	ds_write_b128 v198, v[26:29]
	s_and_saveexec_b64 s[16:17], s[10:11]
	s_cbranch_execz .LBB52_50
; %bb.49:                               ;   in Loop: Header=BB52_24 Depth=1
	v_lshl_add_u64 v[26:27], v[128:129], 2, s[14:15]
	v_mov_b32_e32 v149, v123
	v_lshl_add_u64 v[26:27], v[26:27], 0, v[148:149]
	global_load_dwordx4 v[26:29], v[26:27], off offset:128
	s_waitcnt vmcnt(0)
	ds_write_b128 v195, v[26:29]
.LBB52_50:                              ;   in Loop: Header=BB52_24 Depth=1
	s_or_b64 exec, exec, s[16:17]
	v_lshlrev_b32_e32 v150, 2, v114
	s_and_saveexec_b64 s[16:17], s[12:13]
	s_cbranch_execz .LBB52_52
; %bb.51:                               ;   in Loop: Header=BB52_24 Depth=1
	v_lshl_add_u64 v[26:27], v[130:131], 2, s[14:15]
	v_mov_b32_e32 v151, v123
	v_lshl_add_u64 v[26:27], v[26:27], 0, v[150:151]
	global_load_dwordx4 v[26:29], v[26:27], off
	s_waitcnt vmcnt(0)
	ds_write_b128 v196, v[26:29]
.LBB52_52:                              ;   in Loop: Header=BB52_24 Depth=1
	s_or_b64 exec, exec, s[16:17]
	v_add_u32_e32 v202, 0x3800, v164
	s_waitcnt lgkmcnt(0)
	s_barrier
	ds_read2_b64 v[102:105], v202 offset1:20
	ds_read_b128 v[110:113], v194
	ds_read_b128 v[106:109], v194 offset:16
	ds_read_b128 v[98:101], v194 offset:32
	ds_read_b128 v[90:93], v194 offset:48
	ds_read2_b64 v[94:97], v202 offset0:40 offset1:60
	ds_read2_b64 v[78:81], v202 offset0:80 offset1:100
	ds_read_b128 v[86:89], v194 offset:64
	ds_read_b128 v[82:85], v194 offset:80
	ds_read2_b64 v[66:69], v202 offset0:120 offset1:140
	ds_read_b128 v[74:77], v194 offset:96
	ds_read_b128 v[70:73], v194 offset:112
	;; [unrolled: 3-line block ×4, first 2 shown]
	v_add_u32_e32 v201, 0x3c00, v164
	v_add_u32_e32 v200, 0x4000, v164
	v_pk_add_f32 v[140:141], v[18:19], v[10:11] neg_lo:[0,1] neg_hi:[0,1]
	v_pk_add_f32 v[142:143], v[24:25], v[12:13] neg_lo:[0,1] neg_hi:[0,1]
	;; [unrolled: 1-line block ×4, first 2 shown]
	ds_read2_b64 v[30:33], v201 offset0:112 offset1:132
	ds_read_b128 v[38:41], v194 offset:192
	ds_read_b128 v[34:37], v194 offset:208
	ds_read2_b64 v[18:21], v200 offset0:24 offset1:44
	ds_read_b128 v[26:29], v194 offset:224
	ds_read_b128 v[22:25], v194 offset:240
	s_or_b32 s68, s74, 16
	s_mul_hi_i32 s69, s68, s4
	s_mul_i32 s68, s68, s4
	s_lshl_b64 s[68:69], s[68:69], 2
	s_add_u32 s68, s65, s68
	v_cmp_ngt_f32_e64 s[42:43], s81, v141
	v_cmp_nlt_f32_e64 s[44:45], s82, v141
	v_cmp_ngt_f32_e64 s[38:39], s81, v140
	v_cmp_nlt_f32_e64 s[40:41], s82, v140
	;; [unrolled: 2-line block ×7, first 2 shown]
	v_cmp_ngt_f32_e32 vcc, s81, v146
	v_cmp_nlt_f32_e64 s[14:15], s82, v146
	s_addc_u32 s69, s73, s69
	s_waitcnt lgkmcnt(0)
	s_barrier
	s_and_saveexec_b64 s[70:71], s[10:11]
	s_cbranch_execz .LBB52_54
; %bb.53:                               ;   in Loop: Header=BB52_24 Depth=1
	v_lshl_add_u64 v[204:205], v[128:129], 2, s[68:69]
	v_mov_b32_e32 v149, v123
	v_lshl_add_u64 v[148:149], v[204:205], 0, v[148:149]
	global_load_dwordx4 v[204:207], v[148:149], off offset:128
	s_waitcnt vmcnt(0)
	ds_write_b128 v195, v[204:207]
.LBB52_54:                              ;   in Loop: Header=BB52_24 Depth=1
	s_or_b64 exec, exec, s[70:71]
	s_and_saveexec_b64 s[70:71], s[12:13]
	s_cbranch_execz .LBB52_56
; %bb.55:                               ;   in Loop: Header=BB52_24 Depth=1
	v_lshl_add_u64 v[148:149], v[130:131], 2, s[68:69]
	v_mov_b32_e32 v151, v123
	v_lshl_add_u64 v[148:149], v[148:149], 0, v[150:151]
	global_load_dwordx4 v[148:151], v[148:149], off
	s_waitcnt vmcnt(0)
	ds_write_b128 v196, v[148:151]
.LBB52_56:                              ;   in Loop: Header=BB52_24 Depth=1
	s_or_b64 exec, exec, s[70:71]
	v_mul_f32_e32 v148, 0x3fb8aa3b, v141
	v_fma_f32 v149, v141, s80, -v148
	v_fmac_f32_e32 v149, 0x32a5705f, v141
	v_rndne_f32_e32 v141, v148
	v_sub_f32_e32 v148, v148, v141
	v_add_f32_e32 v148, v148, v149
	v_mul_f32_e32 v149, 0x3fb8aa3b, v140
	v_fma_f32 v150, v140, s80, -v149
	v_fmac_f32_e32 v150, 0x32a5705f, v140
	v_rndne_f32_e32 v140, v149
	v_sub_f32_e32 v149, v149, v140
	v_exp_f32_e32 v148, v148
	v_cvt_i32_f32_e32 v141, v141
	v_add_f32_e32 v149, v149, v150
	v_exp_f32_e32 v149, v149
	v_cvt_i32_f32_e32 v140, v140
	v_ldexp_f32 v141, v148, v141
	v_mul_f32_e32 v148, 0x3fb8aa3b, v143
	v_cndmask_b32_e64 v141, 0, v141, s[42:43]
	v_ldexp_f32 v140, v149, v140
	v_fma_f32 v149, v143, s80, -v148
	v_fmac_f32_e32 v149, 0x32a5705f, v143
	v_rndne_f32_e32 v143, v148
	v_sub_f32_e32 v148, v148, v143
	v_add_f32_e32 v148, v148, v149
	v_mul_f32_e32 v149, 0x3fb8aa3b, v142
	v_fma_f32 v150, v142, s80, -v149
	v_fmac_f32_e32 v150, 0x32a5705f, v142
	v_rndne_f32_e32 v142, v149
	v_sub_f32_e32 v149, v149, v142
	v_exp_f32_e32 v148, v148
	v_cvt_i32_f32_e32 v143, v143
	v_add_f32_e32 v149, v149, v150
	v_exp_f32_e32 v149, v149
	v_cvt_i32_f32_e32 v142, v142
	v_ldexp_f32 v143, v148, v143
	v_mul_f32_e32 v148, 0x3fb8aa3b, v145
	v_cndmask_b32_e64 v141, v199, v141, s[44:45]
	v_ldexp_f32 v142, v149, v142
	;; [unrolled: 19-line block ×3, first 2 shown]
	v_fma_f32 v149, v147, s80, -v148
	v_fmac_f32_e32 v149, 0x32a5705f, v147
	v_rndne_f32_e32 v147, v148
	v_sub_f32_e32 v148, v148, v147
	v_add_f32_e32 v148, v148, v149
	v_mul_f32_e32 v149, 0x3fb8aa3b, v146
	v_fma_f32 v150, v146, s80, -v149
	v_fmac_f32_e32 v150, 0x32a5705f, v146
	v_rndne_f32_e32 v146, v149
	v_sub_f32_e32 v149, v149, v146
	v_add_f32_e32 v149, v149, v150
	v_exp_f32_e32 v149, v149
	v_cvt_i32_f32_e32 v146, v146
	v_cndmask_b32_e64 v142, v199, v142, s[30:31]
	v_exp_f32_e32 v148, v148
	v_cvt_i32_f32_e32 v147, v147
	v_ldexp_f32 v146, v149, v146
	v_cvt_f16_f32_e32 v149, v141
	v_cvt_f16_f32_e32 v151, v142
	v_cndmask_b32_e64 v140, 0, v140, s[38:39]
	v_cndmask_b32_e64 v143, 0, v143, s[34:35]
	;; [unrolled: 1-line block ×6, first 2 shown]
	v_ldexp_f32 v147, v148, v147
	v_cvt_f16_f32_e32 v148, v140
	v_pk_mul_f16 v175, v149, v175 op_sel_hi:[0,1]
	v_pk_mul_f16 v149, v149, v176 op_sel_hi:[0,1]
	v_cvt_f16_f32_e32 v176, v143
	v_pk_mul_f16 v173, v151, v173 op_sel_hi:[0,1]
	v_pk_mul_f16 v151, v151, v174 op_sel_hi:[0,1]
	v_cvt_f16_f32_e32 v174, v144
	v_cndmask_b32_e64 v145, 0, v145, s[24:25]
	v_cndmask_b32_e64 v147, 0, v147, s[16:17]
	v_cndmask_b32_e32 v146, 0, v146, vcc
	v_cndmask_b32_e64 v145, v199, v145, s[26:27]
	v_cndmask_b32_e64 v147, v199, v147, s[18:19]
	;; [unrolled: 1-line block ×3, first 2 shown]
	v_pk_mul_f16 v150, v148, v177 op_sel_hi:[0,1]
	v_pk_mul_f16 v171, v176, v171 op_sel_hi:[0,1]
	;; [unrolled: 1-line block ×3, first 2 shown]
	v_cvt_f16_f32_e32 v176, v145
	v_pk_mul_f16 v169, v174, v169 op_sel_hi:[0,1]
	v_pk_mul_f16 v170, v174, v170 op_sel_hi:[0,1]
	v_cvt_f16_f32_e32 v174, v146
	v_cvt_f16_f32_e32 v177, v147
	v_pk_mul_f16 v148, v148, v178 op_sel_hi:[0,1]
	v_pk_mul_f16 v167, v176, v167 op_sel_hi:[0,1]
	;; [unrolled: 1-line block ×7, first 2 shown]
	v_pk_fma_f16 v150, v102, v110, v150 op_sel_hi:[1,0,1]
	v_pk_fma_f16 v174, v102, v110, v175 op_sel:[0,1,0]
	v_pk_fma_f16 v173, v102, v111, v173 op_sel_hi:[1,0,1]
	v_pk_fma_f16 v171, v102, v111, v171 op_sel:[0,1,0]
	;; [unrolled: 2-line block ×128, first 2 shown]
	s_waitcnt lgkmcnt(0)
	s_barrier
	ds_read2_b64 v[18:21], v202 offset1:20
	ds_read_b128 v[22:25], v194 offset:256
	ds_read_b128 v[26:29], v194 offset:272
	;; [unrolled: 1-line block ×4, first 2 shown]
	v_pk_fma_f32 v[2:3], v[2:3], v[140:141], v[132:133]
	v_pk_fma_f32 v[4:5], v[4:5], v[142:143], v[134:135]
	;; [unrolled: 1-line block ×3, first 2 shown]
	s_waitcnt lgkmcnt(3)
	v_pk_fma_f16 v38, v18, v22, v38 op_sel_hi:[1,0,1]
	v_pk_fma_f16 v39, v18, v22, v39 op_sel:[0,1,0]
	v_pk_fma_f16 v40, v18, v23, v40 op_sel_hi:[1,0,1]
	v_pk_fma_f16 v41, v18, v23, v41 op_sel:[0,1,0]
	v_pk_fma_f16 v42, v18, v24, v42 op_sel_hi:[1,0,1]
	v_pk_fma_f16 v43, v18, v24, v43 op_sel:[0,1,0]
	v_pk_fma_f16 v44, v18, v25, v44 op_sel_hi:[1,0,1]
	v_pk_fma_f16 v18, v18, v25, v45 op_sel:[0,1,0]
	v_pk_fma_f16 v45, v19, v22, v46 op_sel_hi:[1,0,1]
	v_pk_fma_f16 v22, v19, v22, v47 op_sel:[0,1,0]
	v_pk_fma_f16 v46, v19, v23, v48 op_sel_hi:[1,0,1]
	v_pk_fma_f16 v23, v19, v23, v49 op_sel:[0,1,0]
	v_pk_fma_f16 v47, v19, v24, v50 op_sel_hi:[1,0,1]
	v_pk_fma_f16 v48, v19, v24, v51 op_sel:[0,1,0]
	v_pk_fma_f16 v49, v19, v25, v52 op_sel_hi:[1,0,1]
	v_pk_fma_f16 v19, v19, v25, v53 op_sel:[0,1,0]
	s_waitcnt lgkmcnt(2)
	v_pk_fma_f16 v38, v20, v26, v38 op_sel_hi:[1,0,1]
	v_pk_fma_f16 v39, v20, v26, v39 op_sel:[0,1,0]
	v_pk_fma_f16 v40, v20, v27, v40 op_sel_hi:[1,0,1]
	v_pk_fma_f16 v41, v20, v27, v41 op_sel:[0,1,0]
	;; [unrolled: 2-line block ×6, first 2 shown]
	ds_read2_b64 v[22:25], v202 offset0:40 offset1:60
	v_pk_fma_f16 v46, v21, v28, v47 op_sel_hi:[1,0,1]
	v_pk_fma_f16 v28, v21, v28, v48 op_sel:[0,1,0]
	v_pk_fma_f16 v47, v21, v29, v49 op_sel_hi:[1,0,1]
	v_pk_fma_f16 v19, v21, v29, v19 op_sel:[0,1,0]
	s_waitcnt lgkmcnt(0)
	v_pk_fma_f16 v21, v22, v30, v38 op_sel_hi:[1,0,1]
	v_pk_fma_f16 v29, v22, v30, v39 op_sel:[0,1,0]
	v_pk_fma_f16 v38, v22, v31, v40 op_sel_hi:[1,0,1]
	v_pk_fma_f16 v39, v22, v31, v41 op_sel:[0,1,0]
	;; [unrolled: 2-line block ×10, first 2 shown]
	v_pk_fma_f16 v44, v24, v37, v18 op_sel:[0,1,0]
	v_pk_fma_f16 v45, v25, v34, v20 op_sel_hi:[1,0,1]
	v_pk_fma_f16 v46, v25, v35, v26 op_sel_hi:[1,0,1]
	v_pk_fma_f16 v35, v25, v35, v27 op_sel:[0,1,0]
	ds_read2_b64 v[18:21], v202 offset0:80 offset1:100
	ds_read_b128 v[26:29], v194 offset:320
	v_pk_fma_f16 v40, v24, v36, v40 op_sel_hi:[1,0,1]
	v_pk_fma_f16 v41, v24, v36, v41 op_sel:[0,1,0]
	v_pk_fma_f16 v42, v24, v37, v42 op_sel_hi:[1,0,1]
	v_pk_fma_f16 v34, v25, v34, v22 op_sel:[0,1,0]
	;; [unrolled: 2-line block ×4, first 2 shown]
	ds_read_b128 v[22:25], v194 offset:336
	s_waitcnt lgkmcnt(1)
	v_pk_fma_f16 v33, v18, v26, v33 op_sel_hi:[1,0,1]
	v_pk_fma_f16 v37, v18, v26, v43 op_sel:[0,1,0]
	v_pk_fma_f16 v38, v18, v27, v38 op_sel_hi:[1,0,1]
	v_pk_fma_f16 v39, v18, v27, v39 op_sel:[0,1,0]
	;; [unrolled: 2-line block ×4, first 2 shown]
	v_pk_fma_f16 v30, v19, v28, v30 op_sel_hi:[1,0,1]
	v_pk_fma_f16 v40, v18, v28, v40 op_sel_hi:[1,0,1]
	v_pk_fma_f16 v41, v18, v28, v41 op_sel:[0,1,0]
	v_pk_fma_f16 v42, v18, v29, v42 op_sel_hi:[1,0,1]
	v_pk_fma_f16 v18, v18, v29, v44 op_sel:[0,1,0]
	v_pk_fma_f16 v35, v19, v28, v31 op_sel:[0,1,0]
	v_pk_fma_f16 v44, v19, v29, v32 op_sel_hi:[1,0,1]
	v_pk_fma_f16 v19, v19, v29, v36 op_sel:[0,1,0]
	s_waitcnt lgkmcnt(0)
	v_pk_fma_f16 v36, v20, v22, v33 op_sel_hi:[1,0,1]
	v_pk_fma_f16 v37, v20, v22, v37 op_sel:[0,1,0]
	v_pk_fma_f16 v38, v20, v23, v38 op_sel_hi:[1,0,1]
	v_pk_fma_f16 v39, v20, v23, v39 op_sel:[0,1,0]
	;; [unrolled: 2-line block ×4, first 2 shown]
	v_pk_fma_f16 v46, v21, v24, v30 op_sel_hi:[1,0,1]
	ds_read2_b64 v[26:29], v202 offset0:120 offset1:140
	ds_read_b128 v[30:33], v194 offset:352
	v_pk_fma_f16 v40, v20, v24, v40 op_sel_hi:[1,0,1]
	v_pk_fma_f16 v41, v20, v24, v41 op_sel:[0,1,0]
	v_pk_fma_f16 v42, v20, v25, v42 op_sel_hi:[1,0,1]
	v_pk_fma_f16 v45, v20, v25, v18 op_sel:[0,1,0]
	v_pk_fma_f16 v24, v21, v24, v35 op_sel:[0,1,0]
	v_pk_fma_f16 v35, v21, v25, v44 op_sel_hi:[1,0,1]
	v_pk_fma_f16 v25, v21, v25, v19 op_sel:[0,1,0]
	ds_read_b128 v[18:21], v194 offset:368
	s_waitcnt lgkmcnt(1)
	v_pk_fma_f16 v36, v26, v30, v36 op_sel_hi:[1,0,1]
	v_pk_fma_f16 v37, v26, v30, v37 op_sel:[0,1,0]
	v_pk_fma_f16 v38, v26, v31, v38 op_sel_hi:[1,0,1]
	v_pk_fma_f16 v39, v26, v31, v39 op_sel:[0,1,0]
	;; [unrolled: 2-line block ×8, first 2 shown]
	s_waitcnt lgkmcnt(0)
	v_pk_fma_f16 v36, v28, v18, v36 op_sel_hi:[1,0,1]
	v_pk_fma_f16 v37, v28, v18, v37 op_sel:[0,1,0]
	v_pk_fma_f16 v38, v28, v19, v38 op_sel_hi:[1,0,1]
	v_pk_fma_f16 v39, v28, v19, v39 op_sel:[0,1,0]
	;; [unrolled: 2-line block ×6, first 2 shown]
	v_pk_fma_f16 v46, v29, v20, v31 op_sel_hi:[1,0,1]
	ds_read2_b64 v[22:25], v202 offset0:160 offset1:180
	ds_read_b128 v[30:33], v194 offset:384
	v_pk_fma_f16 v34, v29, v20, v34 op_sel:[0,1,0]
	v_pk_fma_f16 v35, v29, v21, v35 op_sel_hi:[1,0,1]
	v_pk_fma_f16 v27, v29, v21, v27 op_sel:[0,1,0]
	ds_read_b128 v[18:21], v194 offset:400
	s_waitcnt lgkmcnt(1)
	v_pk_fma_f16 v29, v22, v30, v36 op_sel_hi:[1,0,1]
	v_pk_fma_f16 v36, v22, v30, v37 op_sel:[0,1,0]
	v_pk_fma_f16 v37, v22, v31, v38 op_sel_hi:[1,0,1]
	v_pk_fma_f16 v38, v22, v31, v39 op_sel:[0,1,0]
	;; [unrolled: 2-line block ×8, first 2 shown]
	s_waitcnt lgkmcnt(0)
	v_pk_fma_f16 v43, v24, v18, v29 op_sel_hi:[1,0,1]
	v_pk_fma_f16 v36, v24, v18, v36 op_sel:[0,1,0]
	v_pk_fma_f16 v37, v24, v19, v37 op_sel_hi:[1,0,1]
	v_pk_fma_f16 v38, v24, v19, v38 op_sel:[0,1,0]
	;; [unrolled: 2-line block ×6, first 2 shown]
	ds_read2_b64 v[26:29], v202 offset0:200 offset1:220
	ds_read_b128 v[30:33], v194 offset:416
	v_pk_fma_f16 v42, v25, v20, v42 op_sel_hi:[1,0,1]
	v_pk_fma_f16 v34, v25, v20, v34 op_sel:[0,1,0]
	v_pk_fma_f16 v35, v25, v21, v35 op_sel_hi:[1,0,1]
	v_pk_fma_f16 v23, v25, v21, v23 op_sel:[0,1,0]
	ds_read_b128 v[18:21], v194 offset:432
	s_waitcnt lgkmcnt(1)
	v_pk_fma_f16 v25, v26, v30, v43 op_sel_hi:[1,0,1]
	v_pk_fma_f16 v36, v26, v30, v36 op_sel:[0,1,0]
	v_pk_fma_f16 v37, v26, v31, v37 op_sel_hi:[1,0,1]
	v_pk_fma_f16 v38, v26, v31, v38 op_sel:[0,1,0]
	;; [unrolled: 2-line block ×8, first 2 shown]
	s_waitcnt lgkmcnt(0)
	v_pk_fma_f16 v43, v28, v18, v25 op_sel_hi:[1,0,1]
	v_pk_fma_f16 v36, v28, v18, v36 op_sel:[0,1,0]
	v_pk_fma_f16 v37, v28, v19, v37 op_sel_hi:[1,0,1]
	v_pk_fma_f16 v38, v28, v19, v38 op_sel:[0,1,0]
	;; [unrolled: 2-line block ×4, first 2 shown]
	v_pk_fma_f16 v44, v29, v18, v24 op_sel_hi:[1,0,1]
	v_pk_fma_f16 v45, v29, v19, v30 op_sel_hi:[1,0,1]
	v_pk_fma_f16 v46, v29, v19, v31 op_sel:[0,1,0]
	ds_read2_b64 v[22:25], v201 offset0:112 offset1:132
	ds_read_b128 v[30:33], v194 offset:448
	v_pk_fma_f16 v26, v29, v18, v26 op_sel:[0,1,0]
	v_pk_fma_f16 v42, v29, v20, v42 op_sel_hi:[1,0,1]
	v_pk_fma_f16 v34, v29, v20, v34 op_sel:[0,1,0]
	v_pk_fma_f16 v35, v29, v21, v35 op_sel_hi:[1,0,1]
	v_pk_fma_f16 v27, v29, v21, v27 op_sel:[0,1,0]
	ds_read_b128 v[18:21], v194 offset:464
	s_waitcnt lgkmcnt(1)
	v_pk_fma_f16 v29, v22, v30, v43 op_sel_hi:[1,0,1]
	v_pk_fma_f16 v36, v22, v30, v36 op_sel:[0,1,0]
	v_pk_fma_f16 v37, v22, v31, v37 op_sel_hi:[1,0,1]
	v_pk_fma_f16 v38, v22, v31, v38 op_sel:[0,1,0]
	;; [unrolled: 2-line block ×8, first 2 shown]
	s_waitcnt lgkmcnt(0)
	v_pk_fma_f16 v43, v24, v18, v29 op_sel_hi:[1,0,1]
	v_pk_fma_f16 v36, v24, v18, v36 op_sel:[0,1,0]
	v_pk_fma_f16 v37, v24, v19, v37 op_sel_hi:[1,0,1]
	v_pk_fma_f16 v38, v24, v19, v38 op_sel:[0,1,0]
	;; [unrolled: 2-line block ×6, first 2 shown]
	v_pk_fma_f16 v42, v25, v20, v42 op_sel_hi:[1,0,1]
	ds_read2_b64 v[26:29], v200 offset0:24 offset1:44
	ds_read_b128 v[30:33], v194 offset:480
	v_pk_fma_f16 v34, v25, v20, v34 op_sel:[0,1,0]
	v_pk_fma_f16 v35, v25, v21, v35 op_sel_hi:[1,0,1]
	v_pk_fma_f16 v23, v25, v21, v23 op_sel:[0,1,0]
	ds_read_b128 v[18:21], v194 offset:496
	s_waitcnt lgkmcnt(0)
	s_barrier
	s_load_dword s14, s[66:67], 0x4
	v_pk_fma_f16 v25, v26, v30, v43 op_sel_hi:[1,0,1]
	v_pk_fma_f16 v36, v26, v30, v36 op_sel:[0,1,0]
	v_pk_fma_f16 v37, v26, v31, v37 op_sel_hi:[1,0,1]
	v_pk_fma_f16 v38, v26, v31, v38 op_sel:[0,1,0]
	s_waitcnt lgkmcnt(0)
	s_lshl_b32 s14, s14, 5
	v_pk_fma_f16 v39, v26, v32, v39 op_sel_hi:[1,0,1]
	v_pk_fma_f16 v40, v26, v32, v40 op_sel:[0,1,0]
	v_pk_fma_f16 v41, v26, v33, v41 op_sel_hi:[1,0,1]
	v_pk_fma_f16 v22, v26, v33, v22 op_sel:[0,1,0]
	v_pk_fma_f16 v24, v27, v30, v24 op_sel_hi:[1,0,1]
	v_pk_fma_f16 v26, v27, v30, v44 op_sel:[0,1,0]
	v_pk_fma_f16 v30, v27, v31, v45 op_sel_hi:[1,0,1]
	v_pk_fma_f16 v31, v27, v31, v46 op_sel:[0,1,0]
	v_pk_fma_f16 v42, v27, v32, v42 op_sel_hi:[1,0,1]
	v_pk_fma_f16 v32, v27, v32, v34 op_sel:[0,1,0]
	v_pk_fma_f16 v34, v27, v33, v35 op_sel_hi:[1,0,1]
	v_pk_fma_f16 v23, v27, v33, v23 op_sel:[0,1,0]
	s_add_i32 s74, s14, s74
	v_pk_fma_f32 v[8:9], v[8:9], v[146:147], v[138:139]
	v_pk_fma_f16 v177, v28, v18, v25 op_sel_hi:[1,0,1]
	v_pk_fma_f16 v175, v28, v18, v36 op_sel:[0,1,0]
	v_pk_fma_f16 v173, v28, v19, v37 op_sel_hi:[1,0,1]
	v_pk_fma_f16 v171, v28, v19, v38 op_sel:[0,1,0]
	;; [unrolled: 2-line block ×7, first 2 shown]
	v_pk_fma_f16 v166, v29, v21, v34 op_sel_hi:[1,0,1]
	s_cmp_lt_i32 s74, s79
	v_pk_fma_f16 v163, v29, v21, v23 op_sel:[0,1,0]
	s_cbranch_scc0 .LBB52_59
; %bb.57:                               ;   in Loop: Header=BB52_24 Depth=1
	v_mov_b32_e32 v18, v10
	v_mov_b32_e32 v19, v11
	;; [unrolled: 1-line block ×8, first 2 shown]
	s_branch .LBB52_24
.LBB52_58:
	s_mov_b32 s14, s8
	s_mov_b32 s15, s8
	s_mov_b32 s9, s8
	s_mov_b32 s10, s8
	s_mov_b32 s11, s8
	s_mov_b32 s12, s8
	s_mov_b32 s13, s8
	v_mov_b64_e32 v[16:17], s[14:15]
	v_mov_b64_e32 v[14:15], s[12:13]
	v_mov_b64_e32 v[12:13], s[10:11]
	v_mov_b64_e32 v[10:11], s[8:9]
	v_mov_b32_e32 v8, v9
	v_mov_b32_e32 v7, v9
	;; [unrolled: 1-line block ×22, first 2 shown]
.LBB52_59:
	s_cmp_gt_i32 s64, s74
	s_cbranch_scc1 .LBB52_61
; %bb.60:
	v_mbcnt_hi_u32_b32 v130, -1, v180
	v_and_b32_e32 v18, 0x60, v130
	v_mov_b64_e32 v[38:39], v[8:9]
	v_add_u32_e32 v131, 32, v18
	v_xor_b32_e32 v133, 16, v130
	v_xor_b32_e32 v136, 8, v130
	;; [unrolled: 1-line block ×5, first 2 shown]
	v_mov_b64_e32 v[36:37], v[6:7]
	v_mov_b64_e32 v[34:35], v[4:5]
	;; [unrolled: 1-line block ×3, first 2 shown]
	s_cbranch_execz .LBB52_62
	s_branch .LBB52_119
.LBB52_61:
                                        ; implicit-def: $vgpr130
                                        ; implicit-def: $vgpr131
                                        ; implicit-def: $vgpr133
                                        ; implicit-def: $vgpr136
                                        ; implicit-def: $vgpr134
                                        ; implicit-def: $vgpr135
                                        ; implicit-def: $vgpr132
                                        ; implicit-def: $vgpr32_vgpr33_vgpr34_vgpr35_vgpr36_vgpr37_vgpr38_vgpr39
.LBB52_62:
	s_mul_hi_i32 s7, s74, s76
	s_mul_i32 s6, s74, s76
	s_sub_i32 s28, s64, s74
	s_lshl_b64 s[6:7], s[6:7], 2
	s_movk_i32 s8, 0x60
	v_mov_b32_e32 v18, 0x3840
	s_add_u32 s14, s77, s6
	v_mad_u32_u24 v33, v181, s8, v18
	v_mul_lo_u32 v18, s76, v181
	s_addc_u32 s15, s78, s7
	v_ashrrev_i32_e32 v19, 31, v18
	v_cmp_gt_u32_e64 s[6:7], 32, v181
	s_mov_b64 s[12:13], src_private_base
	v_cmp_gt_i32_e32 vcc, s28, v181
	v_lshl_add_u64 v[24:25], v[18:19], 2, s[14:15]
	s_and_saveexec_b64 s[8:9], s[6:7]
	s_cbranch_execz .LBB52_64
; %bb.63:
	v_mov_b32_e32 v18, 0
	v_mov_b32_e32 v19, v18
	v_mov_b32_e32 v20, v18
	scratch_store_dword off, v18, off
	scratch_store_dwordx3 off, v[18:20], off offset:4
	s_nop 1
	v_lshl_add_u64 v[18:19], v[24:25], 0, 64
	v_mov_b32_e32 v20, s13
	v_cndmask_b32_e32 v19, v20, v19, vcc
	v_mov_b32_e32 v20, 0
	v_cndmask_b32_e32 v18, v20, v18, vcc
	flat_load_dwordx4 v[18:21], v[18:19]
	s_waitcnt vmcnt(0) lgkmcnt(0)
	ds_write_b128 v33, v[18:21]
.LBB52_64:
	s_or_b64 exec, exec, s[8:9]
	v_add_u32_e32 v1, v160, v1
	v_mul_lo_u32 v20, s76, v1
	v_mul_u32_u24_e32 v18, 0x60, v1
	v_lshlrev_b32_e32 v26, 2, v118
	s_movk_i32 s8, 0x3800
	v_ashrrev_i32_e32 v21, 31, v20
	v_cmp_gt_u32_e64 s[10:11], 32, v1
	v_mov_b32_e32 v19, 0
	v_add3_u32 v34, v18, v26, s8
	v_cmp_gt_i32_e64 s[8:9], s28, v1
	v_lshl_add_u64 v[28:29], v[20:21], 2, s[14:15]
	s_and_saveexec_b64 s[14:15], s[10:11]
	s_cbranch_execz .LBB52_66
; %bb.65:
	v_mov_b32_e32 v20, v19
	v_mov_b32_e32 v21, v19
	;; [unrolled: 1-line block ×4, first 2 shown]
	scratch_store_dwordx3 off, v[20:22], off offset:4
	v_mov_b32_e32 v1, s13
	scratch_store_dword off, v19, off
	v_lshl_add_u64 v[20:21], v[28:29], 0, v[26:27]
	v_cndmask_b32_e64 v21, v1, v21, s[8:9]
	v_mov_b32_e32 v1, 0
	v_cndmask_b32_e64 v20, v1, v20, s[8:9]
	flat_load_dwordx4 v[20:23], v[20:21]
	s_waitcnt vmcnt(0) lgkmcnt(0)
	ds_write_b128 v34, v[20:23]
.LBB52_66:
	s_or_b64 exec, exec, s[14:15]
	v_mul_u32_u24_e32 v31, 0x60, v157
	v_mov_b32_e32 v32, 0
	v_mul_u32_u24_e32 v30, 0x500, v115
	s_waitcnt lgkmcnt(0)
	s_barrier
	ds_read_b128 v[36:39], v31 offset:14336
	ds_read_b128 v[20:23], v30
	ds_read_b128 v[40:43], v30 offset:160
	ds_read_b128 v[44:47], v30 offset:320
	;; [unrolled: 1-line block ×7, first 2 shown]
	s_waitcnt lgkmcnt(7)
	;;#ASMSTART
	v_dot2_f32_f16 v32, v36, v20, v32
	;;#ASMEND
	v_mov_b32_e32 v1, 0
	;;#ASMSTART
	v_dot2_f32_f16 v32, v37, v21, v32
	;;#ASMEND
	v_mov_b32_e32 v20, 0
	;; [unrolled: 4-line block ×3, first 2 shown]
	;;#ASMSTART
	v_dot2_f32_f16 v32, v39, v23, v32
	;;#ASMEND
	s_waitcnt lgkmcnt(6)
	;;#ASMSTART
	v_dot2_f32_f16 v1, v36, v40, v1
	;;#ASMEND
	v_mov_b32_e32 v23, 0
	;;#ASMSTART
	v_dot2_f32_f16 v1, v37, v41, v1
	;;#ASMEND
	v_mov_b32_e32 v21, 0
	;; [unrolled: 4-line block ×3, first 2 shown]
	;;#ASMSTART
	v_dot2_f32_f16 v1, v39, v43, v1
	;;#ASMEND
	s_waitcnt lgkmcnt(5)
	;;#ASMSTART
	v_dot2_f32_f16 v22, v36, v44, v22
	;;#ASMEND
	s_nop 0
	;;#ASMSTART
	v_dot2_f32_f16 v22, v37, v45, v22
	;;#ASMEND
	s_nop 0
	;;#ASMSTART
	v_dot2_f32_f16 v22, v38, v46, v22
	;;#ASMEND
	s_nop 0
	;;#ASMSTART
	v_dot2_f32_f16 v22, v39, v47, v22
	;;#ASMEND
	s_waitcnt lgkmcnt(4)
	;;#ASMSTART
	v_dot2_f32_f16 v23, v36, v48, v23
	;;#ASMEND
	s_nop 0
	;;#ASMSTART
	v_dot2_f32_f16 v23, v37, v49, v23
	;;#ASMEND
	s_nop 0
	;;#ASMSTART
	v_dot2_f32_f16 v23, v38, v50, v23
	;;#ASMEND
	s_nop 0
	;; [unrolled: 16-line block ×6, first 2 shown]
	;;#ASMSTART
	v_dot2_f32_f16 v19, v39, v67, v19
	;;#ASMEND
	ds_read_b128 v[36:39], v31 offset:14352
	ds_read_b128 v[40:43], v30 offset:16
	;; [unrolled: 1-line block ×9, first 2 shown]
	s_waitcnt lgkmcnt(7)
	;;#ASMSTART
	v_dot2_f32_f16 v32, v36, v40, v32
	;;#ASMEND
	s_nop 0
	;;#ASMSTART
	v_dot2_f32_f16 v32, v37, v41, v32
	;;#ASMEND
	s_nop 0
	;;#ASMSTART
	v_dot2_f32_f16 v32, v38, v42, v32
	;;#ASMEND
	s_nop 0
	;;#ASMSTART
	v_dot2_f32_f16 v32, v39, v43, v32
	;;#ASMEND
	s_waitcnt lgkmcnt(6)
	;;#ASMSTART
	v_dot2_f32_f16 v1, v36, v44, v1
	;;#ASMEND
	s_nop 0
	;;#ASMSTART
	v_dot2_f32_f16 v1, v37, v45, v1
	;;#ASMEND
	s_nop 0
	;;#ASMSTART
	v_dot2_f32_f16 v1, v38, v46, v1
	;;#ASMEND
	s_nop 0
	;;#ASMSTART
	v_dot2_f32_f16 v1, v39, v47, v1
	;;#ASMEND
	;; [unrolled: 16-line block ×8, first 2 shown]
	ds_read_b128 v[36:39], v31 offset:14368
	ds_read_b128 v[40:43], v30 offset:32
	;; [unrolled: 1-line block ×9, first 2 shown]
	s_waitcnt lgkmcnt(7)
	;;#ASMSTART
	v_dot2_f32_f16 v32, v36, v40, v32
	;;#ASMEND
	s_nop 0
	;;#ASMSTART
	v_dot2_f32_f16 v32, v37, v41, v32
	;;#ASMEND
	s_nop 0
	;;#ASMSTART
	v_dot2_f32_f16 v32, v38, v42, v32
	;;#ASMEND
	s_nop 0
	;;#ASMSTART
	v_dot2_f32_f16 v32, v39, v43, v32
	;;#ASMEND
	s_waitcnt lgkmcnt(6)
	;;#ASMSTART
	v_dot2_f32_f16 v1, v36, v44, v1
	;;#ASMEND
	s_nop 0
	;;#ASMSTART
	v_dot2_f32_f16 v1, v37, v45, v1
	;;#ASMEND
	s_nop 0
	;;#ASMSTART
	v_dot2_f32_f16 v1, v38, v46, v1
	;;#ASMEND
	s_nop 0
	;;#ASMSTART
	v_dot2_f32_f16 v1, v39, v47, v1
	;;#ASMEND
	;; [unrolled: 16-line block ×8, first 2 shown]
	ds_read_b128 v[36:39], v31 offset:14384
	ds_read_b128 v[40:43], v30 offset:48
	;; [unrolled: 1-line block ×9, first 2 shown]
	s_waitcnt lgkmcnt(7)
	;;#ASMSTART
	v_dot2_f32_f16 v32, v36, v40, v32
	;;#ASMEND
	s_nop 0
	;;#ASMSTART
	v_dot2_f32_f16 v32, v37, v41, v32
	;;#ASMEND
	s_nop 0
	;;#ASMSTART
	v_dot2_f32_f16 v32, v38, v42, v32
	;;#ASMEND
	s_nop 0
	;;#ASMSTART
	v_dot2_f32_f16 v32, v39, v43, v32
	;;#ASMEND
	s_waitcnt lgkmcnt(6)
	;;#ASMSTART
	v_dot2_f32_f16 v1, v36, v44, v1
	;;#ASMEND
	s_nop 0
	;;#ASMSTART
	v_dot2_f32_f16 v1, v37, v45, v1
	;;#ASMEND
	s_nop 0
	;;#ASMSTART
	v_dot2_f32_f16 v1, v38, v46, v1
	;;#ASMEND
	s_nop 0
	;;#ASMSTART
	v_dot2_f32_f16 v1, v39, v47, v1
	;;#ASMEND
	;; [unrolled: 16-line block ×8, first 2 shown]
	ds_read_b128 v[36:39], v31 offset:14400
	ds_read_b128 v[40:43], v30 offset:64
	;; [unrolled: 1-line block ×9, first 2 shown]
	s_waitcnt lgkmcnt(7)
	;;#ASMSTART
	v_dot2_f32_f16 v32, v36, v40, v32
	;;#ASMEND
	s_nop 0
	;;#ASMSTART
	v_dot2_f32_f16 v32, v37, v41, v32
	;;#ASMEND
	s_nop 0
	;;#ASMSTART
	v_dot2_f32_f16 v32, v38, v42, v32
	;;#ASMEND
	s_nop 0
	;;#ASMSTART
	v_dot2_f32_f16 v32, v39, v43, v32
	;;#ASMEND
	s_waitcnt lgkmcnt(6)
	;;#ASMSTART
	v_dot2_f32_f16 v1, v36, v44, v1
	;;#ASMEND
	s_nop 0
	;;#ASMSTART
	v_dot2_f32_f16 v1, v37, v45, v1
	;;#ASMEND
	s_nop 0
	;;#ASMSTART
	v_dot2_f32_f16 v1, v38, v46, v1
	;;#ASMEND
	s_nop 0
	;;#ASMSTART
	v_dot2_f32_f16 v1, v39, v47, v1
	;;#ASMEND
	;; [unrolled: 16-line block ×8, first 2 shown]
	s_barrier
	s_and_saveexec_b64 s[14:15], s[6:7]
	s_cbranch_execz .LBB52_68
; %bb.67:
	s_mov_b64 s[6:7], 0x90
	v_mov_b32_e32 v36, 0
	v_lshl_add_u64 v[24:25], v[24:25], 0, s[6:7]
	v_mov_b32_e32 v27, s13
	v_mov_b32_e32 v37, v36
	;; [unrolled: 1-line block ×3, first 2 shown]
	v_cndmask_b32_e32 v25, v27, v25, vcc
	v_mov_b32_e32 v27, 0
	scratch_store_dword off, v36, off
	scratch_store_dwordx3 off, v[36:38], off offset:4
	v_cndmask_b32_e32 v24, v27, v24, vcc
	flat_load_dwordx4 v[36:39], v[24:25]
	s_waitcnt vmcnt(0) lgkmcnt(0)
	ds_write_b128 v33, v[36:39]
.LBB52_68:
	s_or_b64 exec, exec, s[14:15]
	s_and_saveexec_b64 s[6:7], s[10:11]
	s_cbranch_execz .LBB52_70
; %bb.69:
	v_mov_b32_e32 v36, 0
	v_mov_b32_e32 v27, v36
	v_lshl_add_u64 v[24:25], v[28:29], 0, v[26:27]
	s_mov_b64 s[10:11], 0x50
	v_lshl_add_u64 v[24:25], v[24:25], 0, s[10:11]
	v_mov_b32_e32 v26, s13
	v_mov_b32_e32 v37, v36
	;; [unrolled: 1-line block ×3, first 2 shown]
	v_cndmask_b32_e64 v25, v26, v25, s[8:9]
	v_mov_b32_e32 v26, 0
	scratch_store_dword off, v36, off
	scratch_store_dwordx3 off, v[36:38], off offset:4
	v_cndmask_b32_e64 v24, v26, v24, s[8:9]
	flat_load_dwordx4 v[24:27], v[24:25]
	s_waitcnt vmcnt(0) lgkmcnt(0)
	ds_write_b128 v34, v[24:27]
.LBB52_70:
	s_or_b64 exec, exec, s[6:7]
	s_waitcnt lgkmcnt(0)
	s_barrier
	ds_read_b128 v[24:27], v31 offset:14336
	ds_read_b128 v[34:37], v30 offset:80
	;; [unrolled: 1-line block ×9, first 2 shown]
	s_waitcnt lgkmcnt(7)
	;;#ASMSTART
	v_dot2_f32_f16 v32, v24, v34, v32
	;;#ASMEND
	s_cmp_lg_u64 s[62:63], 0
	;;#ASMSTART
	v_dot2_f32_f16 v32, v25, v35, v32
	;;#ASMEND
	s_cselect_b64 s[8:9], -1, 0
	;;#ASMSTART
	v_dot2_f32_f16 v32, v26, v36, v32
	;;#ASMEND
	v_cmp_gt_i32_e64 s[6:7], s28, v157
	;;#ASMSTART
	v_dot2_f32_f16 v32, v27, v37, v32
	;;#ASMEND
	s_waitcnt lgkmcnt(6)
	;;#ASMSTART
	v_dot2_f32_f16 v1, v24, v38, v1
	;;#ASMEND
	v_mov_b32_e32 v33, v10
	;;#ASMSTART
	v_dot2_f32_f16 v1, v25, v39, v1
	;;#ASMEND
	s_nop 0
	;;#ASMSTART
	v_dot2_f32_f16 v1, v26, v40, v1
	;;#ASMEND
	s_nop 0
	;;#ASMSTART
	v_dot2_f32_f16 v1, v27, v41, v1
	;;#ASMEND
	s_waitcnt lgkmcnt(5)
	;;#ASMSTART
	v_dot2_f32_f16 v22, v24, v42, v22
	;;#ASMEND
	s_nop 0
	;;#ASMSTART
	v_dot2_f32_f16 v22, v25, v43, v22
	;;#ASMEND
	s_nop 0
	;;#ASMSTART
	v_dot2_f32_f16 v22, v26, v44, v22
	;;#ASMEND
	s_nop 0
	;;#ASMSTART
	v_dot2_f32_f16 v22, v27, v45, v22
	;;#ASMEND
	s_waitcnt lgkmcnt(4)
	;;#ASMSTART
	v_dot2_f32_f16 v23, v24, v46, v23
	;;#ASMEND
	s_nop 0
	;; [unrolled: 16-line block ×6, first 2 shown]
	;;#ASMSTART
	v_dot2_f32_f16 v19, v25, v63, v19
	;;#ASMEND
	s_nop 0
	;;#ASMSTART
	v_dot2_f32_f16 v19, v26, v64, v19
	;;#ASMEND
	s_nop 0
	;;#ASMSTART
	v_dot2_f32_f16 v19, v27, v65, v19
	;;#ASMEND
	ds_read_b128 v[24:27], v31 offset:14352
	ds_read_b128 v[34:37], v30 offset:96
	;; [unrolled: 1-line block ×9, first 2 shown]
	s_waitcnt lgkmcnt(7)
	;;#ASMSTART
	v_dot2_f32_f16 v32, v24, v34, v32
	;;#ASMEND
	s_nop 0
	;;#ASMSTART
	v_dot2_f32_f16 v32, v25, v35, v32
	;;#ASMEND
	s_nop 0
	;;#ASMSTART
	v_dot2_f32_f16 v32, v26, v36, v32
	;;#ASMEND
	s_nop 0
	;;#ASMSTART
	v_dot2_f32_f16 v32, v27, v37, v32
	;;#ASMEND
	s_waitcnt lgkmcnt(6)
	;;#ASMSTART
	v_dot2_f32_f16 v1, v24, v38, v1
	;;#ASMEND
	s_nop 0
	;;#ASMSTART
	v_dot2_f32_f16 v1, v25, v39, v1
	;;#ASMEND
	s_nop 0
	;;#ASMSTART
	v_dot2_f32_f16 v1, v26, v40, v1
	;;#ASMEND
	s_nop 0
	;;#ASMSTART
	v_dot2_f32_f16 v1, v27, v41, v1
	;;#ASMEND
	;; [unrolled: 16-line block ×8, first 2 shown]
	ds_read_b128 v[24:27], v31 offset:14368
	ds_read_b128 v[34:37], v30 offset:112
	;; [unrolled: 1-line block ×9, first 2 shown]
	s_waitcnt lgkmcnt(7)
	;;#ASMSTART
	v_dot2_f32_f16 v32, v24, v34, v32
	;;#ASMEND
	s_nop 0
	;;#ASMSTART
	v_dot2_f32_f16 v32, v25, v35, v32
	;;#ASMEND
	s_nop 0
	;;#ASMSTART
	v_dot2_f32_f16 v32, v26, v36, v32
	;;#ASMEND
	s_nop 0
	;;#ASMSTART
	v_dot2_f32_f16 v32, v27, v37, v32
	;;#ASMEND
	s_waitcnt lgkmcnt(6)
	;;#ASMSTART
	v_dot2_f32_f16 v1, v24, v38, v1
	;;#ASMEND
	s_nop 0
	;;#ASMSTART
	v_dot2_f32_f16 v1, v25, v39, v1
	;;#ASMEND
	s_nop 0
	;;#ASMSTART
	v_dot2_f32_f16 v1, v26, v40, v1
	;;#ASMEND
	s_nop 0
	;;#ASMSTART
	v_dot2_f32_f16 v1, v27, v41, v1
	;;#ASMEND
	s_waitcnt lgkmcnt(5)
	;;#ASMSTART
	v_dot2_f32_f16 v22, v24, v42, v22
	;;#ASMEND
	s_nop 0
	;;#ASMSTART
	v_dot2_f32_f16 v22, v25, v43, v22
	;;#ASMEND
	s_nop 0
	;;#ASMSTART
	v_dot2_f32_f16 v22, v26, v44, v22
	;;#ASMEND
	s_nop 0
	;;#ASMSTART
	v_dot2_f32_f16 v22, v27, v45, v22
	;;#ASMEND
	s_waitcnt lgkmcnt(4)
	;;#ASMSTART
	v_dot2_f32_f16 v23, v24, v46, v23
	;;#ASMEND
	s_nop 0
	;;#ASMSTART
	v_dot2_f32_f16 v23, v25, v47, v23
	;;#ASMEND
	s_nop 0
	;;#ASMSTART
	v_dot2_f32_f16 v23, v26, v48, v23
	;;#ASMEND
	s_nop 0
	;;#ASMSTART
	v_dot2_f32_f16 v23, v27, v49, v23
	;;#ASMEND
	s_waitcnt lgkmcnt(3)
	;;#ASMSTART
	v_dot2_f32_f16 v20, v24, v50, v20
	;;#ASMEND
	s_nop 0
	;;#ASMSTART
	v_dot2_f32_f16 v20, v25, v51, v20
	;;#ASMEND
	s_nop 0
	;;#ASMSTART
	v_dot2_f32_f16 v20, v26, v52, v20
	;;#ASMEND
	s_nop 0
	;;#ASMSTART
	v_dot2_f32_f16 v20, v27, v53, v20
	;;#ASMEND
	s_waitcnt lgkmcnt(2)
	;;#ASMSTART
	v_dot2_f32_f16 v21, v24, v54, v21
	;;#ASMEND
	s_nop 0
	;;#ASMSTART
	v_dot2_f32_f16 v21, v25, v55, v21
	;;#ASMEND
	s_nop 0
	;;#ASMSTART
	v_dot2_f32_f16 v21, v26, v56, v21
	;;#ASMEND
	s_nop 0
	;;#ASMSTART
	v_dot2_f32_f16 v21, v27, v57, v21
	;;#ASMEND
	s_waitcnt lgkmcnt(1)
	;;#ASMSTART
	v_dot2_f32_f16 v18, v24, v58, v18
	;;#ASMEND
	s_nop 0
	;;#ASMSTART
	v_dot2_f32_f16 v18, v25, v59, v18
	;;#ASMEND
	s_nop 0
	;;#ASMSTART
	v_dot2_f32_f16 v18, v26, v60, v18
	;;#ASMEND
	s_nop 0
	;;#ASMSTART
	v_dot2_f32_f16 v18, v27, v61, v18
	;;#ASMEND
	s_waitcnt lgkmcnt(0)
	;;#ASMSTART
	v_dot2_f32_f16 v19, v24, v62, v19
	;;#ASMEND
	s_nop 0
	;;#ASMSTART
	v_dot2_f32_f16 v19, v25, v63, v19
	;;#ASMEND
	s_nop 0
	;;#ASMSTART
	v_dot2_f32_f16 v19, v26, v64, v19
	;;#ASMEND
	s_nop 0
	;;#ASMSTART
	v_dot2_f32_f16 v19, v27, v65, v19
	;;#ASMEND
	ds_read_b128 v[24:27], v31 offset:14384
	ds_read_b128 v[34:37], v30 offset:128
	;; [unrolled: 1-line block ×9, first 2 shown]
	s_waitcnt lgkmcnt(7)
	;;#ASMSTART
	v_dot2_f32_f16 v32, v24, v34, v32
	;;#ASMEND
	s_nop 0
	;;#ASMSTART
	v_dot2_f32_f16 v32, v25, v35, v32
	;;#ASMEND
	s_nop 0
	;;#ASMSTART
	v_dot2_f32_f16 v32, v26, v36, v32
	;;#ASMEND
	s_nop 0
	;;#ASMSTART
	v_dot2_f32_f16 v32, v27, v37, v32
	;;#ASMEND
	s_waitcnt lgkmcnt(6)
	;;#ASMSTART
	v_dot2_f32_f16 v1, v24, v38, v1
	;;#ASMEND
	s_nop 0
	;;#ASMSTART
	v_dot2_f32_f16 v1, v25, v39, v1
	;;#ASMEND
	s_nop 0
	;;#ASMSTART
	v_dot2_f32_f16 v1, v26, v40, v1
	;;#ASMEND
	s_nop 0
	;;#ASMSTART
	v_dot2_f32_f16 v1, v27, v41, v1
	;;#ASMEND
	;; [unrolled: 16-line block ×8, first 2 shown]
	ds_read_b128 v[24:27], v31 offset:14400
	ds_read_b128 v[34:37], v30 offset:144
	;; [unrolled: 1-line block ×9, first 2 shown]
	s_waitcnt lgkmcnt(7)
	;;#ASMSTART
	v_dot2_f32_f16 v32, v24, v34, v32
	;;#ASMEND
	v_add_u32_e32 v34, s74, v157
	;;#ASMSTART
	v_dot2_f32_f16 v32, v25, v35, v32
	;;#ASMEND
	s_nop 0
	;;#ASMSTART
	v_dot2_f32_f16 v32, v26, v36, v32
	;;#ASMEND
	s_nop 0
	;;#ASMSTART
	v_dot2_f32_f16 v32, v27, v37, v32
	;;#ASMEND
	s_waitcnt lgkmcnt(6)
	;;#ASMSTART
	v_dot2_f32_f16 v1, v24, v38, v1
	;;#ASMEND
	s_nop 0
	;;#ASMSTART
	v_dot2_f32_f16 v1, v25, v39, v1
	;;#ASMEND
	s_nop 0
	;;#ASMSTART
	v_dot2_f32_f16 v1, v26, v40, v1
	;;#ASMEND
	s_nop 0
	;;#ASMSTART
	v_dot2_f32_f16 v1, v27, v41, v1
	;;#ASMEND
	s_waitcnt lgkmcnt(5)
	;;#ASMSTART
	v_dot2_f32_f16 v22, v24, v42, v22
	;;#ASMEND
	s_nop 0
	;; [unrolled: 16-line block ×6, first 2 shown]
	;;#ASMSTART
	v_dot2_f32_f16 v18, v25, v59, v18
	;;#ASMEND
	s_nop 0
	;;#ASMSTART
	v_dot2_f32_f16 v18, v26, v60, v18
	;;#ASMEND
	s_nop 0
	;;#ASMSTART
	v_dot2_f32_f16 v18, v27, v61, v18
	;;#ASMEND
	s_waitcnt lgkmcnt(0)
	;;#ASMSTART
	v_dot2_f32_f16 v19, v24, v28, v19
	;;#ASMEND
	v_cndmask_b32_e64 v24, 0, 1, s[8:9]
	;;#ASMSTART
	v_dot2_f32_f16 v19, v25, v29, v19
	;;#ASMEND
	v_cmp_ne_u32_e64 s[8:9], 1, v24
	;;#ASMSTART
	v_dot2_f32_f16 v19, v26, v30, v19
	;;#ASMEND
	s_nop 0
	;;#ASMSTART
	v_dot2_f32_f16 v19, v27, v31, v19
	;;#ASMEND
	v_mov_b64_e32 v[30:31], v[16:17]
	v_mov_b64_e32 v[28:29], v[14:15]
	;; [unrolled: 1-line block ×4, first 2 shown]
	s_and_saveexec_b64 s[10:11], s[6:7]
	s_cbranch_execz .LBB52_75
; %bb.71:
	s_and_b64 vcc, exec, s[8:9]
	s_cbranch_vccnz .LBB52_73
; %bb.72:
	v_mul_hi_u32 v24, s56, v161
	v_add_u32_e32 v24, v161, v24
	v_lshrrev_b32_e32 v24, s57, v24
	v_mul_lo_u32 v24, v24, s58
	v_sub_u32_e32 v24, v161, v24
	v_mad_u64_u32 v[24:25], s[12:13], v24, s75, v[34:35]
	v_ashrrev_i32_e32 v25, 31, v24
	v_lshl_add_u64 v[24:25], v[24:25], 1, s[62:63]
	flat_load_ushort v24, v[24:25]
	s_waitcnt vmcnt(0) lgkmcnt(0)
	v_cvt_f32_f16_e32 v24, v24
	v_mul_f32_e32 v24, v117, v24
	s_branch .LBB52_74
.LBB52_73:
	v_mov_b32_e32 v24, 0
.LBB52_74:
	v_add_f32_e32 v32, v32, v24
	v_add_f32_e32 v24, 0x40051340, v32
	v_max_f32_e32 v25, v10, v10
	v_max_f32_e32 v33, v25, v24
	v_mov_b64_e32 v[30:31], v[16:17]
	v_mov_b64_e32 v[28:29], v[14:15]
	;; [unrolled: 1-line block ×4, first 2 shown]
                                        ; kill: def $vgpr24 killed $vgpr33 killed $exec
.LBB52_75:
	s_or_b64 exec, exec, s[10:11]
	v_mbcnt_hi_u32_b32 v130, -1, v180
	v_and_b32_e32 v24, 0x60, v130
	v_add_u32_e32 v131, 32, v24
	v_xor_b32_e32 v133, 16, v130
	v_cmp_lt_i32_e32 vcc, v133, v131
	v_xor_b32_e32 v136, 8, v130
	v_xor_b32_e32 v134, 4, v130
	v_cndmask_b32_e32 v24, v130, v133, vcc
	v_lshlrev_b32_e32 v35, 2, v24
	ds_bpermute_b32 v24, v35, v33
	v_cmp_lt_i32_e32 vcc, v136, v131
	v_max_f32_e32 v33, v33, v33
	v_xor_b32_e32 v135, 2, v130
	v_cndmask_b32_e32 v36, v130, v136, vcc
	s_waitcnt lgkmcnt(0)
	v_max_f32_e32 v24, v24, v24
	v_lshlrev_b32_e32 v38, 2, v36
	v_max_f32_e32 v24, v33, v24
	ds_bpermute_b32 v33, v38, v24
	v_cmp_lt_i32_e32 vcc, v134, v131
	v_xor_b32_e32 v132, 1, v130
	s_waitcnt lgkmcnt(0)
	v_max_f32_e32 v33, v33, v33
	v_cndmask_b32_e32 v36, v130, v134, vcc
	v_lshlrev_b32_e32 v37, 2, v36
	v_max_f32_e32 v24, v24, v33
	ds_bpermute_b32 v33, v37, v24
	v_cmp_lt_i32_e32 vcc, v135, v131
	s_waitcnt lgkmcnt(0)
	v_max_f32_e32 v33, v33, v33
	v_cndmask_b32_e32 v36, v130, v135, vcc
	v_lshlrev_b32_e32 v36, 2, v36
	v_max_f32_e32 v24, v24, v33
	ds_bpermute_b32 v39, v36, v24
	v_cmp_lt_i32_e32 vcc, v132, v131
	s_waitcnt lgkmcnt(0)
	v_max_f32_e32 v39, v39, v39
	v_cndmask_b32_e32 v33, v130, v132, vcc
	v_lshlrev_b32_e32 v33, 2, v33
	v_max_f32_e32 v24, v24, v39
	ds_bpermute_b32 v39, v33, v24
	s_waitcnt lgkmcnt(0)
	v_max_f32_e32 v39, v39, v39
	v_max_f32_e32 v24, v24, v39
	s_and_saveexec_b64 s[10:11], s[6:7]
	s_cbranch_execz .LBB52_80
; %bb.76:
	s_and_b64 vcc, exec, s[8:9]
	s_cbranch_vccnz .LBB52_78
; %bb.77:
	v_or_b32_e32 v39, 1, v161
	v_mul_hi_u32 v40, s56, v39
	v_add_u32_e32 v40, v39, v40
	v_lshrrev_b32_e32 v40, s57, v40
	v_mul_lo_u32 v40, v40, s58
	v_sub_u32_e32 v39, v39, v40
	v_mad_u64_u32 v[40:41], s[12:13], v39, s75, v[34:35]
	v_ashrrev_i32_e32 v41, 31, v40
	v_lshl_add_u64 v[40:41], v[40:41], 1, s[62:63]
	flat_load_ushort v39, v[40:41]
	s_waitcnt vmcnt(0) lgkmcnt(0)
	v_cvt_f32_f16_e32 v39, v39
	v_mul_f32_e32 v39, v117, v39
	s_branch .LBB52_79
.LBB52_78:
	v_mov_b32_e32 v39, 0
.LBB52_79:
	v_add_f32_e32 v1, v1, v39
	v_add_f32_e32 v39, 0x40051340, v1
	v_max_f32_e32 v25, v25, v25
	v_max_f32_e32 v25, v25, v39
.LBB52_80:
	s_or_b64 exec, exec, s[10:11]
	ds_bpermute_b32 v39, v35, v25
	v_max_f32_e32 v25, v25, v25
	s_waitcnt lgkmcnt(0)
	v_max_f32_e32 v39, v39, v39
	v_max_f32_e32 v25, v25, v39
	ds_bpermute_b32 v39, v38, v25
	s_waitcnt lgkmcnt(0)
	v_max_f32_e32 v39, v39, v39
	v_max_f32_e32 v25, v25, v39
	ds_bpermute_b32 v39, v37, v25
	s_waitcnt lgkmcnt(0)
	v_max_f32_e32 v39, v39, v39
	v_max_f32_e32 v25, v25, v39
	ds_bpermute_b32 v39, v36, v25
	s_waitcnt lgkmcnt(0)
	v_max_f32_e32 v39, v39, v39
	v_max_f32_e32 v25, v25, v39
	ds_bpermute_b32 v39, v33, v25
	s_waitcnt lgkmcnt(0)
	v_max_f32_e32 v39, v39, v39
	v_max_f32_e32 v25, v25, v39
	s_and_saveexec_b64 s[10:11], s[6:7]
	s_cbranch_execz .LBB52_85
; %bb.81:
	s_and_b64 vcc, exec, s[8:9]
	s_cbranch_vccnz .LBB52_83
; %bb.82:
	v_or_b32_e32 v39, 2, v161
	v_mul_hi_u32 v40, s56, v39
	v_add_u32_e32 v40, v39, v40
	v_lshrrev_b32_e32 v40, s57, v40
	v_mul_lo_u32 v40, v40, s58
	v_sub_u32_e32 v39, v39, v40
	v_mad_u64_u32 v[40:41], s[12:13], v39, s75, v[34:35]
	v_ashrrev_i32_e32 v41, 31, v40
	v_lshl_add_u64 v[40:41], v[40:41], 1, s[62:63]
	flat_load_ushort v39, v[40:41]
	s_waitcnt vmcnt(0) lgkmcnt(0)
	v_cvt_f32_f16_e32 v39, v39
	v_mul_f32_e32 v39, v117, v39
	s_branch .LBB52_84
.LBB52_83:
	v_mov_b32_e32 v39, 0
.LBB52_84:
	v_add_f32_e32 v22, v22, v39
	v_add_f32_e32 v39, 0x40051340, v22
	v_max_f32_e32 v26, v26, v26
	v_max_f32_e32 v26, v26, v39
.LBB52_85:
	s_or_b64 exec, exec, s[10:11]
	ds_bpermute_b32 v39, v35, v26
	v_max_f32_e32 v26, v26, v26
	s_waitcnt lgkmcnt(0)
	v_max_f32_e32 v39, v39, v39
	v_max_f32_e32 v26, v26, v39
	ds_bpermute_b32 v39, v38, v26
	s_waitcnt lgkmcnt(0)
	v_max_f32_e32 v39, v39, v39
	v_max_f32_e32 v26, v26, v39
	ds_bpermute_b32 v39, v37, v26
	s_waitcnt lgkmcnt(0)
	v_max_f32_e32 v39, v39, v39
	v_max_f32_e32 v26, v26, v39
	ds_bpermute_b32 v39, v36, v26
	s_waitcnt lgkmcnt(0)
	v_max_f32_e32 v39, v39, v39
	;; [unrolled: 50-line block ×6, first 2 shown]
	v_max_f32_e32 v30, v30, v39
	ds_bpermute_b32 v39, v33, v30
	s_waitcnt lgkmcnt(0)
	v_max_f32_e32 v39, v39, v39
	v_max_f32_e32 v30, v30, v39
	s_and_saveexec_b64 s[10:11], s[6:7]
	s_cbranch_execz .LBB52_110
; %bb.106:
	s_and_b64 vcc, exec, s[8:9]
	s_cbranch_vccnz .LBB52_108
; %bb.107:
	v_or_b32_e32 v39, 7, v161
	v_mul_hi_u32 v40, s56, v39
	v_add_u32_e32 v40, v39, v40
	v_lshrrev_b32_e32 v40, s57, v40
	v_mul_lo_u32 v40, v40, s58
	v_sub_u32_e32 v39, v39, v40
	v_mad_u64_u32 v[40:41], s[6:7], v39, s75, v[34:35]
	v_ashrrev_i32_e32 v41, 31, v40
	v_lshl_add_u64 v[40:41], v[40:41], 1, s[62:63]
	flat_load_ushort v34, v[40:41]
	s_waitcnt vmcnt(0) lgkmcnt(0)
	v_cvt_f32_f16_e32 v34, v34
	v_mul_f32_e32 v34, v117, v34
	s_branch .LBB52_109
.LBB52_108:
	v_mov_b32_e32 v34, 0
.LBB52_109:
	v_add_f32_e32 v19, v19, v34
	v_add_f32_e32 v34, 0x40051340, v19
	v_max_f32_e32 v31, v31, v31
	v_max_f32_e32 v31, v31, v34
.LBB52_110:
	s_or_b64 exec, exec, s[10:11]
	ds_bpermute_b32 v34, v35, v31
	v_bfe_u32 v40, v0, 20, 10
	v_max_f32_e32 v0, v31, v31
	v_sub_f32_e32 v32, v32, v24
	s_mov_b32 s8, 0x3fb8aa3b
	s_waitcnt lgkmcnt(0)
	v_max_f32_e32 v31, v34, v34
	v_max_f32_e32 v0, v0, v31
	ds_bpermute_b32 v31, v38, v0
	v_mul_f32_e32 v34, 0x3fb8aa3b, v32
	v_fma_f32 v35, v32, s8, -v34
	v_fmac_f32_e32 v35, 0x32a5705f, v32
	s_mov_b32 s9, 0xc2ce8ed0
	s_waitcnt lgkmcnt(0)
	v_max_f32_e32 v31, v31, v31
	v_max_f32_e32 v0, v0, v31
	ds_bpermute_b32 v31, v37, v0
	v_rndne_f32_e32 v37, v34
	v_sub_f32_e32 v34, v34, v37
	v_add_f32_e32 v34, v34, v35
	v_exp_f32_e32 v34, v34
	s_waitcnt lgkmcnt(0)
	v_max_f32_e32 v31, v31, v31
	v_max_f32_e32 v0, v0, v31
	ds_bpermute_b32 v31, v36, v0
	v_cvt_i32_f32_e32 v36, v37
	v_cmp_ngt_f32_e32 vcc, s9, v32
	s_mov_b32 s10, 0x42b17218
	v_sub_f32_e32 v1, v1, v25
	s_waitcnt lgkmcnt(0)
	v_max_f32_e32 v31, v31, v31
	v_max_f32_e32 v0, v0, v31
	ds_bpermute_b32 v31, v33, v0
	v_ldexp_f32 v33, v34, v36
	v_sub_f32_e32 v22, v22, v26
	v_sub_f32_e32 v23, v23, v27
	;; [unrolled: 1-line block ×3, first 2 shown]
	s_waitcnt lgkmcnt(0)
	v_max_f32_e32 v31, v31, v31
	v_max_f32_e32 v31, v0, v31
	v_cndmask_b32_e32 v0, 0, v33, vcc
	v_cmp_nlt_f32_e32 vcc, s10, v32
	v_mul_f32_e32 v32, 0x3fb8aa3b, v1
	v_fma_f32 v33, v1, s8, -v32
	v_rndne_f32_e32 v34, v32
	v_fmac_f32_e32 v33, 0x32a5705f, v1
	v_sub_f32_e32 v32, v32, v34
	v_add_f32_e32 v32, v32, v33
	v_exp_f32_e32 v33, v32
	v_cvt_i32_f32_e32 v34, v34
	v_sub_f32_e32 v21, v21, v29
	s_load_dwordx2 s[6:7], s[0:1], 0x4
	v_cmp_ngt_f32_e64 s[0:1], s9, v1
	v_ldexp_f32 v33, v33, v34
	v_mul_f32_e32 v34, 0x3fb8aa3b, v22
	v_fma_f32 v35, v22, s8, -v34
	v_rndne_f32_e32 v36, v34
	v_fmac_f32_e32 v35, 0x32a5705f, v22
	v_sub_f32_e32 v34, v34, v36
	v_add_f32_e32 v34, v34, v35
	v_exp_f32_e32 v34, v34
	v_cvt_i32_f32_e32 v35, v36
	v_mov_b32_e32 v39, 0x7f800000
	v_cndmask_b32_e64 v33, 0, v33, s[0:1]
	v_cmp_nlt_f32_e64 s[0:1], s10, v1
	v_ldexp_f32 v34, v34, v35
	v_mul_f32_e32 v35, 0x3fb8aa3b, v23
	v_fma_f32 v36, v23, s8, -v35
	v_rndne_f32_e32 v37, v35
	v_fmac_f32_e32 v36, 0x32a5705f, v23
	v_sub_f32_e32 v35, v35, v37
	v_add_f32_e32 v35, v35, v36
	v_exp_f32_e32 v35, v35
	v_cvt_i32_f32_e32 v36, v37
	v_cndmask_b32_e64 v1, v39, v33, s[0:1]
	v_cmp_ngt_f32_e64 s[0:1], s9, v22
	v_sub_f32_e32 v18, v18, v30
	v_ldexp_f32 v35, v35, v36
	v_mul_f32_e32 v36, 0x3fb8aa3b, v20
	v_fma_f32 v37, v20, s8, -v36
	v_rndne_f32_e32 v38, v36
	v_fmac_f32_e32 v37, 0x32a5705f, v20
	v_sub_f32_e32 v36, v36, v38
	v_add_f32_e32 v36, v36, v37
	v_exp_f32_e32 v36, v36
	v_cvt_i32_f32_e32 v37, v38
	v_cndmask_b32_e64 v34, 0, v34, s[0:1]
	v_cmp_nlt_f32_e64 s[0:1], s10, v22
	v_cndmask_b32_e32 v0, v39, v0, vcc
	v_ldexp_f32 v36, v36, v37
	v_mul_f32_e32 v37, 0x3fb8aa3b, v21
	v_fma_f32 v38, v21, s8, -v37
	v_rndne_f32_e32 v42, v37
	v_fmac_f32_e32 v38, 0x32a5705f, v21
	v_sub_f32_e32 v37, v37, v42
	v_add_f32_e32 v37, v37, v38
	v_exp_f32_e32 v37, v37
	v_cvt_i32_f32_e32 v38, v42
	v_cndmask_b32_e64 v22, v39, v34, s[0:1]
	v_cmp_ngt_f32_e64 s[0:1], s9, v23
	v_cmp_gt_u32_e32 vcc, s28, v157
	v_ldexp_f32 v37, v37, v38
	v_mul_f32_e32 v38, 0x3fb8aa3b, v18
	v_fma_f32 v42, v18, s8, -v38
	v_rndne_f32_e32 v43, v38
	v_cndmask_b32_e64 v35, 0, v35, s[0:1]
	v_cmp_nlt_f32_e64 s[0:1], s10, v23
	v_fmac_f32_e32 v42, 0x32a5705f, v18
	v_sub_f32_e32 v38, v38, v43
	v_cndmask_b32_e64 v23, v39, v35, s[0:1]
	v_cmp_ngt_f32_e64 s[0:1], s9, v20
	v_add_f32_e32 v38, v38, v42
	v_exp_f32_e32 v38, v38
	v_cndmask_b32_e64 v36, 0, v36, s[0:1]
	v_cmp_nlt_f32_e64 s[0:1], s10, v20
	v_cvt_i32_f32_e32 v42, v43
	v_sub_f32_e32 v19, v19, v31
	v_cndmask_b32_e64 v20, v39, v36, s[0:1]
	v_cmp_ngt_f32_e64 s[0:1], s9, v21
	v_cndmask_b32_e32 v32, 0, v0, vcc
	v_cndmask_b32_e32 v33, 0, v1, vcc
	v_cndmask_b32_e64 v37, 0, v37, s[0:1]
	v_cmp_nlt_f32_e64 s[0:1], s10, v21
	v_cvt_f16_f32_e32 v0, v32
	v_cvt_f16_f32_e32 v1, v33
	v_cndmask_b32_e64 v21, v39, v37, s[0:1]
	v_cndmask_b32_e32 v37, 0, v21, vcc
	v_ldexp_f32 v21, v38, v42
	v_mul_f32_e32 v38, 0x3fb8aa3b, v19
	v_fma_f32 v42, v19, s8, -v38
	v_rndne_f32_e32 v44, v38
	v_fmac_f32_e32 v42, 0x32a5705f, v19
	v_sub_f32_e32 v38, v38, v44
	v_add_f32_e32 v38, v38, v42
	v_exp_f32_e32 v42, v38
	v_cvt_i32_f32_e32 v44, v44
	v_cmp_ngt_f32_e64 s[0:1], s9, v18
	v_cndmask_b32_e32 v34, 0, v22, vcc
	v_cndmask_b32_e32 v35, 0, v23, vcc
	v_cndmask_b32_e64 v21, 0, v21, s[0:1]
	v_cmp_nlt_f32_e64 s[0:1], s10, v18
	v_cndmask_b32_e32 v36, 0, v20, vcc
	v_cvt_f16_f32_e32 v22, v34
	v_cndmask_b32_e64 v18, v39, v21, s[0:1]
	v_ldexp_f32 v21, v42, v44
	v_cmp_ngt_f32_e64 s[0:1], s9, v19
	v_cndmask_b32_e32 v38, 0, v18, vcc
	v_cvt_f16_f32_e32 v18, v38
	v_cndmask_b32_e64 v21, 0, v21, s[0:1]
	v_cmp_nlt_f32_e64 s[0:1], s10, v19
	v_cvt_f16_f32_e32 v23, v35
	v_cvt_f16_f32_e32 v20, v36
	v_cndmask_b32_e64 v19, v39, v21, s[0:1]
	v_cndmask_b32_e32 v39, 0, v19, vcc
	v_cvt_f16_f32_e32 v19, v39
	v_cvt_f16_f32_e32 v43, v37
	v_mov_b32_e32 v21, 0x2800
	v_lshl_add_u32 v139, v115, 4, v179
	v_lshl_add_u32 v137, v115, 9, v21
	v_pack_b32_f16 v21, v18, v19
	v_pack_b32_f16 v18, v0, v1
	v_mul_u32_u24_e32 v0, 0xa0, v139
	s_mul_hi_i32 s1, s74, s4
	s_mul_i32 s0, s74, s4
	v_lshl_or_b32 v0, v116, 2, v0
	s_lshl_b64 s[0:1], s[0:1], 2
	v_add_u32_e32 v138, 0x3880, v0
	v_mul_lo_u32 v0, s4, v139
	s_add_u32 s8, s65, s0
	s_waitcnt lgkmcnt(0)
	v_mul_u32_u24_e32 v41, s7, v115
	v_lshl_add_u32 v42, v157, 4, v137
	v_pack_b32_f16 v20, v20, v43
	v_pack_b32_f16 v19, v22, v23
	v_cmp_gt_u32_e32 vcc, 16, v139
	s_mov_b64 s[22:23], src_private_base
	v_ashrrev_i32_e32 v1, 31, v0
	s_addc_u32 s9, s73, s1
	v_lshlrev_b32_e32 v22, 2, v116
	s_barrier
	ds_write_b128 v42, v[18:21]
	s_and_saveexec_b64 s[10:11], vcc
	s_cbranch_execz .LBB52_112
; %bb.111:
	v_mov_b32_e32 v18, 0
	v_mov_b32_e32 v19, v18
	;; [unrolled: 1-line block ×3, first 2 shown]
	scratch_store_dwordx3 off, v[18:20], off offset:4
	v_mov_b32_e32 v23, v18
	scratch_store_dword off, v18, off
	v_lshl_add_u64 v[20:21], v[0:1], 2, s[8:9]
	v_lshl_add_u64 v[18:19], v[20:21], 0, v[22:23]
	s_mov_b64 s[0:1], 0x80
	v_lshl_add_u64 v[18:19], v[18:19], 0, s[0:1]
	v_mov_b32_e32 v20, s23
	v_cmp_gt_i32_e64 s[0:1], s28, v139
	s_nop 1
	v_cndmask_b32_e64 v19, v20, v19, s[0:1]
	v_mov_b32_e32 v20, 0
	v_cndmask_b32_e64 v18, v20, v18, s[0:1]
	flat_load_dwordx4 v[18:21], v[18:19]
	s_waitcnt vmcnt(0) lgkmcnt(0)
	ds_write_b128 v138, v[18:21]
.LBB52_112:
	s_or_b64 exec, exec, s[10:11]
	s_lshr_b32 s0, s6, 16
	s_mul_i32 s0, s0, s7
	v_mul_lo_u32 v18, s0, v157
	v_add3_u32 v18, v18, v41, v40
	v_mov_b32_e32 v19, 0x44c0
	v_lshl_add_u32 v143, v115, 2, v119
	v_lshl_add_u32 v142, v18, 4, v19
	v_mul_u32_u24_e32 v18, 0xa0, v143
	v_lshlrev_b32_e32 v126, 2, v114
	s_movk_i32 s6, 0x3800
	v_mul_lo_u32 v128, s4, v143
	v_cmp_gt_u32_e64 s[0:1], 16, v143
	s_mov_b64 s[24:25], src_shared_base
	v_mov_b32_e32 v127, 0
	v_add3_u32 v144, v18, v126, s6
	v_ashrrev_i32_e32 v129, 31, v128
	s_and_saveexec_b64 s[10:11], s[0:1]
	s_cbranch_execz .LBB52_114
; %bb.113:
	v_lshl_add_u64 v[18:19], v[128:129], 2, s[8:9]
	v_lshl_add_u64 v[18:19], v[18:19], 0, v[126:127]
	v_mov_b32_e32 v20, s25
	v_cmp_gt_i32_e64 s[6:7], s28, v143
	ds_write2_b32 v142, v127, v127 offset0:1 offset1:2
	ds_write2_b32 v142, v127, v127 offset1:3
	v_cndmask_b32_e64 v19, v20, v19, s[6:7]
	v_cndmask_b32_e64 v18, v142, v18, s[6:7]
	flat_load_dwordx4 v[18:21], v[18:19]
	s_waitcnt vmcnt(0) lgkmcnt(0)
	ds_write_b128 v144, v[18:21]
.LBB52_114:
	s_or_b64 exec, exec, s[10:11]
	v_sub_f32_e32 v10, v10, v24
	s_mov_b32 s18, 0x3fb8aa3b
	v_mul_f32_e32 v18, 0x3fb8aa3b, v10
	v_fma_f32 v19, v10, s18, -v18
	v_rndne_f32_e32 v20, v18
	v_fmac_f32_e32 v19, 0x32a5705f, v10
	v_sub_f32_e32 v18, v18, v20
	v_add_f32_e32 v18, v18, v19
	v_exp_f32_e32 v18, v18
	v_cvt_i32_f32_e32 v19, v20
	s_mov_b32 s20, 0xc2ce8ed0
	v_cmp_ngt_f32_e64 s[6:7], s20, v10
	v_sub_f32_e32 v11, v11, v25
	v_ldexp_f32 v18, v18, v19
	v_cndmask_b32_e64 v127, 0, v18, s[6:7]
	v_mul_f32_e32 v18, 0x3fb8aa3b, v11
	v_fma_f32 v19, v11, s18, -v18
	v_rndne_f32_e32 v20, v18
	v_fmac_f32_e32 v19, 0x32a5705f, v11
	v_sub_f32_e32 v18, v18, v20
	v_add_f32_e32 v18, v18, v19
	v_exp_f32_e32 v18, v18
	v_cvt_i32_f32_e32 v19, v20
	s_mov_b32 s22, 0x42b17218
	v_sub_f32_e32 v12, v12, v26
	v_cmp_nlt_f32_e64 s[6:7], s22, v10
	v_ldexp_f32 v10, v18, v19
	v_mul_f32_e32 v18, 0x3fb8aa3b, v12
	v_fma_f32 v19, v12, s18, -v18
	v_rndne_f32_e32 v20, v18
	v_fmac_f32_e32 v19, 0x32a5705f, v12
	v_sub_f32_e32 v18, v18, v20
	v_add_f32_e32 v18, v18, v19
	v_exp_f32_e32 v18, v18
	v_cvt_i32_f32_e32 v19, v20
	v_cmp_ngt_f32_e64 s[8:9], s20, v11
	v_cmp_ngt_f32_e64 s[10:11], s20, v12
	s_waitcnt lgkmcnt(0)
	v_cndmask_b32_e64 v140, 0, v10, s[8:9]
	v_cmp_nlt_f32_e64 s[8:9], s22, v11
	v_sub_f32_e32 v11, v13, v27
	v_mul_f32_e32 v13, 0x3fb8aa3b, v11
	v_ldexp_f32 v10, v18, v19
	v_fma_f32 v18, v11, s18, -v13
	v_rndne_f32_e32 v19, v13
	v_fmac_f32_e32 v18, 0x32a5705f, v11
	v_sub_f32_e32 v13, v13, v19
	v_add_f32_e32 v13, v13, v18
	v_exp_f32_e32 v13, v13
	v_cvt_i32_f32_e32 v18, v19
	v_cndmask_b32_e64 v146, 0, v10, s[10:11]
	v_cmp_nlt_f32_e64 s[10:11], s22, v12
	v_sub_f32_e32 v12, v14, v28
	v_ldexp_f32 v10, v13, v18
	v_mul_f32_e32 v13, 0x3fb8aa3b, v12
	v_fma_f32 v14, v12, s18, -v13
	v_rndne_f32_e32 v18, v13
	v_fmac_f32_e32 v14, 0x32a5705f, v12
	v_sub_f32_e32 v13, v13, v18
	v_add_f32_e32 v13, v13, v14
	v_exp_f32_e32 v13, v13
	v_cvt_i32_f32_e32 v14, v18
	v_cmp_ngt_f32_e64 s[12:13], s20, v11
	v_cmp_ngt_f32_e64 s[14:15], s20, v12
	s_barrier
	v_cndmask_b32_e64 v147, 0, v10, s[12:13]
	v_cmp_nlt_f32_e64 s[12:13], s22, v11
	v_sub_f32_e32 v11, v15, v29
	v_ldexp_f32 v10, v13, v14
	v_mul_f32_e32 v13, 0x3fb8aa3b, v11
	v_fma_f32 v14, v11, s18, -v13
	v_rndne_f32_e32 v15, v13
	v_fmac_f32_e32 v14, 0x32a5705f, v11
	v_sub_f32_e32 v13, v13, v15
	v_add_f32_e32 v13, v13, v14
	v_exp_f32_e32 v13, v13
	v_cvt_i32_f32_e32 v14, v15
	v_cndmask_b32_e64 v148, 0, v10, s[14:15]
	v_cmp_nlt_f32_e64 s[14:15], s22, v12
	v_sub_f32_e32 v12, v16, v30
	v_ldexp_f32 v10, v13, v14
	v_mul_f32_e32 v13, 0x3fb8aa3b, v12
	v_fma_f32 v14, v12, s18, -v13
	v_rndne_f32_e32 v15, v13
	v_fmac_f32_e32 v14, 0x32a5705f, v12
	v_sub_f32_e32 v13, v13, v15
	v_add_f32_e32 v13, v13, v14
	v_exp_f32_e32 v13, v13
	v_cvt_i32_f32_e32 v14, v15
	v_cmp_ngt_f32_e64 s[16:17], s20, v11
	v_mov_b32_e32 v145, 0x7f800000
	s_nop 0
	v_cndmask_b32_e64 v149, 0, v10, s[16:17]
	v_cmp_nlt_f32_e64 s[16:17], s22, v11
	v_sub_f32_e32 v11, v17, v31
	v_ldexp_f32 v10, v13, v14
	v_mul_f32_e32 v13, 0x3fb8aa3b, v11
	v_fma_f32 v14, v11, s18, -v13
	v_rndne_f32_e32 v15, v13
	v_fmac_f32_e32 v14, 0x32a5705f, v11
	v_sub_f32_e32 v13, v13, v15
	v_add_f32_e32 v13, v13, v14
	v_exp_f32_e32 v13, v13
	v_cvt_i32_f32_e32 v14, v15
	v_cmp_ngt_f32_e64 s[18:19], s20, v12
	v_cmp_ngt_f32_e64 s[20:21], s20, v11
	s_nop 0
	v_cndmask_b32_e64 v150, 0, v10, s[18:19]
	v_ldexp_f32 v10, v13, v14
	v_cndmask_b32_e64 v151, 0, v10, s[20:21]
	v_add_u32_e32 v10, 0x3800, v164
	ds_read2_b64 v[112:115], v10 offset1:20
	ds_read_b128 v[120:123], v137
	ds_read_b128 v[116:119], v137 offset:16
	ds_read_b128 v[108:111], v137 offset:32
	;; [unrolled: 1-line block ×3, first 2 shown]
	ds_read2_b64 v[104:107], v10 offset0:40 offset1:60
	ds_read2_b64 v[88:91], v10 offset0:80 offset1:100
	ds_read_b128 v[96:99], v137 offset:64
	ds_read_b128 v[92:95], v137 offset:80
	ds_read2_b64 v[76:79], v10 offset0:120 offset1:140
	ds_read_b128 v[84:87], v137 offset:96
	ds_read_b128 v[80:83], v137 offset:112
	;; [unrolled: 3-line block ×4, first 2 shown]
	v_add_u32_e32 v10, 0x3c00, v164
	ds_read2_b64 v[40:43], v10 offset0:112 offset1:132
	ds_read_b128 v[48:51], v137 offset:192
	ds_read_b128 v[44:47], v137 offset:208
	v_add_u32_e32 v10, 0x4000, v164
	v_cmp_nlt_f32_e64 s[18:19], s22, v12
	v_cmp_nlt_f32_e64 s[20:21], s22, v11
	ds_read2_b64 v[10:13], v10 offset0:24 offset1:44
	ds_read_b128 v[18:21], v137 offset:224
	ds_read_b128 v[14:17], v137 offset:240
	s_or_b32 s22, s74, 16
	s_mul_hi_i32 s27, s22, s4
	s_mul_i32 s26, s22, s4
	s_lshl_b64 s[26:27], s[26:27], 2
	s_add_u32 s26, s65, s26
	s_addc_u32 s27, s73, s27
	s_add_i32 s4, s28, -16
	s_waitcnt lgkmcnt(0)
	s_barrier
	s_and_saveexec_b64 s[28:29], vcc
	s_cbranch_execz .LBB52_116
; %bb.115:
	v_mov_b32_e32 v180, 0
	v_lshl_add_u64 v[0:1], v[0:1], 2, s[26:27]
	v_mov_b32_e32 v23, v180
	v_lshl_add_u64 v[0:1], v[0:1], 0, v[22:23]
	s_mov_b64 s[30:31], 0x80
	v_lshl_add_u64 v[0:1], v[0:1], 0, s[30:31]
	v_mov_b32_e32 v22, s23
	v_cmp_gt_i32_e32 vcc, s4, v139
	v_mov_b32_e32 v181, v180
	v_mov_b32_e32 v182, v180
	v_cndmask_b32_e32 v1, v22, v1, vcc
	v_mov_b32_e32 v22, 0
	scratch_store_dword off, v180, off
	scratch_store_dwordx3 off, v[180:182], off offset:4
	v_cndmask_b32_e32 v0, v22, v0, vcc
	flat_load_dwordx4 v[180:183], v[0:1]
	s_waitcnt vmcnt(0) lgkmcnt(0)
	ds_write_b128 v138, v[180:183]
.LBB52_116:
	s_or_b64 exec, exec, s[28:29]
	v_cndmask_b32_e64 v141, v145, v127, s[6:7]
	v_cndmask_b32_e64 v140, v145, v140, s[8:9]
	;; [unrolled: 1-line block ×8, first 2 shown]
	s_and_saveexec_b64 s[6:7], s[0:1]
	s_cbranch_execz .LBB52_118
; %bb.117:
	v_mov_b32_e32 v127, 0
	v_lshl_add_u64 v[128:129], v[128:129], 2, s[26:27]
	ds_write2_b32 v142, v127, v127 offset0:1 offset1:2
	ds_write2_b32 v142, v127, v127 offset1:3
	v_lshl_add_u64 v[126:127], v[128:129], 0, v[126:127]
	v_mov_b32_e32 v128, s25
	v_cmp_gt_i32_e32 vcc, s4, v143
	s_nop 1
	v_cndmask_b32_e32 v127, v128, v127, vcc
	v_cndmask_b32_e32 v126, v142, v126, vcc
	flat_load_dwordx4 v[126:129], v[126:127]
	s_waitcnt vmcnt(0) lgkmcnt(0)
	ds_write_b128 v144, v[126:129]
.LBB52_118:
	s_or_b64 exec, exec, s[6:7]
	v_cvt_f16_f32_e32 v126, v141
	v_cvt_f16_f32_e32 v127, v140
	;; [unrolled: 1-line block ×8, first 2 shown]
	v_pk_mul_f16 v129, v126, v177 op_sel_hi:[0,1]
	v_pk_mul_f16 v126, v126, v178 op_sel_hi:[0,1]
	;; [unrolled: 1-line block ×16, first 2 shown]
	v_pk_fma_f16 v129, v112, v120, v129 op_sel_hi:[1,0,1]
	v_pk_fma_f16 v142, v112, v120, v142 op_sel:[0,1,0]
	v_pk_fma_f16 v144, v112, v121, v144 op_sel_hi:[1,0,1]
	v_pk_fma_f16 v146, v112, v121, v146 op_sel:[0,1,0]
	;; [unrolled: 2-line block ×120, first 2 shown]
	v_fmac_f32_e32 v37, v7, v22
	v_add_u32_e32 v22, 0x3800, v164
	v_pk_fma_f16 v41, v12, v14, v43 op_sel_hi:[1,0,1]
	v_pk_fma_f16 v43, v12, v14, v47 op_sel:[0,1,0]
	v_pk_fma_f16 v46, v12, v15, v51 op_sel_hi:[1,0,1]
	v_pk_fma_f16 v47, v12, v15, v52 op_sel:[0,1,0]
	v_pk_fma_f16 v48, v12, v16, v53 op_sel_hi:[1,0,1]
	v_pk_fma_f16 v49, v12, v16, v54 op_sel:[0,1,0]
	v_pk_fma_f16 v50, v12, v17, v55 op_sel_hi:[1,0,1]
	v_pk_fma_f16 v51, v12, v17, v10 op_sel:[0,1,0]
	v_pk_fma_f16 v40, v13, v14, v40 op_sel_hi:[1,0,1]
	v_pk_fma_f16 v52, v13, v14, v18 op_sel:[0,1,0]
	v_pk_fma_f16 v42, v13, v15, v42 op_sel_hi:[1,0,1]
	v_pk_fma_f16 v53, v13, v15, v19 op_sel:[0,1,0]
	v_pk_fma_f16 v44, v13, v16, v44 op_sel_hi:[1,0,1]
	v_pk_fma_f16 v54, v13, v16, v20 op_sel:[0,1,0]
	v_pk_fma_f16 v45, v13, v17, v45 op_sel_hi:[1,0,1]
	v_pk_fma_f16 v55, v13, v17, v11 op_sel:[0,1,0]
	v_fmac_f32_e32 v32, v2, v141
	v_fmac_f32_e32 v33, v3, v140
	;; [unrolled: 1-line block ×4, first 2 shown]
	s_waitcnt lgkmcnt(0)
	s_barrier
	ds_read2_b64 v[2:5], v22 offset1:20
	ds_read_b128 v[10:13], v137 offset:256
	v_fmac_f32_e32 v36, v6, v23
	v_fmac_f32_e32 v38, v8, v1
	;; [unrolled: 1-line block ×3, first 2 shown]
	ds_read_b128 v[6:9], v137 offset:272
	ds_read_b128 v[14:17], v137 offset:288
	;; [unrolled: 1-line block ×3, first 2 shown]
	s_waitcnt lgkmcnt(3)
	v_pk_fma_f16 v0, v2, v10, v41 op_sel_hi:[1,0,1]
	v_pk_fma_f16 v1, v2, v10, v43 op_sel:[0,1,0]
	v_pk_fma_f16 v23, v2, v11, v46 op_sel_hi:[1,0,1]
	v_pk_fma_f16 v41, v2, v11, v47 op_sel:[0,1,0]
	;; [unrolled: 2-line block ×8, first 2 shown]
	s_waitcnt lgkmcnt(2)
	v_pk_fma_f16 v48, v4, v6, v0 op_sel_hi:[1,0,1]
	v_pk_fma_f16 v49, v4, v6, v1 op_sel:[0,1,0]
	v_pk_fma_f16 v23, v4, v7, v23 op_sel_hi:[1,0,1]
	v_pk_fma_f16 v41, v4, v7, v41 op_sel:[0,1,0]
	;; [unrolled: 2-line block ×4, first 2 shown]
	ds_read2_b64 v[0:3], v22 offset0:40 offset1:60
	v_pk_fma_f16 v40, v5, v6, v40 op_sel_hi:[1,0,1]
	v_pk_fma_f16 v6, v5, v6, v10 op_sel:[0,1,0]
	v_pk_fma_f16 v10, v5, v7, v42 op_sel_hi:[1,0,1]
	v_pk_fma_f16 v7, v5, v7, v11 op_sel:[0,1,0]
	;; [unrolled: 2-line block ×4, first 2 shown]
	s_waitcnt lgkmcnt(0)
	v_pk_fma_f16 v9, v0, v14, v48 op_sel_hi:[1,0,1]
	v_pk_fma_f16 v13, v0, v14, v49 op_sel:[0,1,0]
	v_pk_fma_f16 v23, v0, v15, v23 op_sel_hi:[1,0,1]
	v_pk_fma_f16 v41, v0, v15, v41 op_sel:[0,1,0]
	v_pk_fma_f16 v42, v0, v16, v43 op_sel_hi:[1,0,1]
	v_pk_fma_f16 v43, v0, v16, v46 op_sel:[0,1,0]
	v_pk_fma_f16 v44, v0, v17, v47 op_sel_hi:[1,0,1]
	v_pk_fma_f16 v0, v0, v17, v4 op_sel:[0,1,0]
	v_pk_fma_f16 v4, v1, v14, v40 op_sel_hi:[1,0,1]
	v_pk_fma_f16 v6, v1, v14, v6 op_sel:[0,1,0]
	v_pk_fma_f16 v10, v1, v15, v10 op_sel_hi:[1,0,1]
	v_pk_fma_f16 v7, v1, v15, v7 op_sel:[0,1,0]
	v_pk_fma_f16 v11, v1, v16, v11 op_sel_hi:[1,0,1]
	v_pk_fma_f16 v14, v1, v16, v8 op_sel:[0,1,0]
	v_pk_fma_f16 v12, v1, v17, v12 op_sel_hi:[1,0,1]
	v_pk_fma_f16 v1, v1, v17, v5 op_sel:[0,1,0]
	v_pk_fma_f16 v15, v2, v18, v9 op_sel_hi:[1,0,1]
	v_pk_fma_f16 v13, v2, v18, v13 op_sel:[0,1,0]
	v_pk_fma_f16 v16, v2, v19, v23 op_sel_hi:[1,0,1]
	v_pk_fma_f16 v17, v2, v19, v41 op_sel:[0,1,0]
	v_pk_fma_f16 v40, v2, v20, v43 op_sel:[0,1,0]
	v_pk_fma_f16 v41, v2, v21, v44 op_sel_hi:[1,0,1]
	v_pk_fma_f16 v43, v3, v18, v4 op_sel_hi:[1,0,1]
	v_pk_fma_f16 v18, v3, v18, v6 op_sel:[0,1,0]
	v_pk_fma_f16 v44, v3, v19, v10 op_sel_hi:[1,0,1]
	v_pk_fma_f16 v19, v3, v19, v7 op_sel:[0,1,0]
	v_pk_fma_f16 v45, v3, v20, v11 op_sel_hi:[1,0,1]
	ds_read2_b64 v[4:7], v22 offset0:80 offset1:100
	ds_read_b128 v[8:11], v137 offset:320
	v_pk_fma_f16 v23, v2, v20, v42 op_sel_hi:[1,0,1]
	v_pk_fma_f16 v42, v2, v21, v0 op_sel:[0,1,0]
	v_pk_fma_f16 v14, v3, v20, v14 op_sel:[0,1,0]
	v_pk_fma_f16 v12, v3, v21, v12 op_sel_hi:[1,0,1]
	v_pk_fma_f16 v20, v3, v21, v1 op_sel:[0,1,0]
	ds_read_b128 v[0:3], v137 offset:336
	s_waitcnt lgkmcnt(1)
	v_pk_fma_f16 v15, v4, v8, v15 op_sel_hi:[1,0,1]
	v_pk_fma_f16 v13, v4, v8, v13 op_sel:[0,1,0]
	v_pk_fma_f16 v16, v4, v9, v16 op_sel_hi:[1,0,1]
	v_pk_fma_f16 v17, v4, v9, v17 op_sel:[0,1,0]
	;; [unrolled: 2-line block ×8, first 2 shown]
	s_waitcnt lgkmcnt(0)
	v_pk_fma_f16 v20, v6, v0, v15 op_sel_hi:[1,0,1]
	v_pk_fma_f16 v44, v6, v0, v13 op_sel:[0,1,0]
	v_pk_fma_f16 v16, v6, v1, v16 op_sel_hi:[1,0,1]
	v_pk_fma_f16 v17, v6, v1, v17 op_sel:[0,1,0]
	;; [unrolled: 2-line block ×5, first 2 shown]
	v_pk_fma_f16 v45, v7, v1, v9 op_sel:[0,1,0]
	ds_read2_b64 v[8:11], v22 offset0:120 offset1:140
	ds_read_b128 v[12:15], v137 offset:352
	v_pk_fma_f16 v18, v7, v1, v18 op_sel_hi:[1,0,1]
	v_pk_fma_f16 v19, v7, v2, v19 op_sel_hi:[1,0,1]
	v_pk_fma_f16 v42, v7, v2, v42 op_sel:[0,1,0]
	v_pk_fma_f16 v43, v7, v3, v43 op_sel_hi:[1,0,1]
	v_pk_fma_f16 v5, v7, v3, v5 op_sel:[0,1,0]
	ds_read_b128 v[0:3], v137 offset:368
	s_waitcnt lgkmcnt(1)
	v_pk_fma_f16 v7, v8, v12, v20 op_sel_hi:[1,0,1]
	v_pk_fma_f16 v20, v8, v12, v44 op_sel:[0,1,0]
	v_pk_fma_f16 v16, v8, v13, v16 op_sel_hi:[1,0,1]
	v_pk_fma_f16 v17, v8, v13, v17 op_sel:[0,1,0]
	v_pk_fma_f16 v21, v8, v14, v21 op_sel_hi:[1,0,1]
	v_pk_fma_f16 v23, v8, v14, v23 op_sel:[0,1,0]
	v_pk_fma_f16 v40, v8, v15, v40 op_sel_hi:[1,0,1]
	v_pk_fma_f16 v4, v8, v15, v4 op_sel:[0,1,0]
	v_pk_fma_f16 v6, v9, v12, v6 op_sel_hi:[1,0,1]
	v_pk_fma_f16 v8, v9, v12, v41 op_sel:[0,1,0]
	v_pk_fma_f16 v12, v9, v13, v18 op_sel_hi:[1,0,1]
	v_pk_fma_f16 v13, v9, v13, v45 op_sel:[0,1,0]
	v_pk_fma_f16 v18, v9, v14, v19 op_sel_hi:[1,0,1]
	v_pk_fma_f16 v19, v9, v14, v42 op_sel:[0,1,0]
	v_pk_fma_f16 v41, v9, v15, v43 op_sel_hi:[1,0,1]
	v_pk_fma_f16 v9, v9, v15, v5 op_sel:[0,1,0]
	s_waitcnt lgkmcnt(0)
	v_pk_fma_f16 v42, v10, v0, v7 op_sel_hi:[1,0,1]
	v_pk_fma_f16 v20, v10, v0, v20 op_sel:[0,1,0]
	v_pk_fma_f16 v16, v10, v1, v16 op_sel_hi:[1,0,1]
	v_pk_fma_f16 v17, v10, v1, v17 op_sel:[0,1,0]
	;; [unrolled: 2-line block ×4, first 2 shown]
	v_pk_fma_f16 v43, v11, v0, v6 op_sel_hi:[1,0,1]
	v_pk_fma_f16 v44, v11, v1, v12 op_sel_hi:[1,0,1]
	v_pk_fma_f16 v45, v11, v1, v13 op_sel:[0,1,0]
	ds_read2_b64 v[4:7], v22 offset0:160 offset1:180
	ds_read_b128 v[12:15], v137 offset:384
	v_pk_fma_f16 v8, v11, v0, v8 op_sel:[0,1,0]
	v_pk_fma_f16 v18, v11, v2, v18 op_sel_hi:[1,0,1]
	v_pk_fma_f16 v19, v11, v2, v19 op_sel:[0,1,0]
	v_pk_fma_f16 v41, v11, v3, v41 op_sel_hi:[1,0,1]
	v_pk_fma_f16 v9, v11, v3, v9 op_sel:[0,1,0]
	ds_read_b128 v[0:3], v137 offset:400
	s_waitcnt lgkmcnt(1)
	v_pk_fma_f16 v11, v4, v12, v42 op_sel_hi:[1,0,1]
	v_pk_fma_f16 v20, v4, v12, v20 op_sel:[0,1,0]
	v_pk_fma_f16 v16, v4, v13, v16 op_sel_hi:[1,0,1]
	v_pk_fma_f16 v17, v4, v13, v17 op_sel:[0,1,0]
	;; [unrolled: 2-line block ×8, first 2 shown]
	s_waitcnt lgkmcnt(0)
	v_pk_fma_f16 v42, v6, v0, v11 op_sel_hi:[1,0,1]
	v_pk_fma_f16 v20, v6, v0, v20 op_sel:[0,1,0]
	v_pk_fma_f16 v16, v6, v1, v16 op_sel_hi:[1,0,1]
	v_pk_fma_f16 v17, v6, v1, v17 op_sel:[0,1,0]
	;; [unrolled: 2-line block ×6, first 2 shown]
	ds_read2_b64 v[8:11], v22 offset0:200 offset1:220
	ds_read_b128 v[12:15], v137 offset:416
	v_pk_fma_f16 v18, v7, v2, v18 op_sel_hi:[1,0,1]
	v_pk_fma_f16 v19, v7, v2, v19 op_sel:[0,1,0]
	v_pk_fma_f16 v22, v7, v3, v41 op_sel_hi:[1,0,1]
	v_pk_fma_f16 v5, v7, v3, v5 op_sel:[0,1,0]
	ds_read_b128 v[0:3], v137 offset:432
	s_waitcnt lgkmcnt(1)
	v_pk_fma_f16 v7, v8, v12, v42 op_sel_hi:[1,0,1]
	v_pk_fma_f16 v20, v8, v12, v20 op_sel:[0,1,0]
	v_pk_fma_f16 v16, v8, v13, v16 op_sel_hi:[1,0,1]
	v_pk_fma_f16 v17, v8, v13, v17 op_sel:[0,1,0]
	;; [unrolled: 2-line block ×6, first 2 shown]
	s_waitcnt lgkmcnt(0)
	v_pk_fma_f16 v41, v10, v0, v7 op_sel_hi:[1,0,1]
	v_pk_fma_f16 v20, v10, v0, v20 op_sel:[0,1,0]
	v_pk_fma_f16 v42, v11, v0, v6 op_sel_hi:[1,0,1]
	v_pk_fma_f16 v8, v11, v0, v8 op_sel:[0,1,0]
	v_add_u32_e32 v0, 0x3c00, v164
	v_pk_fma_f16 v18, v9, v14, v18 op_sel_hi:[1,0,1]
	v_pk_fma_f16 v19, v9, v14, v19 op_sel:[0,1,0]
	v_pk_fma_f16 v22, v9, v15, v22 op_sel_hi:[1,0,1]
	v_pk_fma_f16 v9, v9, v15, v5 op_sel:[0,1,0]
	;; [unrolled: 2-line block ×6, first 2 shown]
	ds_read2_b64 v[4:7], v0 offset0:112 offset1:132
	ds_read_b128 v[12:15], v137 offset:448
	v_pk_fma_f16 v18, v11, v2, v18 op_sel_hi:[1,0,1]
	v_pk_fma_f16 v19, v11, v2, v19 op_sel:[0,1,0]
	v_pk_fma_f16 v22, v11, v3, v22 op_sel_hi:[1,0,1]
	v_pk_fma_f16 v9, v11, v3, v9 op_sel:[0,1,0]
	ds_read_b128 v[0:3], v137 offset:464
	s_waitcnt lgkmcnt(1)
	v_pk_fma_f16 v11, v4, v12, v41 op_sel_hi:[1,0,1]
	v_pk_fma_f16 v20, v4, v12, v20 op_sel:[0,1,0]
	v_pk_fma_f16 v16, v4, v13, v16 op_sel_hi:[1,0,1]
	v_pk_fma_f16 v17, v4, v13, v17 op_sel:[0,1,0]
	;; [unrolled: 2-line block ×6, first 2 shown]
	s_waitcnt lgkmcnt(0)
	v_pk_fma_f16 v41, v6, v0, v11 op_sel_hi:[1,0,1]
	v_pk_fma_f16 v20, v6, v0, v20 op_sel:[0,1,0]
	v_pk_fma_f16 v16, v6, v1, v16 op_sel_hi:[1,0,1]
	v_pk_fma_f16 v17, v6, v1, v17 op_sel:[0,1,0]
	;; [unrolled: 2-line block ×5, first 2 shown]
	v_add_u32_e32 v0, 0x4000, v164
	v_pk_fma_f16 v18, v5, v14, v18 op_sel_hi:[1,0,1]
	v_pk_fma_f16 v19, v5, v14, v19 op_sel:[0,1,0]
	v_pk_fma_f16 v22, v5, v15, v22 op_sel_hi:[1,0,1]
	v_pk_fma_f16 v5, v5, v15, v9 op_sel:[0,1,0]
	;; [unrolled: 2-line block ×3, first 2 shown]
	ds_read2_b64 v[8:11], v0 offset0:24 offset1:44
	ds_read_b128 v[12:15], v137 offset:480
	v_pk_fma_f16 v18, v7, v2, v18 op_sel_hi:[1,0,1]
	v_pk_fma_f16 v19, v7, v2, v19 op_sel:[0,1,0]
	v_pk_fma_f16 v22, v7, v3, v22 op_sel_hi:[1,0,1]
	v_pk_fma_f16 v5, v7, v3, v5 op_sel:[0,1,0]
	ds_read_b128 v[0:3], v137 offset:496
	s_waitcnt lgkmcnt(1)
	v_pk_fma_f16 v7, v8, v12, v41 op_sel_hi:[1,0,1]
	v_pk_fma_f16 v20, v8, v12, v20 op_sel:[0,1,0]
	v_pk_fma_f16 v16, v8, v13, v16 op_sel_hi:[1,0,1]
	v_pk_fma_f16 v17, v8, v13, v17 op_sel:[0,1,0]
	;; [unrolled: 2-line block ×8, first 2 shown]
	s_waitcnt lgkmcnt(0)
	v_pk_fma_f16 v177, v10, v0, v7 op_sel_hi:[1,0,1]
	v_pk_fma_f16 v175, v10, v0, v20 op_sel:[0,1,0]
	v_pk_fma_f16 v173, v10, v1, v16 op_sel_hi:[1,0,1]
	v_pk_fma_f16 v171, v10, v1, v17 op_sel:[0,1,0]
	;; [unrolled: 2-line block ×8, first 2 shown]
	v_mov_b64_e32 v[10:11], v[24:25]
	v_mov_b64_e32 v[12:13], v[26:27]
	;; [unrolled: 1-line block ×4, first 2 shown]
	s_barrier
.LBB52_119:
	v_cmp_lt_i32_e32 vcc, v133, v131
	s_cmp_eq_u64 s[48:49], 0
	s_cselect_b64 s[0:1], -1, 0
	v_cndmask_b32_e32 v0, v130, v133, vcc
	v_lshlrev_b32_e32 v9, 2, v0
	ds_bpermute_b32 v4, v9, v34
	ds_bpermute_b32 v5, v9, v35
	v_cmp_lt_i32_e32 vcc, v136, v131
	ds_bpermute_b32 v0, v9, v32
	ds_bpermute_b32 v1, v9, v33
	v_cndmask_b32_e32 v2, v130, v136, vcc
	v_cmp_lt_i32_e32 vcc, v134, v131
	v_lshlrev_b32_e32 v23, 2, v2
	s_waitcnt lgkmcnt(2)
	v_pk_add_f32 v[4:5], v[34:35], v[4:5]
	v_cndmask_b32_e32 v2, v130, v134, vcc
	v_cmp_lt_i32_e32 vcc, v135, v131
	ds_bpermute_b32 v7, v23, v5
	v_lshlrev_b32_e32 v24, 2, v2
	v_cndmask_b32_e32 v6, v130, v135, vcc
	v_lshlrev_b32_e32 v25, 2, v6
	ds_bpermute_b32 v6, v23, v4
	ds_bpermute_b32 v18, v9, v38
	;; [unrolled: 1-line block ×3, first 2 shown]
	s_waitcnt lgkmcnt(4)
	v_pk_add_f32 v[0:1], v[32:33], v[0:1]
	v_cmp_lt_i32_e32 vcc, v132, v131
	s_waitcnt lgkmcnt(2)
	v_pk_add_f32 v[4:5], v[4:5], v[6:7]
	ds_bpermute_b32 v6, v24, v4
	ds_bpermute_b32 v7, v24, v5
	s_waitcnt lgkmcnt(2)
	v_pk_add_f32 v[18:19], v[38:39], v[18:19]
	ds_bpermute_b32 v2, v23, v0
	ds_bpermute_b32 v3, v23, v1
	v_cndmask_b32_e32 v8, v130, v132, vcc
	s_waitcnt lgkmcnt(2)
	v_pk_add_f32 v[4:5], v[4:5], v[6:7]
	ds_bpermute_b32 v6, v9, v36
	ds_bpermute_b32 v7, v9, v37
	ds_bpermute_b32 v22, v23, v18
	v_lshlrev_b32_e32 v29, 2, v8
	ds_bpermute_b32 v8, v25, v4
	ds_bpermute_b32 v9, v25, v5
	s_waitcnt lgkmcnt(3)
	v_pk_add_f32 v[6:7], v[36:37], v[6:7]
	ds_bpermute_b32 v20, v23, v6
	ds_bpermute_b32 v21, v23, v7
	;; [unrolled: 1-line block ×3, first 2 shown]
	v_pk_add_f32 v[0:1], v[0:1], v[2:3]
	ds_bpermute_b32 v2, v24, v0
	ds_bpermute_b32 v3, v24, v1
	s_waitcnt lgkmcnt(3)
	v_pk_add_f32 v[6:7], v[6:7], v[20:21]
	s_waitcnt lgkmcnt(2)
	v_pk_add_f32 v[18:19], v[18:19], v[22:23]
	v_pk_add_f32 v[4:5], v[4:5], v[8:9]
	ds_bpermute_b32 v8, v24, v6
	ds_bpermute_b32 v9, v24, v7
	;; [unrolled: 1-line block ×4, first 2 shown]
	s_waitcnt lgkmcnt(4)
	v_pk_add_f32 v[0:1], v[0:1], v[2:3]
	ds_bpermute_b32 v2, v25, v0
	s_waitcnt lgkmcnt(3)
	v_pk_add_f32 v[6:7], v[6:7], v[8:9]
	ds_bpermute_b32 v3, v25, v1
	;; [unrolled: 3-line block ×3, first 2 shown]
	ds_bpermute_b32 v9, v25, v7
	ds_bpermute_b32 v20, v25, v18
	;; [unrolled: 1-line block ×3, first 2 shown]
	s_waitcnt lgkmcnt(4)
	v_pk_add_f32 v[0:1], v[0:1], v[2:3]
	ds_bpermute_b32 v2, v29, v0
	s_waitcnt lgkmcnt(3)
	v_pk_add_f32 v[6:7], v[6:7], v[8:9]
	ds_bpermute_b32 v3, v29, v1
	;; [unrolled: 3-line block ×3, first 2 shown]
	ds_bpermute_b32 v25, v29, v5
	ds_bpermute_b32 v8, v29, v6
	ds_bpermute_b32 v9, v29, v7
	ds_bpermute_b32 v28, v29, v26
	ds_bpermute_b32 v29, v29, v27
	s_cmp_lg_u32 s5, 0
	s_cselect_b64 s[6:7], -1, 0
	s_or_b64 s[0:1], s[6:7], s[0:1]
	s_waitcnt lgkmcnt(6)
	v_pk_add_f32 v[22:23], v[0:1], v[2:3]
	s_waitcnt lgkmcnt(4)
	v_pk_add_f32 v[20:21], v[4:5], v[24:25]
	;; [unrolled: 2-line block ×4, first 2 shown]
	s_and_b64 vcc, exec, s[0:1]
	s_cbranch_vccnz .LBB52_121
; %bb.120:
	s_lshl_b64 s[0:1], s[60:61], 2
	s_add_u32 s0, s48, s0
	s_addc_u32 s1, s49, s1
	v_mov_b32_e32 v0, 0
	global_load_dword v24, v0, s[0:1]
	v_max_f32_e32 v0, v11, v11
	v_max_f32_e32 v2, v10, v10
	;; [unrolled: 1-line block ×4, first 2 shown]
	s_mov_b32 s4, 0x3fb8aa3b
	v_mov_b32_e32 v25, 0x7f800000
	s_mov_b32 s1, 0xc2ce8ed0
	s_mov_b32 s0, 0x42b17218
	s_waitcnt vmcnt(0)
	v_max_f32_e32 v26, v24, v24
	v_max_f32_e32 v1, v0, v26
	v_max_f32_e32 v0, v2, v26
	v_max_f32_e32 v3, v3, v26
	v_max_f32_e32 v2, v4, v26
	v_pk_add_f32 v[4:5], v[10:11], v[0:1] neg_lo:[0,1] neg_hi:[0,1]
	v_pk_add_f32 v[10:11], v[12:13], v[2:3] neg_lo:[0,1] neg_hi:[0,1]
	v_mul_f32_e32 v12, 0x3fb8aa3b, v5
	v_pk_add_f32 v[6:7], v[24:25], v[0:1] op_sel_hi:[0,1] neg_lo:[0,1] neg_hi:[0,1]
	v_mul_f32_e32 v13, 0x3fb8aa3b, v4
	v_fma_f32 v31, v5, s4, -v12
	v_rndne_f32_e32 v32, v12
	v_mul_f32_e32 v27, 0x3fb8aa3b, v7
	v_fma_f32 v33, v4, s4, -v13
	v_rndne_f32_e32 v34, v13
	v_fmac_f32_e32 v31, 0x32a5705f, v5
	v_sub_f32_e32 v12, v12, v32
	v_mul_f32_e32 v28, 0x3fb8aa3b, v6
	v_fma_f32 v35, v7, s4, -v27
	v_rndne_f32_e32 v36, v27
	v_fmac_f32_e32 v33, 0x32a5705f, v4
	v_sub_f32_e32 v13, v13, v34
	v_add_f32_e32 v12, v12, v31
	v_mul_f32_e32 v29, 0x3fb8aa3b, v11
	v_fma_f32 v37, v6, s4, -v28
	v_rndne_f32_e32 v38, v28
	v_cvt_i32_f32_e32 v32, v32
	v_fmac_f32_e32 v35, 0x32a5705f, v7
	v_sub_f32_e32 v27, v27, v36
	v_add_f32_e32 v13, v13, v33
	v_exp_f32_e32 v12, v12
	v_mul_f32_e32 v30, 0x3fb8aa3b, v10
	v_fma_f32 v39, v11, s4, -v29
	v_rndne_f32_e32 v40, v29
	v_cvt_i32_f32_e32 v34, v34
	v_fmac_f32_e32 v37, 0x32a5705f, v6
	v_sub_f32_e32 v28, v28, v38
	v_add_f32_e32 v27, v27, v35
	v_exp_f32_e32 v13, v13
	v_fma_f32 v41, v10, s4, -v30
	v_rndne_f32_e32 v42, v30
	v_cvt_i32_f32_e32 v36, v36
	v_fmac_f32_e32 v39, 0x32a5705f, v11
	v_sub_f32_e32 v29, v29, v40
	v_add_f32_e32 v28, v28, v37
	v_exp_f32_e32 v27, v27
	v_cvt_i32_f32_e32 v38, v38
	v_fmac_f32_e32 v41, 0x32a5705f, v10
	v_sub_f32_e32 v30, v30, v42
	v_add_f32_e32 v29, v29, v39
	v_exp_f32_e32 v28, v28
	v_cvt_i32_f32_e32 v40, v40
	v_add_f32_e32 v30, v30, v41
	v_exp_f32_e32 v29, v29
	v_ldexp_f32 v12, v12, v32
	v_cmp_ngt_f32_e32 vcc, s1, v5
	v_cvt_i32_f32_e32 v42, v42
	v_exp_f32_e32 v30, v30
	v_ldexp_f32 v13, v13, v34
	v_cndmask_b32_e32 v12, 0, v12, vcc
	v_cmp_ngt_f32_e32 vcc, s1, v4
	v_ldexp_f32 v27, v27, v36
	v_ldexp_f32 v28, v28, v38
	v_cndmask_b32_e32 v13, 0, v13, vcc
	v_cmp_ngt_f32_e32 vcc, s1, v7
	v_ldexp_f32 v29, v29, v40
	v_ldexp_f32 v30, v30, v42
	v_cndmask_b32_e32 v27, 0, v27, vcc
	v_cmp_ngt_f32_e32 vcc, s1, v6
	s_nop 1
	v_cndmask_b32_e32 v28, 0, v28, vcc
	v_cmp_ngt_f32_e32 vcc, s1, v11
	s_nop 1
	;; [unrolled: 3-line block ×3, first 2 shown]
	v_cndmask_b32_e32 v30, 0, v30, vcc
	v_cmp_nlt_f32_e32 vcc, s0, v5
	s_nop 1
	v_cndmask_b32_e32 v5, v25, v12, vcc
	v_cmp_nlt_f32_e32 vcc, s0, v4
	s_nop 1
	v_cndmask_b32_e32 v4, v25, v13, vcc
	v_cmp_nlt_f32_e32 vcc, s0, v7
	v_cvt_f16_f32_e32 v12, v4
	v_cvt_f16_f32_e32 v13, v5
	v_cndmask_b32_e32 v7, v25, v27, vcc
	v_cmp_nlt_f32_e32 vcc, s0, v6
	v_pk_mul_f16 v177, v12, v177 op_sel_hi:[0,1]
	v_pk_mul_f16 v178, v12, v178 op_sel_hi:[0,1]
	v_cndmask_b32_e32 v6, v25, v28, vcc
	v_pk_fma_f32 v[22:23], v[22:23], v[4:5], v[6:7]
	v_pk_add_f32 v[6:7], v[24:25], v[2:3] op_sel_hi:[0,1] neg_lo:[0,1] neg_hi:[0,1]
	v_mul_f32_e32 v5, 0x3fb8aa3b, v7
	v_pk_mul_f16 v175, v13, v175 op_sel_hi:[0,1]
	v_pk_mul_f16 v176, v13, v176 op_sel_hi:[0,1]
	v_fma_f32 v12, v7, s4, -v5
	v_rndne_f32_e32 v13, v5
	v_cmp_nlt_f32_e32 vcc, s0, v10
	v_fmac_f32_e32 v12, 0x32a5705f, v7
	v_sub_f32_e32 v5, v5, v13
	v_cndmask_b32_e32 v4, v25, v30, vcc
	v_add_f32_e32 v5, v5, v12
	v_cvt_f16_f32_e32 v10, v4
	v_exp_f32_e32 v12, v5
	v_cvt_i32_f32_e32 v13, v13
	v_cmp_nlt_f32_e32 vcc, s0, v11
	v_mul_f32_e32 v11, 0x3fb8aa3b, v6
	v_pk_mul_f16 v173, v10, v173 op_sel_hi:[0,1]
	v_pk_mul_f16 v174, v10, v174 op_sel_hi:[0,1]
	v_ldexp_f32 v10, v12, v13
	v_fma_f32 v12, v6, s4, -v11
	v_rndne_f32_e32 v13, v11
	v_fmac_f32_e32 v12, 0x32a5705f, v6
	v_sub_f32_e32 v11, v11, v13
	v_add_f32_e32 v11, v11, v12
	v_exp_f32_e32 v11, v11
	v_cvt_i32_f32_e32 v12, v13
	v_cndmask_b32_e32 v5, v25, v29, vcc
	v_cmp_ngt_f32_e32 vcc, s1, v7
	s_nop 1
	v_cndmask_b32_e32 v10, 0, v10, vcc
	v_cmp_nlt_f32_e32 vcc, s0, v7
	s_nop 1
	v_cndmask_b32_e32 v7, v25, v10, vcc
	v_ldexp_f32 v10, v11, v12
	v_cmp_ngt_f32_e32 vcc, s1, v6
	v_cvt_f16_f32_e32 v11, v5
	v_pk_mul_f16 v171, v11, v171 op_sel_hi:[0,1]
	v_cndmask_b32_e32 v10, 0, v10, vcc
	v_cmp_nlt_f32_e32 vcc, s0, v6
	v_pk_mul_f16 v172, v11, v172 op_sel_hi:[0,1]
	s_nop 0
	v_cndmask_b32_e32 v6, v25, v10, vcc
	v_pk_fma_f32 v[20:21], v[20:21], v[4:5], v[6:7]
	v_max_f32_e32 v4, v15, v15
	v_max_f32_e32 v5, v4, v26
	;; [unrolled: 1-line block ×4, first 2 shown]
	v_pk_add_f32 v[6:7], v[14:15], v[4:5] neg_lo:[0,1] neg_hi:[0,1]
	s_nop 0
	v_mul_f32_e32 v10, 0x3fb8aa3b, v7
	v_fma_f32 v11, v7, s4, -v10
	v_rndne_f32_e32 v12, v10
	v_fmac_f32_e32 v11, 0x32a5705f, v7
	v_sub_f32_e32 v10, v10, v12
	v_add_f32_e32 v10, v10, v11
	v_cvt_i32_f32_e32 v11, v12
	v_mul_f32_e32 v12, 0x3fb8aa3b, v6
	v_fma_f32 v13, v6, s4, -v12
	v_rndne_f32_e32 v14, v12
	v_fmac_f32_e32 v13, 0x32a5705f, v6
	v_sub_f32_e32 v12, v12, v14
	v_exp_f32_e32 v10, v10
	v_add_f32_e32 v12, v12, v13
	v_exp_f32_e32 v12, v12
	v_cvt_i32_f32_e32 v13, v14
	v_ldexp_f32 v10, v10, v11
	v_cmp_ngt_f32_e32 vcc, s1, v7
	s_nop 1
	v_cndmask_b32_e32 v14, 0, v10, vcc
	v_ldexp_f32 v10, v12, v13
	v_cmp_ngt_f32_e32 vcc, s1, v6
	s_nop 1
	v_cndmask_b32_e32 v10, 0, v10, vcc
	v_cmp_nlt_f32_e32 vcc, s0, v6
	s_nop 1
	v_cndmask_b32_e32 v6, v25, v10, vcc
	v_pk_add_f32 v[10:11], v[24:25], v[4:5] op_sel_hi:[0,1] neg_lo:[0,1] neg_hi:[0,1]
	v_mul_f32_e32 v13, 0x3fb8aa3b, v11
	v_fma_f32 v15, v11, s4, -v13
	v_rndne_f32_e32 v27, v13
	v_fmac_f32_e32 v15, 0x32a5705f, v11
	v_sub_f32_e32 v13, v13, v27
	v_add_f32_e32 v13, v13, v15
	v_cvt_f16_f32_e32 v12, v6
	v_exp_f32_e32 v13, v13
	v_cvt_i32_f32_e32 v15, v27
	v_cmp_nlt_f32_e32 vcc, s0, v7
	v_pk_mul_f16 v169, v12, v169 op_sel_hi:[0,1]
	v_pk_mul_f16 v170, v12, v170 op_sel_hi:[0,1]
	v_ldexp_f32 v12, v13, v15
	v_mul_f32_e32 v13, 0x3fb8aa3b, v10
	v_cndmask_b32_e32 v7, v25, v14, vcc
	v_fma_f32 v14, v10, s4, -v13
	v_rndne_f32_e32 v15, v13
	v_fmac_f32_e32 v14, 0x32a5705f, v10
	v_sub_f32_e32 v13, v13, v15
	v_add_f32_e32 v13, v13, v14
	v_exp_f32_e32 v13, v13
	v_cvt_i32_f32_e32 v14, v15
	v_cmp_ngt_f32_e32 vcc, s1, v11
	s_nop 1
	v_cndmask_b32_e32 v12, 0, v12, vcc
	v_cmp_nlt_f32_e32 vcc, s0, v11
	s_nop 1
	v_cndmask_b32_e32 v11, v25, v12, vcc
	v_ldexp_f32 v12, v13, v14
	v_cmp_ngt_f32_e32 vcc, s1, v10
	v_cvt_f16_f32_e32 v13, v7
	v_pk_mul_f16 v167, v13, v167 op_sel_hi:[0,1]
	v_cndmask_b32_e32 v12, 0, v12, vcc
	v_cmp_nlt_f32_e32 vcc, s0, v10
	v_pk_mul_f16 v168, v13, v168 op_sel_hi:[0,1]
	s_nop 0
	v_cndmask_b32_e32 v10, v25, v12, vcc
	v_pk_fma_f32 v[18:19], v[18:19], v[6:7], v[10:11]
	v_max_f32_e32 v6, v17, v17
	v_max_f32_e32 v7, v6, v26
	;; [unrolled: 1-line block ×4, first 2 shown]
	v_pk_add_f32 v[10:11], v[16:17], v[6:7] neg_lo:[0,1] neg_hi:[0,1]
	s_nop 0
	v_mul_f32_e32 v12, 0x3fb8aa3b, v11
	v_fma_f32 v13, v11, s4, -v12
	v_rndne_f32_e32 v14, v12
	v_fmac_f32_e32 v13, 0x32a5705f, v11
	v_sub_f32_e32 v12, v12, v14
	v_add_f32_e32 v12, v12, v13
	v_cvt_i32_f32_e32 v13, v14
	v_mul_f32_e32 v14, 0x3fb8aa3b, v10
	v_fma_f32 v15, v10, s4, -v14
	v_rndne_f32_e32 v16, v14
	v_fmac_f32_e32 v15, 0x32a5705f, v10
	v_sub_f32_e32 v14, v14, v16
	v_exp_f32_e32 v12, v12
	v_add_f32_e32 v14, v14, v15
	v_exp_f32_e32 v14, v14
	v_cvt_i32_f32_e32 v15, v16
	v_ldexp_f32 v12, v12, v13
	v_cmp_ngt_f32_e32 vcc, s1, v11
	s_nop 1
	v_cndmask_b32_e32 v16, 0, v12, vcc
	v_ldexp_f32 v12, v14, v15
	v_cmp_ngt_f32_e32 vcc, s1, v10
	s_nop 1
	v_cndmask_b32_e32 v12, 0, v12, vcc
	v_cmp_nlt_f32_e32 vcc, s0, v10
	s_nop 1
	v_cndmask_b32_e32 v10, v25, v12, vcc
	v_pk_add_f32 v[12:13], v[24:25], v[6:7] op_sel_hi:[0,1] neg_lo:[0,1] neg_hi:[0,1]
	v_mul_f32_e32 v15, 0x3fb8aa3b, v13
	v_fma_f32 v17, v13, s4, -v15
	v_rndne_f32_e32 v24, v15
	v_fmac_f32_e32 v17, 0x32a5705f, v13
	v_sub_f32_e32 v15, v15, v24
	v_add_f32_e32 v15, v15, v17
	v_cvt_f16_f32_e32 v14, v10
	v_exp_f32_e32 v15, v15
	v_cvt_i32_f32_e32 v17, v24
	v_cmp_nlt_f32_e32 vcc, s0, v11
	v_pk_mul_f16 v165, v14, v165 op_sel_hi:[0,1]
	v_pk_mul_f16 v166, v14, v166 op_sel_hi:[0,1]
	v_ldexp_f32 v14, v15, v17
	v_mul_f32_e32 v15, 0x3fb8aa3b, v12
	v_cndmask_b32_e32 v11, v25, v16, vcc
	v_fma_f32 v16, v12, s4, -v15
	v_rndne_f32_e32 v17, v15
	v_fmac_f32_e32 v16, 0x32a5705f, v12
	v_sub_f32_e32 v15, v15, v17
	v_add_f32_e32 v15, v15, v16
	v_exp_f32_e32 v15, v15
	v_cvt_i32_f32_e32 v16, v17
	v_cmp_ngt_f32_e32 vcc, s1, v13
	s_nop 1
	v_cndmask_b32_e32 v14, 0, v14, vcc
	v_cmp_nlt_f32_e32 vcc, s0, v13
	s_nop 1
	v_cndmask_b32_e32 v13, v25, v14, vcc
	v_ldexp_f32 v14, v15, v16
	v_cvt_f16_f32_e32 v15, v11
	v_cmp_ngt_f32_e32 vcc, s1, v12
	v_pk_mul_f16 v162, v15, v162 op_sel_hi:[0,1]
	s_nop 0
	v_cndmask_b32_e32 v14, 0, v14, vcc
	v_cmp_nlt_f32_e32 vcc, s0, v12
	v_pk_mul_f16 v163, v15, v163 op_sel_hi:[0,1]
	s_nop 0
	v_cndmask_b32_e32 v12, v25, v14, vcc
	v_pk_fma_f32 v[8:9], v[8:9], v[10:11], v[12:13]
	v_mov_b64_e32 v[16:17], v[6:7]
	v_mov_b64_e32 v[14:15], v[4:5]
	;; [unrolled: 1-line block ×4, first 2 shown]
.LBB52_121:
	v_cmp_gt_i32_e32 vcc, s58, v161
	s_and_saveexec_b64 s[0:1], vcc
	s_cbranch_execz .LBB52_177
; %bb.122:
	s_load_dword s4, s[2:3], 0xd4
	v_mov_b32_e32 v2, 1.0
	s_waitcnt lgkmcnt(0)
	s_cmp_lg_u32 s4, 1
	s_cselect_b64 s[0:1], -1, 0
	s_cmp_eq_u32 s4, 1
	s_cselect_b64 s[6:7], -1, 0
	s_and_b64 vcc, exec, s[0:1]
	s_cbranch_vccnz .LBB52_124
; %bb.123:
	v_div_scale_f32 v0, s[2:3], v22, v22, 1.0
	v_rcp_f32_e32 v1, v0
	v_div_scale_f32 v2, vcc, 1.0, v22, 1.0
	v_fma_f32 v3, -v0, v1, 1.0
	v_fmac_f32_e32 v1, v3, v1
	v_mul_f32_e32 v3, v2, v1
	v_fma_f32 v4, -v0, v3, v2
	v_fmac_f32_e32 v3, v4, v1
	v_fma_f32 v0, -v0, v3, v2
	v_div_fmas_f32 v0, v0, v1, v3
	v_div_fixup_f32 v2, v0, v22, 1.0
.LBB52_124:
	s_mul_i32 s8, s72, s58
	s_add_i32 s8, s8, s33
	v_add_u32_e32 v0, s8, v160
	v_mul_lo_u32 v0, v0, s59
	v_add_u32_e32 v0, s60, v0
	v_mul_lo_u32 v0, s4, v0
	v_add_u32_e32 v0, s5, v0
	s_and_saveexec_b64 s[2:3], s[46:47]
	s_cbranch_execz .LBB52_126
; %bb.125:
	v_cvt_f32_f16_sdwa v7, v177 dst_sel:DWORD dst_unused:UNUSED_PAD src0_sel:WORD_1
	v_cvt_f32_f16_e32 v6, v177
	v_cvt_f32_f16_sdwa v25, v178 dst_sel:DWORD dst_unused:UNUSED_PAD src0_sel:WORD_1
	v_cvt_f32_f16_e32 v24, v178
	s_movk_i32 s9, 0x50
	v_mad_u64_u32 v[4:5], s[10:11], v0, s9, v[124:125]
	v_mov_b32_e32 v5, 0
	v_lshl_add_u64 v[26:27], v[4:5], 2, s[52:53]
	v_pk_mul_f32 v[4:5], v[2:3], v[6:7] op_sel_hi:[0,1]
	v_pk_mul_f32 v[6:7], v[2:3], v[24:25] op_sel_hi:[0,1]
	global_store_dwordx4 v[26:27], v[4:7], off
.LBB52_126:
	s_or_b64 exec, exec, s[2:3]
	v_cmp_eq_u32_e32 vcc, 0, v157
	s_and_b64 s[2:3], vcc, s[0:1]
	s_and_saveexec_b64 s[0:1], s[2:3]
	s_cbranch_execz .LBB52_128
; %bb.127:
	v_ashrrev_i32_e32 v1, 31, v0
	v_lshl_add_u64 v[0:1], v[0:1], 3, s[54:55]
	v_mov_b32_e32 v2, v10
	v_mov_b32_e32 v3, v22
	global_store_dwordx2 v[0:1], v[2:3], off
.LBB52_128:
	s_or_b64 exec, exec, s[0:1]
	v_cmp_gt_i32_e32 vcc, s58, v159
	s_and_b64 exec, exec, vcc
	s_cbranch_execz .LBB52_177
; %bb.129:
	v_cndmask_b32_e64 v0, 0, 1, s[6:7]
	v_cmp_ne_u32_e64 s[0:1], 1, v0
	s_andn2_b64 vcc, exec, s[6:7]
	v_mov_b32_e32 v2, 1.0
	s_cbranch_vccnz .LBB52_131
; %bb.130:
	v_div_scale_f32 v0, s[6:7], v23, v23, 1.0
	v_rcp_f32_e32 v1, v0
	v_div_scale_f32 v2, vcc, 1.0, v23, 1.0
	v_fma_f32 v3, -v0, v1, 1.0
	v_fmac_f32_e32 v1, v3, v1
	v_mul_f32_e32 v3, v2, v1
	v_fma_f32 v4, -v0, v3, v2
	v_fmac_f32_e32 v3, v4, v1
	v_fma_f32 v0, -v0, v3, v2
	v_div_fmas_f32 v0, v0, v1, v3
	v_div_fixup_f32 v2, v0, v23, 1.0
.LBB52_131:
	v_add_u32_e32 v0, s8, v158
	v_mul_lo_u32 v0, v0, s59
	v_add_u32_e32 v0, s60, v0
	v_mul_lo_u32 v0, s4, v0
	v_add_u32_e32 v0, s5, v0
	s_and_saveexec_b64 s[6:7], s[46:47]
	s_cbranch_execz .LBB52_133
; %bb.132:
	v_cvt_f32_f16_sdwa v7, v175 dst_sel:DWORD dst_unused:UNUSED_PAD src0_sel:WORD_1
	v_cvt_f32_f16_e32 v6, v175
	v_cvt_f32_f16_sdwa v25, v176 dst_sel:DWORD dst_unused:UNUSED_PAD src0_sel:WORD_1
	v_cvt_f32_f16_e32 v24, v176
	s_movk_i32 s9, 0x50
	v_mad_u64_u32 v[4:5], s[10:11], v0, s9, v[124:125]
	v_mov_b32_e32 v5, 0
	v_lshl_add_u64 v[26:27], v[4:5], 2, s[52:53]
	v_pk_mul_f32 v[4:5], v[2:3], v[6:7] op_sel_hi:[0,1]
	v_pk_mul_f32 v[6:7], v[2:3], v[24:25] op_sel_hi:[0,1]
	global_store_dwordx4 v[26:27], v[4:7], off
.LBB52_133:
	s_or_b64 exec, exec, s[6:7]
	s_and_saveexec_b64 s[6:7], s[2:3]
	s_cbranch_execz .LBB52_135
; %bb.134:
	v_ashrrev_i32_e32 v1, 31, v0
	v_lshl_add_u64 v[0:1], v[0:1], 3, s[54:55]
	v_mov_b32_e32 v22, v11
	global_store_dwordx2 v[0:1], v[22:23], off
.LBB52_135:
	s_or_b64 exec, exec, s[6:7]
	v_add_u32_e32 v0, s33, v156
	v_cmp_gt_i32_e32 vcc, s58, v0
	s_and_b64 exec, exec, vcc
	s_cbranch_execz .LBB52_177
; %bb.136:
	s_and_b64 vcc, exec, s[0:1]
	v_mov_b32_e32 v2, 1.0
	s_cbranch_vccnz .LBB52_138
; %bb.137:
	v_div_scale_f32 v0, s[6:7], v20, v20, 1.0
	v_rcp_f32_e32 v1, v0
	v_div_scale_f32 v2, vcc, 1.0, v20, 1.0
	v_fma_f32 v3, -v0, v1, 1.0
	v_fmac_f32_e32 v1, v3, v1
	v_mul_f32_e32 v3, v2, v1
	v_fma_f32 v4, -v0, v3, v2
	v_fmac_f32_e32 v3, v4, v1
	v_fma_f32 v0, -v0, v3, v2
	v_div_fmas_f32 v0, v0, v1, v3
	v_div_fixup_f32 v2, v0, v20, 1.0
.LBB52_138:
	v_add_u32_e32 v0, s8, v156
	v_mul_lo_u32 v0, v0, s59
	v_add_u32_e32 v0, s60, v0
	v_mul_lo_u32 v0, s4, v0
	v_add_u32_e32 v0, s5, v0
	s_and_saveexec_b64 s[6:7], s[46:47]
	s_cbranch_execz .LBB52_140
; %bb.139:
	v_cvt_f32_f16_sdwa v7, v173 dst_sel:DWORD dst_unused:UNUSED_PAD src0_sel:WORD_1
	v_cvt_f32_f16_e32 v6, v173
	v_cvt_f32_f16_sdwa v11, v174 dst_sel:DWORD dst_unused:UNUSED_PAD src0_sel:WORD_1
	v_cvt_f32_f16_e32 v10, v174
	s_movk_i32 s9, 0x50
	v_mad_u64_u32 v[4:5], s[10:11], v0, s9, v[124:125]
	v_mov_b32_e32 v5, 0
	v_lshl_add_u64 v[22:23], v[4:5], 2, s[52:53]
	v_pk_mul_f32 v[4:5], v[2:3], v[6:7] op_sel_hi:[0,1]
	v_pk_mul_f32 v[6:7], v[2:3], v[10:11] op_sel_hi:[0,1]
	global_store_dwordx4 v[22:23], v[4:7], off
.LBB52_140:
	s_or_b64 exec, exec, s[6:7]
	s_and_saveexec_b64 s[6:7], s[2:3]
	s_cbranch_execz .LBB52_142
; %bb.141:
	v_ashrrev_i32_e32 v1, 31, v0
	v_lshl_add_u64 v[0:1], v[0:1], 3, s[54:55]
	v_mov_b32_e32 v2, v12
	v_mov_b32_e32 v3, v20
	global_store_dwordx2 v[0:1], v[2:3], off
.LBB52_142:
	s_or_b64 exec, exec, s[6:7]
	v_add_u32_e32 v0, s33, v155
	v_cmp_gt_i32_e32 vcc, s58, v0
	s_and_b64 exec, exec, vcc
	s_cbranch_execz .LBB52_177
; %bb.143:
	s_and_b64 vcc, exec, s[0:1]
	v_mov_b32_e32 v2, 1.0
	s_cbranch_vccnz .LBB52_145
; %bb.144:
	v_div_scale_f32 v0, s[6:7], v21, v21, 1.0
	v_rcp_f32_e32 v1, v0
	v_div_scale_f32 v2, vcc, 1.0, v21, 1.0
	v_fma_f32 v3, -v0, v1, 1.0
	v_fmac_f32_e32 v1, v3, v1
	v_mul_f32_e32 v3, v2, v1
	v_fma_f32 v4, -v0, v3, v2
	v_fmac_f32_e32 v3, v4, v1
	v_fma_f32 v0, -v0, v3, v2
	v_div_fmas_f32 v0, v0, v1, v3
	v_div_fixup_f32 v2, v0, v21, 1.0
.LBB52_145:
	v_add_u32_e32 v0, s8, v155
	v_mul_lo_u32 v0, v0, s59
	v_add_u32_e32 v0, s60, v0
	v_mul_lo_u32 v0, s4, v0
	v_add_u32_e32 v0, s5, v0
	s_and_saveexec_b64 s[6:7], s[46:47]
	s_cbranch_execz .LBB52_147
; %bb.146:
	v_cvt_f32_f16_sdwa v7, v171 dst_sel:DWORD dst_unused:UNUSED_PAD src0_sel:WORD_1
	v_cvt_f32_f16_e32 v6, v171
	v_cvt_f32_f16_sdwa v11, v172 dst_sel:DWORD dst_unused:UNUSED_PAD src0_sel:WORD_1
	v_cvt_f32_f16_e32 v10, v172
	s_movk_i32 s9, 0x50
	v_mad_u64_u32 v[4:5], s[10:11], v0, s9, v[124:125]
	v_mov_b32_e32 v5, 0
	v_lshl_add_u64 v[22:23], v[4:5], 2, s[52:53]
	v_pk_mul_f32 v[4:5], v[2:3], v[6:7] op_sel_hi:[0,1]
	v_pk_mul_f32 v[6:7], v[2:3], v[10:11] op_sel_hi:[0,1]
	global_store_dwordx4 v[22:23], v[4:7], off
.LBB52_147:
	s_or_b64 exec, exec, s[6:7]
	s_and_saveexec_b64 s[6:7], s[2:3]
	s_cbranch_execz .LBB52_149
; %bb.148:
	v_ashrrev_i32_e32 v1, 31, v0
	v_lshl_add_u64 v[0:1], v[0:1], 3, s[54:55]
	v_mov_b32_e32 v20, v13
	global_store_dwordx2 v[0:1], v[20:21], off
.LBB52_149:
	s_or_b64 exec, exec, s[6:7]
	v_add_u32_e32 v0, s33, v154
	v_cmp_gt_i32_e32 vcc, s58, v0
	s_and_b64 exec, exec, vcc
	s_cbranch_execz .LBB52_177
; %bb.150:
	s_and_b64 vcc, exec, s[0:1]
	v_mov_b32_e32 v2, 1.0
	s_cbranch_vccnz .LBB52_152
; %bb.151:
	v_div_scale_f32 v0, s[6:7], v18, v18, 1.0
	v_rcp_f32_e32 v1, v0
	v_div_scale_f32 v2, vcc, 1.0, v18, 1.0
	v_fma_f32 v3, -v0, v1, 1.0
	v_fmac_f32_e32 v1, v3, v1
	v_mul_f32_e32 v3, v2, v1
	v_fma_f32 v4, -v0, v3, v2
	v_fmac_f32_e32 v3, v4, v1
	v_fma_f32 v0, -v0, v3, v2
	v_div_fmas_f32 v0, v0, v1, v3
	v_div_fixup_f32 v2, v0, v18, 1.0
.LBB52_152:
	v_add_u32_e32 v0, s8, v154
	v_mul_lo_u32 v0, v0, s59
	v_add_u32_e32 v0, s60, v0
	v_mul_lo_u32 v0, s4, v0
	v_add_u32_e32 v0, s5, v0
	s_and_saveexec_b64 s[6:7], s[46:47]
	s_cbranch_execz .LBB52_154
; %bb.153:
	v_cvt_f32_f16_sdwa v7, v169 dst_sel:DWORD dst_unused:UNUSED_PAD src0_sel:WORD_1
	v_cvt_f32_f16_e32 v6, v169
	v_cvt_f32_f16_sdwa v11, v170 dst_sel:DWORD dst_unused:UNUSED_PAD src0_sel:WORD_1
	v_cvt_f32_f16_e32 v10, v170
	s_movk_i32 s9, 0x50
	v_mad_u64_u32 v[4:5], s[10:11], v0, s9, v[124:125]
	v_mov_b32_e32 v5, 0
	v_lshl_add_u64 v[12:13], v[4:5], 2, s[52:53]
	v_pk_mul_f32 v[4:5], v[2:3], v[6:7] op_sel_hi:[0,1]
	v_pk_mul_f32 v[6:7], v[2:3], v[10:11] op_sel_hi:[0,1]
	global_store_dwordx4 v[12:13], v[4:7], off
.LBB52_154:
	s_or_b64 exec, exec, s[6:7]
	s_and_saveexec_b64 s[6:7], s[2:3]
	s_cbranch_execz .LBB52_156
; %bb.155:
	v_ashrrev_i32_e32 v1, 31, v0
	v_lshl_add_u64 v[0:1], v[0:1], 3, s[54:55]
	v_mov_b32_e32 v2, v14
	v_mov_b32_e32 v3, v18
	global_store_dwordx2 v[0:1], v[2:3], off
.LBB52_156:
	s_or_b64 exec, exec, s[6:7]
	v_add_u32_e32 v0, s33, v153
	v_cmp_gt_i32_e32 vcc, s58, v0
	s_and_b64 exec, exec, vcc
	s_cbranch_execz .LBB52_177
; %bb.157:
	s_and_b64 vcc, exec, s[0:1]
	v_mov_b32_e32 v2, 1.0
	s_cbranch_vccnz .LBB52_159
; %bb.158:
	v_div_scale_f32 v0, s[6:7], v19, v19, 1.0
	v_rcp_f32_e32 v1, v0
	v_div_scale_f32 v2, vcc, 1.0, v19, 1.0
	v_fma_f32 v3, -v0, v1, 1.0
	v_fmac_f32_e32 v1, v3, v1
	v_mul_f32_e32 v3, v2, v1
	v_fma_f32 v4, -v0, v3, v2
	v_fmac_f32_e32 v3, v4, v1
	v_fma_f32 v0, -v0, v3, v2
	v_div_fmas_f32 v0, v0, v1, v3
	v_div_fixup_f32 v2, v0, v19, 1.0
.LBB52_159:
	v_add_u32_e32 v0, s8, v153
	v_mul_lo_u32 v0, v0, s59
	v_add_u32_e32 v0, s60, v0
	v_mul_lo_u32 v0, s4, v0
	v_add_u32_e32 v0, s5, v0
	s_and_saveexec_b64 s[6:7], s[46:47]
	s_cbranch_execz .LBB52_161
; %bb.160:
	v_cvt_f32_f16_sdwa v7, v167 dst_sel:DWORD dst_unused:UNUSED_PAD src0_sel:WORD_1
	v_cvt_f32_f16_e32 v6, v167
	v_cvt_f32_f16_sdwa v11, v168 dst_sel:DWORD dst_unused:UNUSED_PAD src0_sel:WORD_1
	v_cvt_f32_f16_e32 v10, v168
	s_movk_i32 s9, 0x50
	v_mad_u64_u32 v[4:5], s[10:11], v0, s9, v[124:125]
	v_mov_b32_e32 v5, 0
	v_lshl_add_u64 v[12:13], v[4:5], 2, s[52:53]
	v_pk_mul_f32 v[4:5], v[2:3], v[6:7] op_sel_hi:[0,1]
	v_pk_mul_f32 v[6:7], v[2:3], v[10:11] op_sel_hi:[0,1]
	global_store_dwordx4 v[12:13], v[4:7], off
.LBB52_161:
	s_or_b64 exec, exec, s[6:7]
	s_and_saveexec_b64 s[6:7], s[2:3]
	s_cbranch_execz .LBB52_163
; %bb.162:
	v_ashrrev_i32_e32 v1, 31, v0
	v_lshl_add_u64 v[0:1], v[0:1], 3, s[54:55]
	v_mov_b32_e32 v18, v15
	global_store_dwordx2 v[0:1], v[18:19], off
.LBB52_163:
	s_or_b64 exec, exec, s[6:7]
	v_add_u32_e32 v0, s33, v152
	v_cmp_gt_i32_e32 vcc, s58, v0
	s_and_b64 exec, exec, vcc
	s_cbranch_execz .LBB52_177
; %bb.164:
	s_and_b64 vcc, exec, s[0:1]
	v_mov_b32_e32 v2, 1.0
	s_cbranch_vccnz .LBB52_166
; %bb.165:
	v_div_scale_f32 v0, s[6:7], v8, v8, 1.0
	v_rcp_f32_e32 v1, v0
	v_div_scale_f32 v2, vcc, 1.0, v8, 1.0
	v_fma_f32 v3, -v0, v1, 1.0
	v_fmac_f32_e32 v1, v3, v1
	v_mul_f32_e32 v3, v2, v1
	v_fma_f32 v4, -v0, v3, v2
	v_fmac_f32_e32 v3, v4, v1
	v_fma_f32 v0, -v0, v3, v2
	v_div_fmas_f32 v0, v0, v1, v3
	v_div_fixup_f32 v2, v0, v8, 1.0
.LBB52_166:
	v_add_u32_e32 v0, s8, v152
	v_mul_lo_u32 v0, v0, s59
	v_add_u32_e32 v0, s60, v0
	v_mul_lo_u32 v0, s4, v0
	v_add_u32_e32 v0, s5, v0
	s_and_saveexec_b64 s[6:7], s[46:47]
	s_cbranch_execz .LBB52_168
; %bb.167:
	v_cvt_f32_f16_sdwa v7, v165 dst_sel:DWORD dst_unused:UNUSED_PAD src0_sel:WORD_1
	v_cvt_f32_f16_e32 v6, v165
	v_cvt_f32_f16_sdwa v11, v166 dst_sel:DWORD dst_unused:UNUSED_PAD src0_sel:WORD_1
	v_cvt_f32_f16_e32 v10, v166
	s_movk_i32 s9, 0x50
	v_mad_u64_u32 v[4:5], s[10:11], v0, s9, v[124:125]
	v_mov_b32_e32 v5, 0
	v_lshl_add_u64 v[12:13], v[4:5], 2, s[52:53]
	v_pk_mul_f32 v[4:5], v[2:3], v[6:7] op_sel_hi:[0,1]
	v_pk_mul_f32 v[6:7], v[2:3], v[10:11] op_sel_hi:[0,1]
	global_store_dwordx4 v[12:13], v[4:7], off
.LBB52_168:
	s_or_b64 exec, exec, s[6:7]
	s_and_saveexec_b64 s[6:7], s[2:3]
	s_cbranch_execz .LBB52_170
; %bb.169:
	v_ashrrev_i32_e32 v1, 31, v0
	v_lshl_add_u64 v[0:1], v[0:1], 3, s[54:55]
	v_mov_b32_e32 v2, v16
	v_mov_b32_e32 v3, v8
	global_store_dwordx2 v[0:1], v[2:3], off
.LBB52_170:
	s_or_b64 exec, exec, s[6:7]
	v_add_u32_e32 v0, s33, v125
	v_cmp_gt_i32_e32 vcc, s58, v0
	s_and_b64 exec, exec, vcc
	s_cbranch_execz .LBB52_177
; %bb.171:
	s_and_b64 vcc, exec, s[0:1]
	v_mov_b32_e32 v2, 1.0
	s_cbranch_vccnz .LBB52_173
; %bb.172:
	v_div_scale_f32 v0, s[0:1], v9, v9, 1.0
	v_rcp_f32_e32 v1, v0
	v_div_scale_f32 v2, vcc, 1.0, v9, 1.0
	v_fma_f32 v3, -v0, v1, 1.0
	v_fmac_f32_e32 v1, v3, v1
	v_mul_f32_e32 v3, v2, v1
	v_fma_f32 v4, -v0, v3, v2
	v_fmac_f32_e32 v3, v4, v1
	v_fma_f32 v0, -v0, v3, v2
	v_div_fmas_f32 v0, v0, v1, v3
	v_div_fixup_f32 v2, v0, v9, 1.0
.LBB52_173:
	v_add_u32_e32 v0, s8, v125
	v_mul_lo_u32 v0, v0, s59
	v_add_u32_e32 v0, s60, v0
	v_mul_lo_u32 v0, s4, v0
	v_add_u32_e32 v0, s5, v0
	s_and_saveexec_b64 s[0:1], s[46:47]
	s_cbranch_execz .LBB52_175
; %bb.174:
	v_cvt_f32_f16_sdwa v7, v162 dst_sel:DWORD dst_unused:UNUSED_PAD src0_sel:WORD_1
	v_cvt_f32_f16_e32 v6, v162
	v_cvt_f32_f16_sdwa v11, v163 dst_sel:DWORD dst_unused:UNUSED_PAD src0_sel:WORD_1
	v_cvt_f32_f16_e32 v10, v163
	s_movk_i32 s4, 0x50
	v_mad_u64_u32 v[4:5], s[4:5], v0, s4, v[124:125]
	v_mov_b32_e32 v5, 0
	v_lshl_add_u64 v[12:13], v[4:5], 2, s[52:53]
	v_pk_mul_f32 v[4:5], v[2:3], v[6:7] op_sel_hi:[0,1]
	v_pk_mul_f32 v[6:7], v[2:3], v[10:11] op_sel_hi:[0,1]
	global_store_dwordx4 v[12:13], v[4:7], off
.LBB52_175:
	s_or_b64 exec, exec, s[0:1]
	s_and_b64 exec, exec, s[2:3]
	s_cbranch_execz .LBB52_177
; %bb.176:
	v_ashrrev_i32_e32 v1, 31, v0
	v_lshl_add_u64 v[0:1], v[0:1], 3, s[54:55]
	v_mov_b32_e32 v8, v17
	global_store_dwordx2 v[0:1], v[8:9], off
.LBB52_177:
	s_endpgm
	.section	.rodata,"a",@progbits
	.p2align	6, 0x0
	.amdhsa_kernel _ZL15flash_attn_tileILi80ELi80ELi64ELi1ELb0EEvPKcS1_S1_S1_S1_PKiPfP15HIP_vector_typeIfLj2EEffffjfiS5_IjLj3EEiiiiiiiiiiiliiliiiiil
		.amdhsa_group_segment_fixed_size 21696
		.amdhsa_private_segment_fixed_size 32
		.amdhsa_kernarg_size 464
		.amdhsa_user_sgpr_count 4
		.amdhsa_user_sgpr_dispatch_ptr 1
		.amdhsa_user_sgpr_queue_ptr 0
		.amdhsa_user_sgpr_kernarg_segment_ptr 1
		.amdhsa_user_sgpr_dispatch_id 0
		.amdhsa_user_sgpr_kernarg_preload_length 0
		.amdhsa_user_sgpr_kernarg_preload_offset 0
		.amdhsa_user_sgpr_private_segment_size 0
		.amdhsa_uses_dynamic_stack 0
		.amdhsa_enable_private_segment 1
		.amdhsa_system_sgpr_workgroup_id_x 1
		.amdhsa_system_sgpr_workgroup_id_y 1
		.amdhsa_system_sgpr_workgroup_id_z 1
		.amdhsa_system_sgpr_workgroup_info 0
		.amdhsa_system_vgpr_workitem_id 2
		.amdhsa_next_free_vgpr 208
		.amdhsa_next_free_sgpr 83
		.amdhsa_accum_offset 208
		.amdhsa_reserve_vcc 1
		.amdhsa_float_round_mode_32 0
		.amdhsa_float_round_mode_16_64 0
		.amdhsa_float_denorm_mode_32 3
		.amdhsa_float_denorm_mode_16_64 3
		.amdhsa_dx10_clamp 1
		.amdhsa_ieee_mode 1
		.amdhsa_fp16_overflow 0
		.amdhsa_tg_split 0
		.amdhsa_exception_fp_ieee_invalid_op 0
		.amdhsa_exception_fp_denorm_src 0
		.amdhsa_exception_fp_ieee_div_zero 0
		.amdhsa_exception_fp_ieee_overflow 0
		.amdhsa_exception_fp_ieee_underflow 0
		.amdhsa_exception_fp_ieee_inexact 0
		.amdhsa_exception_int_div_zero 0
	.end_amdhsa_kernel
	.section	.text._ZL15flash_attn_tileILi80ELi80ELi64ELi1ELb0EEvPKcS1_S1_S1_S1_PKiPfP15HIP_vector_typeIfLj2EEffffjfiS5_IjLj3EEiiiiiiiiiiiliiliiiiil,"axG",@progbits,_ZL15flash_attn_tileILi80ELi80ELi64ELi1ELb0EEvPKcS1_S1_S1_S1_PKiPfP15HIP_vector_typeIfLj2EEffffjfiS5_IjLj3EEiiiiiiiiiiiliiliiiiil,comdat
.Lfunc_end52:
	.size	_ZL15flash_attn_tileILi80ELi80ELi64ELi1ELb0EEvPKcS1_S1_S1_S1_PKiPfP15HIP_vector_typeIfLj2EEffffjfiS5_IjLj3EEiiiiiiiiiiiliiliiiiil, .Lfunc_end52-_ZL15flash_attn_tileILi80ELi80ELi64ELi1ELb0EEvPKcS1_S1_S1_S1_PKiPfP15HIP_vector_typeIfLj2EEffffjfiS5_IjLj3EEiiiiiiiiiiiliiliiiiil
                                        ; -- End function
	.section	.AMDGPU.csdata,"",@progbits
; Kernel info:
; codeLenInByte = 35400
; NumSgprs: 89
; NumVgprs: 208
; NumAgprs: 0
; TotalNumVgprs: 208
; ScratchSize: 32
; MemoryBound: 0
; FloatMode: 240
; IeeeMode: 1
; LDSByteSize: 21696 bytes/workgroup (compile time only)
; SGPRBlocks: 11
; VGPRBlocks: 25
; NumSGPRsForWavesPerEU: 89
; NumVGPRsForWavesPerEU: 208
; AccumOffset: 208
; Occupancy: 2
; WaveLimiterHint : 1
; COMPUTE_PGM_RSRC2:SCRATCH_EN: 1
; COMPUTE_PGM_RSRC2:USER_SGPR: 4
; COMPUTE_PGM_RSRC2:TRAP_HANDLER: 0
; COMPUTE_PGM_RSRC2:TGID_X_EN: 1
; COMPUTE_PGM_RSRC2:TGID_Y_EN: 1
; COMPUTE_PGM_RSRC2:TGID_Z_EN: 1
; COMPUTE_PGM_RSRC2:TIDIG_COMP_CNT: 2
; COMPUTE_PGM_RSRC3_GFX90A:ACCUM_OFFSET: 51
; COMPUTE_PGM_RSRC3_GFX90A:TG_SPLIT: 0
	.section	.text._ZL25flash_attn_mask_to_KV_maxILi64EEvPK7__half2Piiii,"axG",@progbits,_ZL25flash_attn_mask_to_KV_maxILi64EEvPK7__half2Piiii,comdat
	.globl	_ZL25flash_attn_mask_to_KV_maxILi64EEvPK7__half2Piiii ; -- Begin function _ZL25flash_attn_mask_to_KV_maxILi64EEvPK7__half2Piiii
	.p2align	8
	.type	_ZL25flash_attn_mask_to_KV_maxILi64EEvPK7__half2Piiii,@function
_ZL25flash_attn_mask_to_KV_maxILi64EEvPK7__half2Piiii: ; @_ZL25flash_attn_mask_to_KV_maxILi64EEvPK7__half2Piiii
; %bb.0:
	s_load_dwordx4 s[4:7], s[0:1], 0x0
	v_cmp_gt_u32_e32 vcc, 32, v0
	s_and_saveexec_b64 s[8:9], vcc
	s_cbranch_execz .LBB53_2
; %bb.1:
	v_lshlrev_b32_e32 v1, 2, v0
	v_mov_b32_e32 v2, 1
	ds_write_b32 v1, v2
.LBB53_2:
	s_or_b64 exec, exec, s[8:9]
	s_load_dwordx4 s[8:11], s[0:1], 0x10
	s_load_dword s33, s[0:1], 0x20
	v_and_b32_e32 v2, 31, v0
	v_lshlrev_b32_e32 v6, 2, v2
	v_lshrrev_b32_e32 v1, 3, v0
	s_waitcnt lgkmcnt(0)
	s_mul_i32 s1, s2, s9
	s_mul_i32 s0, s3, s10
	s_lshl_b32 s1, s1, 6
	s_add_i32 s0, s0, s1
	s_ashr_i32 s1, s0, 31
	s_lshl_b64 s[0:1], s[0:1], 2
	s_add_u32 s10, s4, s0
	s_addc_u32 s11, s5, s1
	v_cmp_eq_u32_e64 s[0:1], 0, v2
	v_mbcnt_lo_u32_b32 v2, -1, 0
	s_lshl_b32 s8, s8, 8
	s_mov_b64 s[12:13], 0
	v_mov_b32_e32 v3, 0
	s_movk_i32 s98, 0x204
	s_movk_i32 s99, 0x7fff
	;; [unrolled: 1-line block ×3, first 2 shown]
	v_mbcnt_hi_u32_b32 v7, -1, v2
	s_barrier
	s_waitcnt lgkmcnt(0)
                                        ; implicit-def: $sgpr4_sgpr5
	s_branch .LBB53_5
.LBB53_3:                               ;   in Loop: Header=BB53_5 Depth=1
	s_or_b64 exec, exec, s[14:15]
	s_waitcnt lgkmcnt(0)
	s_barrier
	ds_read_b32 v10, v6
	s_waitcnt lgkmcnt(0)
	s_barrier
	ds_bpermute_b32 v2, v2, v10
	v_cmp_ne_u32_e32 vcc, 0, v10
	s_waitcnt lgkmcnt(0)
	v_cmp_ne_u32_e64 s[4:5], 0, v2
	s_and_b64 s[4:5], vcc, s[4:5]
	s_nop 0
	v_cndmask_b32_e64 v2, 0, 1, s[4:5]
	ds_bpermute_b32 v2, v4, v2
	s_waitcnt lgkmcnt(0)
	v_cmp_ne_u32_e32 vcc, 0, v2
	s_and_b64 s[4:5], vcc, s[4:5]
	v_cndmask_b32_e64 v2, 0, 1, s[4:5]
	ds_bpermute_b32 v2, v5, v2
	s_waitcnt lgkmcnt(0)
	v_cmp_ne_u32_e32 vcc, 0, v2
	s_and_b64 s[4:5], vcc, s[4:5]
	;; [unrolled: 5-line block ×3, first 2 shown]
	v_cndmask_b32_e64 v2, 0, 1, s[4:5]
	ds_bpermute_b32 v2, v9, v2
	s_xor_b64 s[4:5], s[4:5], -1
	s_waitcnt lgkmcnt(0)
	v_cmp_eq_u32_e32 vcc, 0, v2
	s_or_b64 s[4:5], vcc, s[4:5]
.LBB53_4:                               ;   in Loop: Header=BB53_5 Depth=1
	s_and_b64 s[14:15], exec, s[4:5]
	s_or_b64 s[12:13], s[14:15], s[12:13]
	v_mov_b32_e32 v2, s8
	s_mov_b32 s8, s97
	s_andn2_b64 exec, exec, s[12:13]
	s_cbranch_execz .LBB53_260
.LBB53_5:                               ; =>This Inner Loop Header: Depth=1
	s_add_i32 s97, s8, 0xffffff00
	s_or_b64 s[4:5], s[4:5], exec
	s_cmp_lt_i32 s97, 0
	s_cbranch_scc1 .LBB53_4
; %bb.6:                                ;   in Loop: Header=BB53_5 Depth=1
	s_lshr_b32 s4, s97, 1
	v_add_u32_e32 v2, s4, v0
	v_lshl_add_u64 v[4:5], v[2:3], 2, s[10:11]
	global_load_dword v4, v[4:5], off
	s_mov_b64 s[14:15], 0
	s_waitcnt vmcnt(0)
	v_cmp_class_f16_e64 s[4:5], v4, s98
	v_and_b32_sdwa v4, s99, v4 dst_sel:DWORD dst_unused:UNUSED_PAD src0_sel:DWORD src1_sel:WORD_1
	v_cmp_eq_f16_e32 vcc, s96, v4
	s_and_b64 s[16:17], s[4:5], vcc
	s_and_saveexec_b64 s[4:5], s[16:17]
	s_cbranch_execz .LBB53_258
; %bb.7:                                ;   in Loop: Header=BB53_5 Depth=1
	v_add_u32_e32 v4, s9, v2
	v_ashrrev_i32_e32 v5, 31, v4
	v_lshl_add_u64 v[8:9], v[4:5], 2, s[10:11]
	global_load_dword v2, v[8:9], off
	s_mov_b64 s[16:17], 0
	s_waitcnt vmcnt(0)
	v_cmp_class_f16_e64 s[18:19], v2, s98
	s_and_saveexec_b64 s[14:15], s[18:19]
	s_cbranch_execz .LBB53_257
; %bb.8:                                ;   in Loop: Header=BB53_5 Depth=1
	v_cmp_class_f16_sdwa s[20:21], v2, s98 src0_sel:WORD_1 src1_sel:DWORD
	s_mov_b64 s[18:19], 0
	s_and_saveexec_b64 s[16:17], s[20:21]
	s_cbranch_execz .LBB53_256
; %bb.9:                                ;   in Loop: Header=BB53_5 Depth=1
	v_add_u32_e32 v4, s9, v4
	v_ashrrev_i32_e32 v5, 31, v4
	v_lshl_add_u64 v[8:9], v[4:5], 2, s[10:11]
	global_load_dword v2, v[8:9], off
	s_mov_b64 s[20:21], 0
	s_waitcnt vmcnt(0)
	v_cmp_class_f16_e64 s[22:23], v2, s98
	s_and_saveexec_b64 s[18:19], s[22:23]
	s_cbranch_execz .LBB53_255
; %bb.10:                               ;   in Loop: Header=BB53_5 Depth=1
	v_cmp_class_f16_sdwa s[24:25], v2, s98 src0_sel:WORD_1 src1_sel:DWORD
	s_mov_b64 s[22:23], 0
	s_and_saveexec_b64 s[20:21], s[24:25]
	s_cbranch_execz .LBB53_254
; %bb.11:                               ;   in Loop: Header=BB53_5 Depth=1
	v_add_u32_e32 v4, s9, v4
	v_ashrrev_i32_e32 v5, 31, v4
	v_lshl_add_u64 v[8:9], v[4:5], 2, s[10:11]
	global_load_dword v2, v[8:9], off
	s_mov_b64 s[24:25], 0
	s_waitcnt vmcnt(0)
	v_cmp_class_f16_e64 s[26:27], v2, s98
	s_and_saveexec_b64 s[22:23], s[26:27]
	s_cbranch_execz .LBB53_253
; %bb.12:                               ;   in Loop: Header=BB53_5 Depth=1
	v_cmp_class_f16_sdwa s[28:29], v2, s98 src0_sel:WORD_1 src1_sel:DWORD
	s_mov_b64 s[26:27], 0
	s_and_saveexec_b64 s[24:25], s[28:29]
	s_cbranch_execz .LBB53_252
; %bb.13:                               ;   in Loop: Header=BB53_5 Depth=1
	;; [unrolled: 15-line block ×18, first 2 shown]
	v_add_u32_e32 v4, s9, v4
	v_ashrrev_i32_e32 v5, 31, v4
	v_lshl_add_u64 v[8:9], v[4:5], 2, s[10:11]
	global_load_dword v2, v[8:9], off
	s_mov_b64 s[94:95], 0
	s_waitcnt vmcnt(0)
	v_cmp_class_f16_e64 vcc, v2, s98
	s_mov_b64 s[92:93], exec
                                        ; implicit-def: $vgpr14 : SGPR spill to VGPR lane
	v_writelane_b32 v14, s92, 0
	s_and_b64 vcc, s[92:93], vcc
	s_nop 0
	v_writelane_b32 v14, s93, 1
	s_mov_b64 exec, vcc
	s_cbranch_execz .LBB53_219
; %bb.46:                               ;   in Loop: Header=BB53_5 Depth=1
	v_cmp_class_f16_sdwa s[94:95], v2, s98 src0_sel:WORD_1 src1_sel:DWORD
	s_mov_b64 vcc, 0
	s_mov_b64 s[92:93], exec
	v_writelane_b32 v14, s92, 2
	s_and_b64 s[94:95], s[92:93], s[94:95]
	s_nop 0
	v_writelane_b32 v14, s93, 3
	s_mov_b64 exec, s[94:95]
	s_cbranch_execz .LBB53_218
; %bb.47:                               ;   in Loop: Header=BB53_5 Depth=1
	v_add_u32_e32 v4, s9, v4
	v_ashrrev_i32_e32 v5, 31, v4
	v_lshl_add_u64 v[8:9], v[4:5], 2, s[10:11]
	global_load_dword v2, v[8:9], off
	s_waitcnt vmcnt(0)
	v_cmp_class_f16_e64 s[94:95], v2, s98
	s_mov_b64 s[92:93], exec
	v_writelane_b32 v14, s92, 4
	s_and_b64 s[94:95], s[92:93], s[94:95]
	s_nop 0
	v_writelane_b32 v14, s93, 5
	s_mov_b64 exec, s[94:95]
	s_cbranch_execz .LBB53_217
; %bb.48:                               ;   in Loop: Header=BB53_5 Depth=1
	v_cmp_class_f16_sdwa s[94:95], v2, s98 src0_sel:WORD_1 src1_sel:DWORD
	s_mov_b64 vcc, 0
	s_mov_b64 s[92:93], exec
	v_writelane_b32 v14, s92, 6
	s_and_b64 s[94:95], s[92:93], s[94:95]
	s_nop 0
	v_writelane_b32 v14, s93, 7
	s_mov_b64 exec, s[94:95]
	s_cbranch_execz .LBB53_216
; %bb.49:                               ;   in Loop: Header=BB53_5 Depth=1
	v_add_u32_e32 v4, s9, v4
	v_ashrrev_i32_e32 v5, 31, v4
	v_lshl_add_u64 v[8:9], v[4:5], 2, s[10:11]
	global_load_dword v2, v[8:9], off
	s_waitcnt vmcnt(0)
	v_cmp_class_f16_e64 s[94:95], v2, s98
	s_mov_b64 s[92:93], exec
	v_writelane_b32 v14, s92, 8
	s_and_b64 s[94:95], s[92:93], s[94:95]
	s_nop 0
	v_writelane_b32 v14, s93, 9
	s_mov_b64 exec, s[94:95]
	;; [unrolled: 24-line block ×15, first 2 shown]
	s_cbranch_execz .LBB53_189
; %bb.76:                               ;   in Loop: Header=BB53_5 Depth=1
	v_cmp_class_f16_sdwa s[94:95], v2, s98 src0_sel:WORD_1 src1_sel:DWORD
	s_mov_b64 vcc, 0
	s_mov_b64 s[92:93], exec
	v_writelane_b32 v14, s92, 62
	s_and_b64 s[94:95], s[92:93], s[94:95]
	s_nop 0
	v_writelane_b32 v14, s93, 63
	s_mov_b64 exec, s[94:95]
	s_cbranch_execz .LBB53_188
; %bb.77:                               ;   in Loop: Header=BB53_5 Depth=1
	v_add_u32_e32 v4, s9, v4
	v_ashrrev_i32_e32 v5, 31, v4
	v_lshl_add_u64 v[8:9], v[4:5], 2, s[10:11]
	global_load_dword v2, v[8:9], off
	s_waitcnt vmcnt(0)
	v_cmp_class_f16_e64 s[94:95], v2, s98
	s_mov_b64 s[92:93], exec
                                        ; implicit-def: $vgpr13 : SGPR spill to VGPR lane
	v_writelane_b32 v13, s92, 0
	s_and_b64 s[94:95], s[92:93], s[94:95]
	s_nop 0
	v_writelane_b32 v13, s93, 1
	s_mov_b64 exec, s[94:95]
	s_cbranch_execz .LBB53_187
; %bb.78:                               ;   in Loop: Header=BB53_5 Depth=1
	v_cmp_class_f16_sdwa s[94:95], v2, s98 src0_sel:WORD_1 src1_sel:DWORD
	s_mov_b64 vcc, 0
	s_mov_b64 s[92:93], exec
	v_writelane_b32 v13, s92, 2
	s_and_b64 s[94:95], s[92:93], s[94:95]
	s_nop 0
	v_writelane_b32 v13, s93, 3
	s_mov_b64 exec, s[94:95]
	s_cbranch_execz .LBB53_186
; %bb.79:                               ;   in Loop: Header=BB53_5 Depth=1
	v_add_u32_e32 v4, s9, v4
	v_ashrrev_i32_e32 v5, 31, v4
	v_lshl_add_u64 v[8:9], v[4:5], 2, s[10:11]
	global_load_dword v2, v[8:9], off
	s_waitcnt vmcnt(0)
	v_cmp_class_f16_e64 s[94:95], v2, s98
	s_mov_b64 s[92:93], exec
	v_writelane_b32 v13, s92, 4
	s_and_b64 s[94:95], s[92:93], s[94:95]
	s_nop 0
	v_writelane_b32 v13, s93, 5
	s_mov_b64 exec, s[94:95]
	s_cbranch_execz .LBB53_185
; %bb.80:                               ;   in Loop: Header=BB53_5 Depth=1
	v_cmp_class_f16_sdwa s[94:95], v2, s98 src0_sel:WORD_1 src1_sel:DWORD
	s_mov_b64 vcc, 0
	s_mov_b64 s[92:93], exec
	v_writelane_b32 v13, s92, 6
	s_and_b64 s[94:95], s[92:93], s[94:95]
	s_nop 0
	v_writelane_b32 v13, s93, 7
	s_mov_b64 exec, s[94:95]
	s_cbranch_execz .LBB53_184
; %bb.81:                               ;   in Loop: Header=BB53_5 Depth=1
	v_add_u32_e32 v4, s9, v4
	v_ashrrev_i32_e32 v5, 31, v4
	v_lshl_add_u64 v[8:9], v[4:5], 2, s[10:11]
	global_load_dword v2, v[8:9], off
	s_waitcnt vmcnt(0)
	v_cmp_class_f16_e64 s[94:95], v2, s98
	s_mov_b64 s[92:93], exec
	;; [unrolled: 24-line block ×11, first 2 shown]
	v_writelane_b32 v13, s92, 44
	s_and_b64 s[94:95], s[92:93], s[94:95]
	s_nop 0
	v_writelane_b32 v13, s93, 45
	s_mov_b64 exec, s[94:95]
	s_cbranch_execz .LBB53_165
; %bb.100:                              ;   in Loop: Header=BB53_5 Depth=1
	v_cmp_class_f16_sdwa s[94:95], v2, s98 src0_sel:WORD_1 src1_sel:DWORD
	s_mov_b64 vcc, 0
	s_mov_b64 s[92:93], exec
	v_writelane_b32 v13, s92, 46
	s_and_b64 s[94:95], s[92:93], s[94:95]
	s_nop 0
	v_writelane_b32 v13, s93, 47
	s_mov_b64 exec, s[94:95]
	s_cbranch_execz .LBB53_164
; %bb.101:                              ;   in Loop: Header=BB53_5 Depth=1
	v_add_u32_e32 v4, s9, v4
	v_ashrrev_i32_e32 v5, 31, v4
	v_lshl_add_u64 v[8:9], v[4:5], 2, s[10:11]
	global_load_dword v2, v[8:9], off
	s_waitcnt vmcnt(0)
	v_cmp_class_f16_e64 s[94:95], v2, s98
	s_mov_b64 s[92:93], exec
	v_writelane_b32 v13, s92, 48
	s_and_b64 s[94:95], s[92:93], s[94:95]
	s_nop 0
	v_writelane_b32 v13, s93, 49
	s_mov_b64 exec, s[94:95]
	s_cbranch_execz .LBB53_163
; %bb.102:                              ;   in Loop: Header=BB53_5 Depth=1
	v_cmp_class_f16_sdwa s[94:95], v2, s98 src0_sel:WORD_1 src1_sel:DWORD
	s_mov_b64 vcc, 0
	s_mov_b64 s[92:93], exec
	v_writelane_b32 v13, s92, 50
	s_and_b64 s[94:95], s[92:93], s[94:95]
	s_nop 0
	v_writelane_b32 v13, s93, 51
	s_mov_b64 exec, s[94:95]
	s_cbranch_execz .LBB53_162
; %bb.103:                              ;   in Loop: Header=BB53_5 Depth=1
	v_add_u32_e32 v4, s9, v4
	v_ashrrev_i32_e32 v5, 31, v4
	v_lshl_add_u64 v[8:9], v[4:5], 2, s[10:11]
	global_load_dword v2, v[8:9], off
	s_waitcnt vmcnt(0)
	v_cmp_class_f16_e64 s[94:95], v2, s98
	s_mov_b64 s[92:93], exec
	;; [unrolled: 24-line block ×5, first 2 shown]
                                        ; implicit-def: $vgpr12 : SGPR spill to VGPR lane
	v_writelane_b32 v12, s92, 0
	s_and_b64 s[94:95], s[92:93], s[94:95]
	s_nop 0
	v_writelane_b32 v12, s93, 1
	s_mov_b64 exec, s[94:95]
	s_cbranch_execz .LBB53_155
; %bb.110:                              ;   in Loop: Header=BB53_5 Depth=1
	v_cmp_class_f16_sdwa s[94:95], v2, s98 src0_sel:WORD_1 src1_sel:DWORD
	s_mov_b64 vcc, 0
	s_mov_b64 s[92:93], exec
	v_writelane_b32 v12, s92, 2
	s_and_b64 s[94:95], s[92:93], s[94:95]
	s_nop 0
	v_writelane_b32 v12, s93, 3
	s_mov_b64 exec, s[94:95]
	s_cbranch_execz .LBB53_154
; %bb.111:                              ;   in Loop: Header=BB53_5 Depth=1
	v_add_u32_e32 v4, s9, v4
	v_ashrrev_i32_e32 v5, 31, v4
	v_lshl_add_u64 v[8:9], v[4:5], 2, s[10:11]
	global_load_dword v2, v[8:9], off
	s_waitcnt vmcnt(0)
	v_cmp_class_f16_e64 s[94:95], v2, s98
	s_mov_b64 s[92:93], exec
	v_writelane_b32 v12, s92, 4
	s_and_b64 s[94:95], s[92:93], s[94:95]
	s_nop 0
	v_writelane_b32 v12, s93, 5
	s_mov_b64 exec, s[94:95]
	s_cbranch_execz .LBB53_153
; %bb.112:                              ;   in Loop: Header=BB53_5 Depth=1
	v_cmp_class_f16_sdwa s[94:95], v2, s98 src0_sel:WORD_1 src1_sel:DWORD
	s_mov_b64 vcc, 0
	s_mov_b64 s[92:93], exec
	v_writelane_b32 v12, s92, 6
	s_and_b64 s[94:95], s[92:93], s[94:95]
	s_nop 0
	v_writelane_b32 v12, s93, 7
	s_mov_b64 exec, s[94:95]
	s_cbranch_execz .LBB53_152
; %bb.113:                              ;   in Loop: Header=BB53_5 Depth=1
	v_add_u32_e32 v4, s9, v4
	v_ashrrev_i32_e32 v5, 31, v4
	v_lshl_add_u64 v[8:9], v[4:5], 2, s[10:11]
	global_load_dword v2, v[8:9], off
	s_waitcnt vmcnt(0)
	v_cmp_class_f16_e64 s[94:95], v2, s98
	s_mov_b64 s[92:93], exec
	;; [unrolled: 24-line block ×10, first 2 shown]
	v_writelane_b32 v12, s92, 40
	s_and_b64 s[94:95], s[92:93], s[94:95]
	s_nop 0
	v_writelane_b32 v12, s93, 41
	s_mov_b64 exec, s[94:95]
	s_cbranch_execz .LBB53_135
; %bb.130:                              ;   in Loop: Header=BB53_5 Depth=1
	v_cmp_class_f16_sdwa s[94:95], v2, s98 src0_sel:WORD_1 src1_sel:DWORD
	s_mov_b64 vcc, 0
	s_mov_b64 s[92:93], exec
	v_writelane_b32 v12, s92, 42
	s_and_b64 s[94:95], s[92:93], s[94:95]
	s_nop 0
	v_writelane_b32 v12, s93, 43
	s_mov_b64 exec, s[94:95]
	s_cbranch_execz .LBB53_134
; %bb.131:                              ;   in Loop: Header=BB53_5 Depth=1
	v_add_u32_e32 v4, s9, v4
	v_ashrrev_i32_e32 v5, 31, v4
	v_lshl_add_u64 v[4:5], v[4:5], 2, s[10:11]
	global_load_dword v2, v[4:5], off
	s_waitcnt vmcnt(0)
	v_cmp_class_f16_e64 s[94:95], v2, s98
	s_and_saveexec_b64 s[92:93], s[94:95]
; %bb.132:                              ;   in Loop: Header=BB53_5 Depth=1
	v_cmp_class_f16_sdwa s[94:95], v2, s98 src0_sel:WORD_1 src1_sel:DWORD
	s_and_b64 vcc, s[94:95], exec
; %bb.133:                              ;   in Loop: Header=BB53_5 Depth=1
	s_or_b64 exec, exec, s[92:93]
	s_and_b64 vcc, vcc, exec
.LBB53_134:                             ;   in Loop: Header=BB53_5 Depth=1
	v_readlane_b32 s94, v12, 42
	v_readlane_b32 s95, v12, 43
	s_or_b64 exec, exec, s[94:95]
	s_and_b64 vcc, vcc, exec
.LBB53_135:                             ;   in Loop: Header=BB53_5 Depth=1
	v_readlane_b32 s92, v12, 40
	v_readlane_b32 s93, v12, 41
	s_or_b64 exec, exec, s[92:93]
	s_and_b64 vcc, vcc, exec
.LBB53_136:                             ;   in Loop: Header=BB53_5 Depth=1
	v_readlane_b32 s94, v12, 38
	v_readlane_b32 s95, v12, 39
	s_or_b64 exec, exec, s[94:95]
	s_and_b64 vcc, vcc, exec
.LBB53_137:                             ;   in Loop: Header=BB53_5 Depth=1
	v_readlane_b32 s92, v12, 36
	v_readlane_b32 s93, v12, 37
	s_or_b64 exec, exec, s[92:93]
	s_and_b64 vcc, vcc, exec
.LBB53_138:                             ;   in Loop: Header=BB53_5 Depth=1
	v_readlane_b32 s94, v12, 34
	v_readlane_b32 s95, v12, 35
	s_or_b64 exec, exec, s[94:95]
	s_and_b64 vcc, vcc, exec
.LBB53_139:                             ;   in Loop: Header=BB53_5 Depth=1
	v_readlane_b32 s92, v12, 32
	v_readlane_b32 s93, v12, 33
	s_or_b64 exec, exec, s[92:93]
	s_and_b64 vcc, vcc, exec
.LBB53_140:                             ;   in Loop: Header=BB53_5 Depth=1
	v_readlane_b32 s94, v12, 30
	v_readlane_b32 s95, v12, 31
	s_or_b64 exec, exec, s[94:95]
	s_and_b64 vcc, vcc, exec
.LBB53_141:                             ;   in Loop: Header=BB53_5 Depth=1
	v_readlane_b32 s92, v12, 28
	v_readlane_b32 s93, v12, 29
	s_or_b64 exec, exec, s[92:93]
	s_and_b64 vcc, vcc, exec
.LBB53_142:                             ;   in Loop: Header=BB53_5 Depth=1
	v_readlane_b32 s94, v12, 26
	v_readlane_b32 s95, v12, 27
	s_or_b64 exec, exec, s[94:95]
	s_and_b64 vcc, vcc, exec
.LBB53_143:                             ;   in Loop: Header=BB53_5 Depth=1
	v_readlane_b32 s92, v12, 24
	v_readlane_b32 s93, v12, 25
	s_or_b64 exec, exec, s[92:93]
	s_and_b64 vcc, vcc, exec
.LBB53_144:                             ;   in Loop: Header=BB53_5 Depth=1
	v_readlane_b32 s94, v12, 22
	v_readlane_b32 s95, v12, 23
	s_or_b64 exec, exec, s[94:95]
	s_and_b64 vcc, vcc, exec
.LBB53_145:                             ;   in Loop: Header=BB53_5 Depth=1
	v_readlane_b32 s92, v12, 20
	v_readlane_b32 s93, v12, 21
	s_or_b64 exec, exec, s[92:93]
	s_and_b64 vcc, vcc, exec
.LBB53_146:                             ;   in Loop: Header=BB53_5 Depth=1
	v_readlane_b32 s94, v12, 18
	v_readlane_b32 s95, v12, 19
	s_or_b64 exec, exec, s[94:95]
	s_and_b64 vcc, vcc, exec
.LBB53_147:                             ;   in Loop: Header=BB53_5 Depth=1
	v_readlane_b32 s92, v12, 16
	v_readlane_b32 s93, v12, 17
	s_or_b64 exec, exec, s[92:93]
	s_and_b64 vcc, vcc, exec
.LBB53_148:                             ;   in Loop: Header=BB53_5 Depth=1
	v_readlane_b32 s94, v12, 14
	v_readlane_b32 s95, v12, 15
	s_or_b64 exec, exec, s[94:95]
	s_and_b64 vcc, vcc, exec
.LBB53_149:                             ;   in Loop: Header=BB53_5 Depth=1
	v_readlane_b32 s92, v12, 12
	v_readlane_b32 s93, v12, 13
	s_or_b64 exec, exec, s[92:93]
	s_and_b64 vcc, vcc, exec
.LBB53_150:                             ;   in Loop: Header=BB53_5 Depth=1
	v_readlane_b32 s94, v12, 10
	v_readlane_b32 s95, v12, 11
	s_or_b64 exec, exec, s[94:95]
	s_and_b64 vcc, vcc, exec
.LBB53_151:                             ;   in Loop: Header=BB53_5 Depth=1
	v_readlane_b32 s92, v12, 8
	v_readlane_b32 s93, v12, 9
	s_or_b64 exec, exec, s[92:93]
	s_and_b64 vcc, vcc, exec
.LBB53_152:                             ;   in Loop: Header=BB53_5 Depth=1
	v_readlane_b32 s94, v12, 6
	v_readlane_b32 s95, v12, 7
	s_or_b64 exec, exec, s[94:95]
	s_and_b64 vcc, vcc, exec
.LBB53_153:                             ;   in Loop: Header=BB53_5 Depth=1
	v_readlane_b32 s92, v12, 4
	v_readlane_b32 s93, v12, 5
	s_or_b64 exec, exec, s[92:93]
	s_and_b64 vcc, vcc, exec
.LBB53_154:                             ;   in Loop: Header=BB53_5 Depth=1
	v_readlane_b32 s94, v12, 2
	v_readlane_b32 s95, v12, 3
	s_or_b64 exec, exec, s[94:95]
	s_and_b64 vcc, vcc, exec
.LBB53_155:                             ;   in Loop: Header=BB53_5 Depth=1
	v_readlane_b32 s92, v12, 0
	v_readlane_b32 s93, v12, 1
	s_or_b64 exec, exec, s[92:93]
	s_and_b64 vcc, vcc, exec
.LBB53_156:                             ;   in Loop: Header=BB53_5 Depth=1
	v_readlane_b32 s94, v13, 62
	v_readlane_b32 s95, v13, 63
	s_or_b64 exec, exec, s[94:95]
	s_and_b64 vcc, vcc, exec
.LBB53_157:                             ;   in Loop: Header=BB53_5 Depth=1
	v_readlane_b32 s92, v13, 60
	v_readlane_b32 s93, v13, 61
	s_or_b64 exec, exec, s[92:93]
	s_and_b64 vcc, vcc, exec
.LBB53_158:                             ;   in Loop: Header=BB53_5 Depth=1
	v_readlane_b32 s94, v13, 58
	v_readlane_b32 s95, v13, 59
	s_or_b64 exec, exec, s[94:95]
	s_and_b64 vcc, vcc, exec
.LBB53_159:                             ;   in Loop: Header=BB53_5 Depth=1
	v_readlane_b32 s92, v13, 56
	v_readlane_b32 s93, v13, 57
	s_or_b64 exec, exec, s[92:93]
	s_and_b64 vcc, vcc, exec
.LBB53_160:                             ;   in Loop: Header=BB53_5 Depth=1
	v_readlane_b32 s94, v13, 54
	v_readlane_b32 s95, v13, 55
	s_or_b64 exec, exec, s[94:95]
	s_and_b64 vcc, vcc, exec
.LBB53_161:                             ;   in Loop: Header=BB53_5 Depth=1
	v_readlane_b32 s92, v13, 52
	v_readlane_b32 s93, v13, 53
	s_or_b64 exec, exec, s[92:93]
	s_and_b64 vcc, vcc, exec
.LBB53_162:                             ;   in Loop: Header=BB53_5 Depth=1
	v_readlane_b32 s94, v13, 50
	v_readlane_b32 s95, v13, 51
	s_or_b64 exec, exec, s[94:95]
	s_and_b64 vcc, vcc, exec
.LBB53_163:                             ;   in Loop: Header=BB53_5 Depth=1
	v_readlane_b32 s92, v13, 48
	v_readlane_b32 s93, v13, 49
	s_or_b64 exec, exec, s[92:93]
	s_and_b64 vcc, vcc, exec
.LBB53_164:                             ;   in Loop: Header=BB53_5 Depth=1
	v_readlane_b32 s94, v13, 46
	v_readlane_b32 s95, v13, 47
	s_or_b64 exec, exec, s[94:95]
	s_and_b64 vcc, vcc, exec
.LBB53_165:                             ;   in Loop: Header=BB53_5 Depth=1
	v_readlane_b32 s92, v13, 44
	v_readlane_b32 s93, v13, 45
	s_or_b64 exec, exec, s[92:93]
	s_and_b64 vcc, vcc, exec
.LBB53_166:                             ;   in Loop: Header=BB53_5 Depth=1
	v_readlane_b32 s94, v13, 42
	v_readlane_b32 s95, v13, 43
	s_or_b64 exec, exec, s[94:95]
	s_and_b64 vcc, vcc, exec
.LBB53_167:                             ;   in Loop: Header=BB53_5 Depth=1
	v_readlane_b32 s92, v13, 40
	v_readlane_b32 s93, v13, 41
	s_or_b64 exec, exec, s[92:93]
	s_and_b64 vcc, vcc, exec
.LBB53_168:                             ;   in Loop: Header=BB53_5 Depth=1
	v_readlane_b32 s94, v13, 38
	v_readlane_b32 s95, v13, 39
	s_or_b64 exec, exec, s[94:95]
	s_and_b64 vcc, vcc, exec
.LBB53_169:                             ;   in Loop: Header=BB53_5 Depth=1
	v_readlane_b32 s92, v13, 36
	v_readlane_b32 s93, v13, 37
	s_or_b64 exec, exec, s[92:93]
	s_and_b64 vcc, vcc, exec
.LBB53_170:                             ;   in Loop: Header=BB53_5 Depth=1
	v_readlane_b32 s94, v13, 34
	v_readlane_b32 s95, v13, 35
	s_or_b64 exec, exec, s[94:95]
	s_and_b64 vcc, vcc, exec
.LBB53_171:                             ;   in Loop: Header=BB53_5 Depth=1
	v_readlane_b32 s92, v13, 32
	v_readlane_b32 s93, v13, 33
	s_or_b64 exec, exec, s[92:93]
	s_and_b64 vcc, vcc, exec
.LBB53_172:                             ;   in Loop: Header=BB53_5 Depth=1
	v_readlane_b32 s94, v13, 30
	v_readlane_b32 s95, v13, 31
	s_or_b64 exec, exec, s[94:95]
	s_and_b64 vcc, vcc, exec
.LBB53_173:                             ;   in Loop: Header=BB53_5 Depth=1
	v_readlane_b32 s92, v13, 28
	v_readlane_b32 s93, v13, 29
	s_or_b64 exec, exec, s[92:93]
	s_and_b64 vcc, vcc, exec
.LBB53_174:                             ;   in Loop: Header=BB53_5 Depth=1
	v_readlane_b32 s94, v13, 26
	v_readlane_b32 s95, v13, 27
	s_or_b64 exec, exec, s[94:95]
	s_and_b64 vcc, vcc, exec
.LBB53_175:                             ;   in Loop: Header=BB53_5 Depth=1
	v_readlane_b32 s92, v13, 24
	v_readlane_b32 s93, v13, 25
	s_or_b64 exec, exec, s[92:93]
	s_and_b64 vcc, vcc, exec
.LBB53_176:                             ;   in Loop: Header=BB53_5 Depth=1
	v_readlane_b32 s94, v13, 22
	v_readlane_b32 s95, v13, 23
	s_or_b64 exec, exec, s[94:95]
	s_and_b64 vcc, vcc, exec
.LBB53_177:                             ;   in Loop: Header=BB53_5 Depth=1
	v_readlane_b32 s92, v13, 20
	v_readlane_b32 s93, v13, 21
	s_or_b64 exec, exec, s[92:93]
	s_and_b64 vcc, vcc, exec
.LBB53_178:                             ;   in Loop: Header=BB53_5 Depth=1
	v_readlane_b32 s94, v13, 18
	v_readlane_b32 s95, v13, 19
	s_or_b64 exec, exec, s[94:95]
	s_and_b64 vcc, vcc, exec
.LBB53_179:                             ;   in Loop: Header=BB53_5 Depth=1
	v_readlane_b32 s92, v13, 16
	v_readlane_b32 s93, v13, 17
	s_or_b64 exec, exec, s[92:93]
	s_and_b64 vcc, vcc, exec
.LBB53_180:                             ;   in Loop: Header=BB53_5 Depth=1
	v_readlane_b32 s94, v13, 14
	v_readlane_b32 s95, v13, 15
	s_or_b64 exec, exec, s[94:95]
	s_and_b64 vcc, vcc, exec
.LBB53_181:                             ;   in Loop: Header=BB53_5 Depth=1
	v_readlane_b32 s92, v13, 12
	v_readlane_b32 s93, v13, 13
	s_or_b64 exec, exec, s[92:93]
	s_and_b64 vcc, vcc, exec
.LBB53_182:                             ;   in Loop: Header=BB53_5 Depth=1
	v_readlane_b32 s94, v13, 10
	v_readlane_b32 s95, v13, 11
	s_or_b64 exec, exec, s[94:95]
	s_and_b64 vcc, vcc, exec
.LBB53_183:                             ;   in Loop: Header=BB53_5 Depth=1
	v_readlane_b32 s92, v13, 8
	v_readlane_b32 s93, v13, 9
	s_or_b64 exec, exec, s[92:93]
	s_and_b64 vcc, vcc, exec
.LBB53_184:                             ;   in Loop: Header=BB53_5 Depth=1
	v_readlane_b32 s94, v13, 6
	v_readlane_b32 s95, v13, 7
	s_or_b64 exec, exec, s[94:95]
	s_and_b64 vcc, vcc, exec
.LBB53_185:                             ;   in Loop: Header=BB53_5 Depth=1
	v_readlane_b32 s92, v13, 4
	v_readlane_b32 s93, v13, 5
	s_or_b64 exec, exec, s[92:93]
	s_and_b64 vcc, vcc, exec
.LBB53_186:                             ;   in Loop: Header=BB53_5 Depth=1
	v_readlane_b32 s94, v13, 2
	v_readlane_b32 s95, v13, 3
	s_or_b64 exec, exec, s[94:95]
	s_and_b64 vcc, vcc, exec
.LBB53_187:                             ;   in Loop: Header=BB53_5 Depth=1
	v_readlane_b32 s92, v13, 0
	v_readlane_b32 s93, v13, 1
	s_or_b64 exec, exec, s[92:93]
	s_and_b64 vcc, vcc, exec
.LBB53_188:                             ;   in Loop: Header=BB53_5 Depth=1
	v_readlane_b32 s94, v14, 62
	v_readlane_b32 s95, v14, 63
	s_or_b64 exec, exec, s[94:95]
	s_and_b64 vcc, vcc, exec
.LBB53_189:                             ;   in Loop: Header=BB53_5 Depth=1
	v_readlane_b32 s92, v14, 60
	v_readlane_b32 s93, v14, 61
	s_or_b64 exec, exec, s[92:93]
	s_and_b64 vcc, vcc, exec
.LBB53_190:                             ;   in Loop: Header=BB53_5 Depth=1
	v_readlane_b32 s94, v14, 58
	v_readlane_b32 s95, v14, 59
	s_or_b64 exec, exec, s[94:95]
	s_and_b64 vcc, vcc, exec
.LBB53_191:                             ;   in Loop: Header=BB53_5 Depth=1
	v_readlane_b32 s92, v14, 56
	v_readlane_b32 s93, v14, 57
	s_or_b64 exec, exec, s[92:93]
	s_and_b64 vcc, vcc, exec
.LBB53_192:                             ;   in Loop: Header=BB53_5 Depth=1
	v_readlane_b32 s94, v14, 54
	v_readlane_b32 s95, v14, 55
	s_or_b64 exec, exec, s[94:95]
	s_and_b64 vcc, vcc, exec
.LBB53_193:                             ;   in Loop: Header=BB53_5 Depth=1
	v_readlane_b32 s92, v14, 52
	v_readlane_b32 s93, v14, 53
	s_or_b64 exec, exec, s[92:93]
	s_and_b64 vcc, vcc, exec
.LBB53_194:                             ;   in Loop: Header=BB53_5 Depth=1
	v_readlane_b32 s94, v14, 50
	v_readlane_b32 s95, v14, 51
	s_or_b64 exec, exec, s[94:95]
	s_and_b64 vcc, vcc, exec
.LBB53_195:                             ;   in Loop: Header=BB53_5 Depth=1
	v_readlane_b32 s92, v14, 48
	v_readlane_b32 s93, v14, 49
	s_or_b64 exec, exec, s[92:93]
	s_and_b64 vcc, vcc, exec
.LBB53_196:                             ;   in Loop: Header=BB53_5 Depth=1
	v_readlane_b32 s94, v14, 46
	v_readlane_b32 s95, v14, 47
	s_or_b64 exec, exec, s[94:95]
	s_and_b64 vcc, vcc, exec
.LBB53_197:                             ;   in Loop: Header=BB53_5 Depth=1
	v_readlane_b32 s92, v14, 44
	v_readlane_b32 s93, v14, 45
	s_or_b64 exec, exec, s[92:93]
	s_and_b64 vcc, vcc, exec
.LBB53_198:                             ;   in Loop: Header=BB53_5 Depth=1
	v_readlane_b32 s94, v14, 42
	v_readlane_b32 s95, v14, 43
	s_or_b64 exec, exec, s[94:95]
	s_and_b64 vcc, vcc, exec
.LBB53_199:                             ;   in Loop: Header=BB53_5 Depth=1
	v_readlane_b32 s92, v14, 40
	v_readlane_b32 s93, v14, 41
	s_or_b64 exec, exec, s[92:93]
	s_and_b64 vcc, vcc, exec
.LBB53_200:                             ;   in Loop: Header=BB53_5 Depth=1
	v_readlane_b32 s94, v14, 38
	v_readlane_b32 s95, v14, 39
	s_or_b64 exec, exec, s[94:95]
	s_and_b64 vcc, vcc, exec
.LBB53_201:                             ;   in Loop: Header=BB53_5 Depth=1
	v_readlane_b32 s92, v14, 36
	v_readlane_b32 s93, v14, 37
	s_or_b64 exec, exec, s[92:93]
	s_and_b64 vcc, vcc, exec
.LBB53_202:                             ;   in Loop: Header=BB53_5 Depth=1
	v_readlane_b32 s94, v14, 34
	v_readlane_b32 s95, v14, 35
	s_or_b64 exec, exec, s[94:95]
	s_and_b64 vcc, vcc, exec
.LBB53_203:                             ;   in Loop: Header=BB53_5 Depth=1
	v_readlane_b32 s92, v14, 32
	v_readlane_b32 s93, v14, 33
	s_or_b64 exec, exec, s[92:93]
	s_and_b64 vcc, vcc, exec
.LBB53_204:                             ;   in Loop: Header=BB53_5 Depth=1
	v_readlane_b32 s94, v14, 30
	v_readlane_b32 s95, v14, 31
	s_or_b64 exec, exec, s[94:95]
	s_and_b64 vcc, vcc, exec
.LBB53_205:                             ;   in Loop: Header=BB53_5 Depth=1
	v_readlane_b32 s92, v14, 28
	v_readlane_b32 s93, v14, 29
	s_or_b64 exec, exec, s[92:93]
	s_and_b64 vcc, vcc, exec
.LBB53_206:                             ;   in Loop: Header=BB53_5 Depth=1
	v_readlane_b32 s94, v14, 26
	v_readlane_b32 s95, v14, 27
	s_or_b64 exec, exec, s[94:95]
	s_and_b64 vcc, vcc, exec
.LBB53_207:                             ;   in Loop: Header=BB53_5 Depth=1
	v_readlane_b32 s92, v14, 24
	v_readlane_b32 s93, v14, 25
	s_or_b64 exec, exec, s[92:93]
	s_and_b64 vcc, vcc, exec
.LBB53_208:                             ;   in Loop: Header=BB53_5 Depth=1
	v_readlane_b32 s94, v14, 22
	v_readlane_b32 s95, v14, 23
	s_or_b64 exec, exec, s[94:95]
	s_and_b64 vcc, vcc, exec
.LBB53_209:                             ;   in Loop: Header=BB53_5 Depth=1
	v_readlane_b32 s92, v14, 20
	v_readlane_b32 s93, v14, 21
	s_or_b64 exec, exec, s[92:93]
	s_and_b64 vcc, vcc, exec
.LBB53_210:                             ;   in Loop: Header=BB53_5 Depth=1
	v_readlane_b32 s94, v14, 18
	v_readlane_b32 s95, v14, 19
	s_or_b64 exec, exec, s[94:95]
	s_and_b64 vcc, vcc, exec
.LBB53_211:                             ;   in Loop: Header=BB53_5 Depth=1
	v_readlane_b32 s92, v14, 16
	v_readlane_b32 s93, v14, 17
	s_or_b64 exec, exec, s[92:93]
	s_and_b64 vcc, vcc, exec
.LBB53_212:                             ;   in Loop: Header=BB53_5 Depth=1
	v_readlane_b32 s94, v14, 14
	v_readlane_b32 s95, v14, 15
	s_or_b64 exec, exec, s[94:95]
	s_and_b64 vcc, vcc, exec
.LBB53_213:                             ;   in Loop: Header=BB53_5 Depth=1
	v_readlane_b32 s92, v14, 12
	v_readlane_b32 s93, v14, 13
	s_or_b64 exec, exec, s[92:93]
	s_and_b64 vcc, vcc, exec
.LBB53_214:                             ;   in Loop: Header=BB53_5 Depth=1
	v_readlane_b32 s94, v14, 10
	v_readlane_b32 s95, v14, 11
	s_or_b64 exec, exec, s[94:95]
	s_and_b64 vcc, vcc, exec
.LBB53_215:                             ;   in Loop: Header=BB53_5 Depth=1
	v_readlane_b32 s92, v14, 8
	v_readlane_b32 s93, v14, 9
	s_or_b64 exec, exec, s[92:93]
	s_and_b64 vcc, vcc, exec
.LBB53_216:                             ;   in Loop: Header=BB53_5 Depth=1
	v_readlane_b32 s94, v14, 6
	v_readlane_b32 s95, v14, 7
	s_or_b64 exec, exec, s[94:95]
	s_and_b64 vcc, vcc, exec
.LBB53_217:                             ;   in Loop: Header=BB53_5 Depth=1
	v_readlane_b32 s92, v14, 4
	v_readlane_b32 s93, v14, 5
	s_or_b64 exec, exec, s[92:93]
	s_and_b64 vcc, vcc, exec
.LBB53_218:                             ;   in Loop: Header=BB53_5 Depth=1
	v_readlane_b32 s94, v14, 2
	v_readlane_b32 s95, v14, 3
	s_or_b64 exec, exec, s[94:95]
	s_and_b64 s[94:95], vcc, exec
.LBB53_219:                             ;   in Loop: Header=BB53_5 Depth=1
	v_readlane_b32 s92, v14, 0
	v_readlane_b32 s93, v14, 1
	s_or_b64 exec, exec, s[92:93]
	s_and_b64 s[92:93], s[94:95], exec
.LBB53_220:                             ;   in Loop: Header=BB53_5 Depth=1
	s_or_b64 exec, exec, s[90:91]
	s_and_b64 s[90:91], s[92:93], exec
.LBB53_221:                             ;   in Loop: Header=BB53_5 Depth=1
	s_or_b64 exec, exec, s[88:89]
	s_and_b64 s[88:89], s[90:91], exec
.LBB53_222:                             ;   in Loop: Header=BB53_5 Depth=1
	s_or_b64 exec, exec, s[86:87]
	s_and_b64 s[86:87], s[88:89], exec
.LBB53_223:                             ;   in Loop: Header=BB53_5 Depth=1
	s_or_b64 exec, exec, s[84:85]
	s_and_b64 s[84:85], s[86:87], exec
.LBB53_224:                             ;   in Loop: Header=BB53_5 Depth=1
	s_or_b64 exec, exec, s[82:83]
	s_and_b64 s[82:83], s[84:85], exec
.LBB53_225:                             ;   in Loop: Header=BB53_5 Depth=1
	s_or_b64 exec, exec, s[80:81]
	s_and_b64 s[80:81], s[82:83], exec
.LBB53_226:                             ;   in Loop: Header=BB53_5 Depth=1
	s_or_b64 exec, exec, s[78:79]
	s_and_b64 s[78:79], s[80:81], exec
.LBB53_227:                             ;   in Loop: Header=BB53_5 Depth=1
	s_or_b64 exec, exec, s[76:77]
	s_and_b64 s[76:77], s[78:79], exec
.LBB53_228:                             ;   in Loop: Header=BB53_5 Depth=1
	s_or_b64 exec, exec, s[74:75]
	s_and_b64 s[74:75], s[76:77], exec
.LBB53_229:                             ;   in Loop: Header=BB53_5 Depth=1
	s_or_b64 exec, exec, s[72:73]
	s_and_b64 s[72:73], s[74:75], exec
.LBB53_230:                             ;   in Loop: Header=BB53_5 Depth=1
	s_or_b64 exec, exec, s[70:71]
	s_and_b64 s[70:71], s[72:73], exec
.LBB53_231:                             ;   in Loop: Header=BB53_5 Depth=1
	s_or_b64 exec, exec, s[68:69]
	s_and_b64 s[68:69], s[70:71], exec
.LBB53_232:                             ;   in Loop: Header=BB53_5 Depth=1
	s_or_b64 exec, exec, s[66:67]
	s_and_b64 s[66:67], s[68:69], exec
.LBB53_233:                             ;   in Loop: Header=BB53_5 Depth=1
	s_or_b64 exec, exec, s[64:65]
	s_and_b64 s[64:65], s[66:67], exec
.LBB53_234:                             ;   in Loop: Header=BB53_5 Depth=1
	s_or_b64 exec, exec, s[62:63]
	s_and_b64 s[62:63], s[64:65], exec
.LBB53_235:                             ;   in Loop: Header=BB53_5 Depth=1
	s_or_b64 exec, exec, s[60:61]
	s_and_b64 s[60:61], s[62:63], exec
.LBB53_236:                             ;   in Loop: Header=BB53_5 Depth=1
	s_or_b64 exec, exec, s[58:59]
	s_and_b64 s[58:59], s[60:61], exec
.LBB53_237:                             ;   in Loop: Header=BB53_5 Depth=1
	s_or_b64 exec, exec, s[56:57]
	s_and_b64 s[56:57], s[58:59], exec
.LBB53_238:                             ;   in Loop: Header=BB53_5 Depth=1
	s_or_b64 exec, exec, s[54:55]
	s_and_b64 s[54:55], s[56:57], exec
.LBB53_239:                             ;   in Loop: Header=BB53_5 Depth=1
	s_or_b64 exec, exec, s[52:53]
	s_and_b64 s[52:53], s[54:55], exec
.LBB53_240:                             ;   in Loop: Header=BB53_5 Depth=1
	s_or_b64 exec, exec, s[50:51]
	s_and_b64 s[50:51], s[52:53], exec
.LBB53_241:                             ;   in Loop: Header=BB53_5 Depth=1
	s_or_b64 exec, exec, s[48:49]
	s_and_b64 s[48:49], s[50:51], exec
.LBB53_242:                             ;   in Loop: Header=BB53_5 Depth=1
	s_or_b64 exec, exec, s[46:47]
	s_and_b64 s[46:47], s[48:49], exec
.LBB53_243:                             ;   in Loop: Header=BB53_5 Depth=1
	s_or_b64 exec, exec, s[44:45]
	s_and_b64 s[44:45], s[46:47], exec
.LBB53_244:                             ;   in Loop: Header=BB53_5 Depth=1
	s_or_b64 exec, exec, s[42:43]
	s_and_b64 s[42:43], s[44:45], exec
.LBB53_245:                             ;   in Loop: Header=BB53_5 Depth=1
	s_or_b64 exec, exec, s[40:41]
	s_and_b64 s[40:41], s[42:43], exec
.LBB53_246:                             ;   in Loop: Header=BB53_5 Depth=1
	s_or_b64 exec, exec, s[38:39]
	s_and_b64 s[38:39], s[40:41], exec
.LBB53_247:                             ;   in Loop: Header=BB53_5 Depth=1
	s_or_b64 exec, exec, s[36:37]
	s_and_b64 s[36:37], s[38:39], exec
.LBB53_248:                             ;   in Loop: Header=BB53_5 Depth=1
	s_or_b64 exec, exec, s[34:35]
	s_and_b64 s[34:35], s[36:37], exec
.LBB53_249:                             ;   in Loop: Header=BB53_5 Depth=1
	s_or_b64 exec, exec, s[30:31]
	s_and_b64 s[30:31], s[34:35], exec
.LBB53_250:                             ;   in Loop: Header=BB53_5 Depth=1
	s_or_b64 exec, exec, s[28:29]
	s_and_b64 s[28:29], s[30:31], exec
.LBB53_251:                             ;   in Loop: Header=BB53_5 Depth=1
	s_or_b64 exec, exec, s[26:27]
	s_and_b64 s[26:27], s[28:29], exec
.LBB53_252:                             ;   in Loop: Header=BB53_5 Depth=1
	s_or_b64 exec, exec, s[24:25]
	s_and_b64 s[24:25], s[26:27], exec
.LBB53_253:                             ;   in Loop: Header=BB53_5 Depth=1
	s_or_b64 exec, exec, s[22:23]
	s_and_b64 s[22:23], s[24:25], exec
.LBB53_254:                             ;   in Loop: Header=BB53_5 Depth=1
	s_or_b64 exec, exec, s[20:21]
	s_and_b64 s[20:21], s[22:23], exec
.LBB53_255:                             ;   in Loop: Header=BB53_5 Depth=1
	s_or_b64 exec, exec, s[18:19]
	s_and_b64 s[18:19], s[20:21], exec
.LBB53_256:                             ;   in Loop: Header=BB53_5 Depth=1
	s_or_b64 exec, exec, s[16:17]
	s_and_b64 s[16:17], s[18:19], exec
.LBB53_257:                             ;   in Loop: Header=BB53_5 Depth=1
	s_or_b64 exec, exec, s[14:15]
	s_and_b64 s[14:15], s[16:17], exec
.LBB53_258:                             ;   in Loop: Header=BB53_5 Depth=1
	s_or_b64 exec, exec, s[4:5]
	v_and_b32_e32 v2, 0x60, v7
	v_add_u32_e32 v9, 32, v2
	v_xor_b32_e32 v2, 16, v7
	v_cmp_lt_i32_e32 vcc, v2, v9
	v_cndmask_b32_e64 v4, 0, 1, s[14:15]
	v_xor_b32_e32 v11, 1, v7
	v_cndmask_b32_e32 v2, v7, v2, vcc
	v_lshlrev_b32_e32 v2, 2, v2
	ds_bpermute_b32 v4, v2, v4
	s_waitcnt lgkmcnt(0)
	v_cmp_ne_u32_e32 vcc, 0, v4
	v_xor_b32_e32 v4, 8, v7
	s_and_b64 s[4:5], s[14:15], vcc
	v_cmp_lt_i32_e32 vcc, v4, v9
	v_cndmask_b32_e64 v5, 0, 1, s[4:5]
	s_nop 0
	v_cndmask_b32_e32 v4, v7, v4, vcc
	v_lshlrev_b32_e32 v4, 2, v4
	ds_bpermute_b32 v5, v4, v5
	s_waitcnt lgkmcnt(0)
	v_cmp_ne_u32_e32 vcc, 0, v5
	v_xor_b32_e32 v5, 4, v7
	s_and_b64 s[4:5], vcc, s[4:5]
	v_cmp_lt_i32_e32 vcc, v5, v9
	v_cndmask_b32_e64 v8, 0, 1, s[4:5]
	s_nop 0
	v_cndmask_b32_e32 v5, v7, v5, vcc
	v_lshlrev_b32_e32 v5, 2, v5
	ds_bpermute_b32 v8, v5, v8
	s_waitcnt lgkmcnt(0)
	v_cmp_ne_u32_e32 vcc, 0, v8
	v_xor_b32_e32 v8, 2, v7
	s_and_b64 s[4:5], vcc, s[4:5]
	v_cmp_lt_i32_e32 vcc, v8, v9
	v_cndmask_b32_e64 v10, 0, 1, s[4:5]
	s_nop 0
	v_cndmask_b32_e32 v8, v7, v8, vcc
	v_lshlrev_b32_e32 v8, 2, v8
	ds_bpermute_b32 v10, v8, v10
	s_waitcnt lgkmcnt(0)
	v_cmp_ne_u32_e32 vcc, 0, v10
	s_and_b64 s[4:5], vcc, s[4:5]
	v_cmp_lt_i32_e32 vcc, v11, v9
	v_cndmask_b32_e64 v10, 0, 1, s[4:5]
	s_nop 0
	v_cndmask_b32_e32 v9, v7, v11, vcc
	v_lshlrev_b32_e32 v9, 2, v9
	ds_bpermute_b32 v10, v9, v10
	s_and_saveexec_b64 s[14:15], s[0:1]
	s_cbranch_execz .LBB53_3
; %bb.259:                              ;   in Loop: Header=BB53_5 Depth=1
	s_waitcnt lgkmcnt(0)
	v_cmp_ne_u32_e32 vcc, 0, v10
	s_and_b64 s[4:5], vcc, s[4:5]
	v_cndmask_b32_e64 v10, 0, 1, s[4:5]
	ds_write_b32 v1, v10
	s_branch .LBB53_3
.LBB53_260:
	s_or_b64 exec, exec, s[12:13]
	v_cmp_eq_u32_e32 vcc, 0, v0
	s_and_saveexec_b64 s[0:1], vcc
	s_cbranch_execz .LBB53_262
; %bb.261:
	s_mul_i32 s0, s33, s3
	s_add_i32 s0, s0, s2
	s_ashr_i32 s1, s0, 31
	s_lshl_b64 s[0:1], s[0:1], 2
	s_add_u32 s0, s6, s0
	s_addc_u32 s1, s7, s1
	v_mov_b32_e32 v0, 0
	global_store_dword v0, v2, s[0:1]
.LBB53_262:
	s_endpgm
	.section	.rodata,"a",@progbits
	.p2align	6, 0x0
	.amdhsa_kernel _ZL25flash_attn_mask_to_KV_maxILi64EEvPK7__half2Piiii
		.amdhsa_group_segment_fixed_size 128
		.amdhsa_private_segment_fixed_size 0
		.amdhsa_kernarg_size 288
		.amdhsa_user_sgpr_count 2
		.amdhsa_user_sgpr_dispatch_ptr 0
		.amdhsa_user_sgpr_queue_ptr 0
		.amdhsa_user_sgpr_kernarg_segment_ptr 1
		.amdhsa_user_sgpr_dispatch_id 0
		.amdhsa_user_sgpr_kernarg_preload_length 0
		.amdhsa_user_sgpr_kernarg_preload_offset 0
		.amdhsa_user_sgpr_private_segment_size 0
		.amdhsa_uses_dynamic_stack 0
		.amdhsa_enable_private_segment 0
		.amdhsa_system_sgpr_workgroup_id_x 1
		.amdhsa_system_sgpr_workgroup_id_y 1
		.amdhsa_system_sgpr_workgroup_id_z 0
		.amdhsa_system_sgpr_workgroup_info 0
		.amdhsa_system_vgpr_workitem_id 0
		.amdhsa_next_free_vgpr 15
		.amdhsa_next_free_sgpr 100
		.amdhsa_accum_offset 16
		.amdhsa_reserve_vcc 1
		.amdhsa_float_round_mode_32 0
		.amdhsa_float_round_mode_16_64 0
		.amdhsa_float_denorm_mode_32 3
		.amdhsa_float_denorm_mode_16_64 3
		.amdhsa_dx10_clamp 1
		.amdhsa_ieee_mode 1
		.amdhsa_fp16_overflow 0
		.amdhsa_tg_split 0
		.amdhsa_exception_fp_ieee_invalid_op 0
		.amdhsa_exception_fp_denorm_src 0
		.amdhsa_exception_fp_ieee_div_zero 0
		.amdhsa_exception_fp_ieee_overflow 0
		.amdhsa_exception_fp_ieee_underflow 0
		.amdhsa_exception_fp_ieee_inexact 0
		.amdhsa_exception_int_div_zero 0
	.end_amdhsa_kernel
	.section	.text._ZL25flash_attn_mask_to_KV_maxILi64EEvPK7__half2Piiii,"axG",@progbits,_ZL25flash_attn_mask_to_KV_maxILi64EEvPK7__half2Piiii,comdat
.Lfunc_end53:
	.size	_ZL25flash_attn_mask_to_KV_maxILi64EEvPK7__half2Piiii, .Lfunc_end53-_ZL25flash_attn_mask_to_KV_maxILi64EEvPK7__half2Piiii
                                        ; -- End function
	.section	.AMDGPU.csdata,"",@progbits
; Kernel info:
; codeLenInByte = 9668
; NumSgprs: 106
; NumVgprs: 15
; NumAgprs: 0
; TotalNumVgprs: 15
; ScratchSize: 0
; MemoryBound: 0
; FloatMode: 240
; IeeeMode: 1
; LDSByteSize: 128 bytes/workgroup (compile time only)
; SGPRBlocks: 13
; VGPRBlocks: 1
; NumSGPRsForWavesPerEU: 106
; NumVGPRsForWavesPerEU: 15
; AccumOffset: 16
; Occupancy: 7
; WaveLimiterHint : 0
; COMPUTE_PGM_RSRC2:SCRATCH_EN: 0
; COMPUTE_PGM_RSRC2:USER_SGPR: 2
; COMPUTE_PGM_RSRC2:TRAP_HANDLER: 0
; COMPUTE_PGM_RSRC2:TGID_X_EN: 1
; COMPUTE_PGM_RSRC2:TGID_Y_EN: 1
; COMPUTE_PGM_RSRC2:TGID_Z_EN: 0
; COMPUTE_PGM_RSRC2:TIDIG_COMP_CNT: 0
; COMPUTE_PGM_RSRC3_GFX90A:ACCUM_OFFSET: 3
; COMPUTE_PGM_RSRC3_GFX90A:TG_SPLIT: 0
	.section	.text._ZL33flash_attn_stream_k_fixup_uniformILi80ELi64ELi1EEvPfPK15HIP_vector_typeIfLj2EEiiiiiiS1_IjLj3EES5_S5_,"axG",@progbits,_ZL33flash_attn_stream_k_fixup_uniformILi80ELi64ELi1EEvPfPK15HIP_vector_typeIfLj2EEiiiiiiS1_IjLj3EES5_S5_,comdat
	.globl	_ZL33flash_attn_stream_k_fixup_uniformILi80ELi64ELi1EEvPfPK15HIP_vector_typeIfLj2EEiiiiiiS1_IjLj3EES5_S5_ ; -- Begin function _ZL33flash_attn_stream_k_fixup_uniformILi80ELi64ELi1EEvPfPK15HIP_vector_typeIfLj2EEiiiiiiS1_IjLj3EES5_S5_
	.p2align	8
	.type	_ZL33flash_attn_stream_k_fixup_uniformILi80ELi64ELi1EEvPfPK15HIP_vector_typeIfLj2EEiiiiiiS1_IjLj3EES5_S5_,@function
_ZL33flash_attn_stream_k_fixup_uniformILi80ELi64ELi1EEvPfPK15HIP_vector_typeIfLj2EEiiiiiiS1_IjLj3EES5_S5_: ; @_ZL33flash_attn_stream_k_fixup_uniformILi80ELi64ELi1EEvPfPK15HIP_vector_typeIfLj2EEiiiiiiS1_IjLj3EES5_S5_
; %bb.0:
	s_load_dwordx8 s[8:15], s[0:1], 0x1c
	s_load_dwordx2 s[6:7], s[0:1], 0x10
	s_load_dwordx4 s[16:19], s[0:1], 0x3c
	s_waitcnt lgkmcnt(0)
	s_mul_hi_u32 s5, s11, s2
	s_add_i32 s5, s2, s5
	s_lshr_b32 s5, s5, s12
	s_mul_i32 s11, s5, s13
	s_sub_i32 s12, s2, s11
	s_mul_hi_u32 s11, s12, s14
	s_add_i32 s11, s12, s11
	s_lshr_b32 s11, s11, s15
	s_mul_i32 s13, s11, s16
	s_sub_i32 s12, s12, s13
	s_mul_hi_u32 s13, s12, s17
	s_add_i32 s13, s12, s13
	s_lshr_b32 s16, s13, s18
	s_mul_i32 s13, s16, s19
	s_sub_i32 s17, s12, s13
	s_lshl_b32 s12, s17, 6
	s_add_i32 s12, s12, s3
	s_cmp_lt_i32 s12, s6
	s_cselect_b64 s[12:13], -1, 0
	s_add_i32 s16, s16, s4
	s_cmp_lt_i32 s16, s9
	s_cselect_b64 s[14:15], -1, 0
	s_and_b64 s[12:13], s[12:13], s[14:15]
	s_andn2_b64 vcc, exec, s[12:13]
	s_cbranch_vccnz .LBB54_6
; %bb.1:
	s_load_dwordx4 s[12:15], s[0:1], 0x0
	s_mul_i32 s0, s5, s6
	s_mul_i32 s11, s11, s9
	s_add_i32 s0, s0, s3
	s_mul_i32 s1, s7, s17
	s_mul_i32 s0, s0, s7
	s_add_i32 s5, s16, s11
	s_mulk_i32 s1, 0x1400
	s_add_i32 s0, s5, s0
	s_mulk_i32 s0, 0x50
	v_or_b32_e32 v1, s1, v0
	v_add_u32_e32 v4, s0, v1
	s_waitcnt lgkmcnt(0)
	v_mov_b32_e32 v2, s12
	v_mov_b32_e32 v3, s13
	v_ashrrev_i32_e32 v5, 31, v4
	v_lshl_add_u64 v[2:3], v[4:5], 2, v[2:3]
	global_load_dword v7, v[2:3], off
	s_mul_i32 s6, s2, s10
	s_add_i32 s7, s6, s10
	s_add_i32 s3, s3, s4
	s_lshl_b32 s0, s7, 6
	s_add_i32 s0, s3, s0
	s_sub_i32 s0, s0, 64
	s_ashr_i32 s1, s0, 31
	s_lshl_b64 s[0:1], s[0:1], 3
	s_add_u32 s0, s14, s0
	s_addc_u32 s1, s15, s1
	s_load_dword s9, s[0:1], 0x4
	s_add_i32 s4, s7, -2
	s_cmp_lt_i32 s4, s6
	s_cbranch_scc1 .LBB54_4
; %bb.2:
	s_lshl_b32 s4, s8, 8
	s_ashr_i32 s5, s4, 31
	s_lshl_b64 s[4:5], s[4:5], 2
	s_add_u32 s4, s14, s4
	s_addc_u32 s5, s15, s5
	s_load_dword s0, s[0:1], 0x0
	s_add_i32 s2, s2, 1
	s_mul_i32 s10, s10, s2
	s_mul_i32 s1, s3, 0x50
	s_lshl_b32 s2, s10, 6
	s_mulk_i32 s10, 0x1400
	s_add_i32 s2, s3, s2
	s_lshl_b32 s3, s8, 6
	s_add_i32 s1, s1, s10
	s_add_i32 s2, s2, s3
	v_add_u32_e32 v0, s1, v0
	s_add_i32 s7, s7, -1
	s_addk_i32 s2, 0xff80
	v_add_u32_e32 v0, 0xffffd800, v0
	s_waitcnt lgkmcnt(0)
	v_mov_b32_e32 v6, s9
	v_mov_b32_e32 v5, s0
	s_mov_b32 s8, 0x3fb8aa3b
	s_mov_b32 s9, 0xc2ce8ed0
	;; [unrolled: 1-line block ×3, first 2 shown]
	v_mov_b32_e32 v4, 0x7f800000
	s_mov_b32 s11, 0xc1a00000
.LBB54_3:                               ; =>This Inner Loop Header: Depth=1
	v_ashrrev_i32_e32 v1, 31, v0
	v_lshl_add_u64 v[8:9], v[0:1], 2, s[4:5]
	global_load_dword v1, v[8:9], off
	s_ashr_i32 s3, s2, 31
	s_lshl_b64 s[0:1], s[2:3], 3
	s_add_u32 s0, s14, s0
	s_addc_u32 s1, s15, s1
	s_load_dwordx2 s[12:13], s[0:1], 0x0
	s_waitcnt vmcnt(1)
	v_mov_b32_e32 v8, v7
	v_max_f32_e32 v7, v5, v5
	v_mov_b32_e32 v9, v6
	s_add_i32 s7, s7, -1
	s_waitcnt lgkmcnt(0)
	v_max_f32_e64 v6, s12, s12
	v_max_f32_e32 v6, v7, v6
	v_sub_f32_e32 v10, s12, v6
	v_sub_f32_e32 v7, v5, v6
	v_mul_f32_e32 v11, 0x3fb8aa3b, v10
	v_mov_b32_e32 v5, v6
	v_mul_f32_e32 v6, 0x3fb8aa3b, v7
	v_fma_f32 v14, v10, s8, -v11
	v_rndne_f32_e32 v15, v11
	v_fma_f32 v12, v7, s8, -v6
	v_rndne_f32_e32 v13, v6
	v_fmac_f32_e32 v14, 0x32a5705f, v10
	v_sub_f32_e32 v11, v11, v15
	v_fmac_f32_e32 v12, 0x32a5705f, v7
	v_sub_f32_e32 v6, v6, v13
	v_add_f32_e32 v11, v11, v14
	v_cvt_i32_f32_e32 v15, v15
	v_add_f32_e32 v6, v6, v12
	v_exp_f32_e32 v11, v11
	v_cvt_i32_f32_e32 v13, v13
	v_exp_f32_e32 v6, v6
	v_cmp_ngt_f32_e32 vcc, s9, v10
	v_ldexp_f32 v11, v11, v15
	v_cmp_ngt_f32_e64 s[0:1], s9, v7
	v_ldexp_f32 v6, v6, v13
	v_cndmask_b32_e32 v11, 0, v11, vcc
	v_cmp_nlt_f32_e32 vcc, s10, v10
	v_cndmask_b32_e64 v6, 0, v6, s[0:1]
	v_cmp_nlt_f32_e64 s[0:1], s10, v7
	v_cndmask_b32_e32 v11, v4, v11, vcc
	v_cmp_le_f32_e32 vcc, s11, v10
	v_cndmask_b32_e64 v6, v4, v6, s[0:1]
	v_cmp_le_f32_e64 s[0:1], s11, v7
	v_cndmask_b32_e32 v7, 0, v11, vcc
	s_sub_i32 s2, s2, 64
	v_cndmask_b32_e64 v10, 0, v6, s[0:1]
	v_mul_f32_e32 v6, s13, v7
	v_add_u32_e32 v0, 0xffffec00, v0
	s_cmp_le_i32 s7, s6
	v_fmac_f32_e32 v6, v9, v10
	s_waitcnt vmcnt(0)
	v_mul_f32_e32 v7, v1, v7
	v_fmac_f32_e32 v7, v8, v10
	s_cbranch_scc0 .LBB54_3
	s_branch .LBB54_5
.LBB54_4:
	s_waitcnt lgkmcnt(0)
	v_mov_b32_e32 v6, s9
.LBB54_5:
	s_waitcnt vmcnt(0)
	v_div_scale_f32 v0, s[0:1], v6, v6, v7
	v_rcp_f32_e32 v1, v0
	v_div_scale_f32 v4, vcc, v7, v6, v7
	v_fma_f32 v5, -v0, v1, 1.0
	v_fmac_f32_e32 v1, v5, v1
	v_mul_f32_e32 v5, v4, v1
	v_fma_f32 v8, -v0, v5, v4
	v_fmac_f32_e32 v5, v8, v1
	v_fma_f32 v0, -v0, v5, v4
	v_div_fmas_f32 v0, v0, v1, v5
	v_div_fixup_f32 v0, v0, v6, v7
	global_store_dword v[2:3], v0, off
.LBB54_6:
	s_endpgm
	.section	.rodata,"a",@progbits
	.p2align	6, 0x0
	.amdhsa_kernel _ZL33flash_attn_stream_k_fixup_uniformILi80ELi64ELi1EEvPfPK15HIP_vector_typeIfLj2EEiiiiiiS1_IjLj3EES5_S5_
		.amdhsa_group_segment_fixed_size 0
		.amdhsa_private_segment_fixed_size 0
		.amdhsa_kernarg_size 76
		.amdhsa_user_sgpr_count 2
		.amdhsa_user_sgpr_dispatch_ptr 0
		.amdhsa_user_sgpr_queue_ptr 0
		.amdhsa_user_sgpr_kernarg_segment_ptr 1
		.amdhsa_user_sgpr_dispatch_id 0
		.amdhsa_user_sgpr_kernarg_preload_length 0
		.amdhsa_user_sgpr_kernarg_preload_offset 0
		.amdhsa_user_sgpr_private_segment_size 0
		.amdhsa_uses_dynamic_stack 0
		.amdhsa_enable_private_segment 0
		.amdhsa_system_sgpr_workgroup_id_x 1
		.amdhsa_system_sgpr_workgroup_id_y 1
		.amdhsa_system_sgpr_workgroup_id_z 1
		.amdhsa_system_sgpr_workgroup_info 0
		.amdhsa_system_vgpr_workitem_id 0
		.amdhsa_next_free_vgpr 16
		.amdhsa_next_free_sgpr 20
		.amdhsa_accum_offset 16
		.amdhsa_reserve_vcc 1
		.amdhsa_float_round_mode_32 0
		.amdhsa_float_round_mode_16_64 0
		.amdhsa_float_denorm_mode_32 3
		.amdhsa_float_denorm_mode_16_64 3
		.amdhsa_dx10_clamp 1
		.amdhsa_ieee_mode 1
		.amdhsa_fp16_overflow 0
		.amdhsa_tg_split 0
		.amdhsa_exception_fp_ieee_invalid_op 0
		.amdhsa_exception_fp_denorm_src 0
		.amdhsa_exception_fp_ieee_div_zero 0
		.amdhsa_exception_fp_ieee_overflow 0
		.amdhsa_exception_fp_ieee_underflow 0
		.amdhsa_exception_fp_ieee_inexact 0
		.amdhsa_exception_int_div_zero 0
	.end_amdhsa_kernel
	.section	.text._ZL33flash_attn_stream_k_fixup_uniformILi80ELi64ELi1EEvPfPK15HIP_vector_typeIfLj2EEiiiiiiS1_IjLj3EES5_S5_,"axG",@progbits,_ZL33flash_attn_stream_k_fixup_uniformILi80ELi64ELi1EEvPfPK15HIP_vector_typeIfLj2EEiiiiiiS1_IjLj3EES5_S5_,comdat
.Lfunc_end54:
	.size	_ZL33flash_attn_stream_k_fixup_uniformILi80ELi64ELi1EEvPfPK15HIP_vector_typeIfLj2EEiiiiiiS1_IjLj3EES5_S5_, .Lfunc_end54-_ZL33flash_attn_stream_k_fixup_uniformILi80ELi64ELi1EEvPfPK15HIP_vector_typeIfLj2EEiiiiiiS1_IjLj3EES5_S5_
                                        ; -- End function
	.section	.AMDGPU.csdata,"",@progbits
; Kernel info:
; codeLenInByte = 820
; NumSgprs: 26
; NumVgprs: 16
; NumAgprs: 0
; TotalNumVgprs: 16
; ScratchSize: 0
; MemoryBound: 0
; FloatMode: 240
; IeeeMode: 1
; LDSByteSize: 0 bytes/workgroup (compile time only)
; SGPRBlocks: 3
; VGPRBlocks: 1
; NumSGPRsForWavesPerEU: 26
; NumVGPRsForWavesPerEU: 16
; AccumOffset: 16
; Occupancy: 8
; WaveLimiterHint : 0
; COMPUTE_PGM_RSRC2:SCRATCH_EN: 0
; COMPUTE_PGM_RSRC2:USER_SGPR: 2
; COMPUTE_PGM_RSRC2:TRAP_HANDLER: 0
; COMPUTE_PGM_RSRC2:TGID_X_EN: 1
; COMPUTE_PGM_RSRC2:TGID_Y_EN: 1
; COMPUTE_PGM_RSRC2:TGID_Z_EN: 1
; COMPUTE_PGM_RSRC2:TIDIG_COMP_CNT: 0
; COMPUTE_PGM_RSRC3_GFX90A:ACCUM_OFFSET: 3
; COMPUTE_PGM_RSRC3_GFX90A:TG_SPLIT: 0
	.section	.text._ZL33flash_attn_stream_k_fixup_generalILi80ELi64ELi1EEvPfPK15HIP_vector_typeIfLj2EEiiiiS1_IjLj3EES5_S5_S5_,"axG",@progbits,_ZL33flash_attn_stream_k_fixup_generalILi80ELi64ELi1EEvPfPK15HIP_vector_typeIfLj2EEiiiiS1_IjLj3EES5_S5_S5_,comdat
	.globl	_ZL33flash_attn_stream_k_fixup_generalILi80ELi64ELi1EEvPfPK15HIP_vector_typeIfLj2EEiiiiS1_IjLj3EES5_S5_S5_ ; -- Begin function _ZL33flash_attn_stream_k_fixup_generalILi80ELi64ELi1EEvPfPK15HIP_vector_typeIfLj2EEiiiiS1_IjLj3EES5_S5_S5_
	.p2align	8
	.type	_ZL33flash_attn_stream_k_fixup_generalILi80ELi64ELi1EEvPfPK15HIP_vector_typeIfLj2EEiiiiS1_IjLj3EES5_S5_S5_,@function
_ZL33flash_attn_stream_k_fixup_generalILi80ELi64ELi1EEvPfPK15HIP_vector_typeIfLj2EEiiiiS1_IjLj3EES5_S5_S5_: ; @_ZL33flash_attn_stream_k_fixup_generalILi80ELi64ELi1EEvPfPK15HIP_vector_typeIfLj2EEiiiiS1_IjLj3EES5_S5_S5_
; %bb.0:
	s_load_dwordx4 s[12:15], s[0:1], 0x10
	s_load_dword s22, s[0:1], 0x50
	s_mov_b32 s8, 0
	s_waitcnt lgkmcnt(0)
	s_mul_hi_i32 s9, s15, s2
	s_cmp_lg_u64 s[8:9], 0
	s_mul_i32 s5, s15, s2
	s_cbranch_scc0 .LBB55_21
; %bb.1:
	v_cvt_f32_u32_e32 v1, s22
	v_cvt_f32_ubyte0_e32 v2, 0
	s_sub_u32 s8, 0, s22
	s_subb_u32 s10, 0, 0
	v_fmamk_f32 v1, v2, 0x4f800000, v1
	v_rcp_f32_e32 v1, v1
	s_nop 0
	v_mul_f32_e32 v1, 0x5f7ffffc, v1
	v_mul_f32_e32 v2, 0x2f800000, v1
	v_trunc_f32_e32 v2, v2
	v_fmamk_f32 v1, v2, 0xcf800000, v1
	v_cvt_u32_f32_e32 v2, v2
	v_cvt_u32_f32_e32 v1, v1
	v_readfirstlane_b32 s11, v2
	v_readfirstlane_b32 s16, v1
	s_mul_i32 s17, s8, s11
	s_mul_hi_u32 s19, s8, s16
	s_mul_i32 s18, s10, s16
	s_add_i32 s17, s19, s17
	s_add_i32 s17, s17, s18
	s_mul_i32 s20, s8, s16
	s_mul_hi_u32 s18, s16, s17
	s_mul_i32 s19, s16, s17
	s_mul_hi_u32 s16, s16, s20
	s_add_u32 s16, s16, s19
	s_addc_u32 s18, 0, s18
	s_mul_hi_u32 s21, s11, s20
	s_mul_i32 s20, s11, s20
	s_add_u32 s16, s16, s20
	s_mul_hi_u32 s19, s11, s17
	s_addc_u32 s16, s18, s21
	s_addc_u32 s18, s19, 0
	s_mul_i32 s17, s11, s17
	s_add_u32 s16, s16, s17
	s_addc_u32 s17, 0, s18
	v_add_co_u32_e32 v1, vcc, s16, v1
	s_cmp_lg_u64 vcc, 0
	s_addc_u32 s11, s11, s17
	v_readfirstlane_b32 s17, v1
	s_mul_i32 s16, s8, s11
	s_mul_hi_u32 s18, s8, s17
	s_add_i32 s16, s18, s16
	s_mul_i32 s10, s10, s17
	s_add_i32 s16, s16, s10
	s_mul_i32 s8, s8, s17
	s_mul_hi_u32 s18, s11, s8
	s_mul_i32 s19, s11, s8
	s_mul_i32 s21, s17, s16
	s_mul_hi_u32 s8, s17, s8
	s_mul_hi_u32 s20, s17, s16
	s_add_u32 s8, s8, s21
	s_addc_u32 s17, 0, s20
	s_add_u32 s8, s8, s19
	s_mul_hi_u32 s10, s11, s16
	s_addc_u32 s8, s17, s18
	s_addc_u32 s10, s10, 0
	s_mul_i32 s16, s11, s16
	s_add_u32 s8, s8, s16
	s_addc_u32 s10, 0, s10
	v_add_co_u32_e32 v1, vcc, s8, v1
	s_cmp_lg_u64 vcc, 0
	s_addc_u32 s16, s11, s10
	s_ashr_i32 s10, s9, 31
	s_add_u32 s8, s5, s10
	s_mov_b32 s11, s10
	s_addc_u32 s9, s9, s10
	s_xor_b64 s[8:9], s[8:9], s[10:11]
	v_readfirstlane_b32 s19, v1
	s_mul_i32 s18, s8, s16
	s_mul_hi_u32 s20, s8, s19
	s_mul_hi_u32 s17, s8, s16
	s_add_u32 s18, s20, s18
	s_addc_u32 s17, 0, s17
	s_mul_hi_u32 s21, s9, s19
	s_mul_i32 s19, s9, s19
	s_add_u32 s18, s18, s19
	s_mul_hi_u32 s20, s9, s16
	s_addc_u32 s17, s17, s21
	s_addc_u32 s18, s20, 0
	s_mul_i32 s16, s9, s16
	s_add_u32 s16, s17, s16
	s_addc_u32 s17, 0, s18
	s_add_u32 s18, s16, 1
	s_addc_u32 s19, s17, 0
	s_add_u32 s20, s16, 2
	s_mul_i32 s23, s22, s17
	s_mul_hi_u32 s24, s22, s16
	s_addc_u32 s21, s17, 0
	s_add_i32 s24, s24, s23
	s_mul_i32 s23, s22, s16
	v_mov_b32_e32 v1, s23
	v_sub_co_u32_e32 v1, vcc, s8, v1
	s_cmp_lg_u64 vcc, 0
	s_subb_u32 s8, s9, s24
	v_subrev_co_u32_e32 v2, vcc, s22, v1
	s_cmp_lg_u64 vcc, 0
	s_subb_u32 s9, s8, 0
	v_readfirstlane_b32 s23, v2
	s_cmp_ge_u32 s23, s22
	s_cselect_b32 s23, -1, 0
	s_cmp_eq_u32 s9, 0
	s_cselect_b32 s9, s23, -1
	s_cmp_lg_u32 s9, 0
	s_cselect_b32 s9, s21, s19
	v_readfirstlane_b32 s19, v1
	s_cselect_b32 s18, s20, s18
	s_cmp_ge_u32 s19, s22
	s_cselect_b32 s19, -1, 0
	s_cmp_eq_u32 s8, 0
	s_cselect_b32 s8, s19, -1
	s_cmp_lg_u32 s8, 0
	s_cselect_b32 s9, s9, s17
	s_cselect_b32 s8, s18, s16
	s_xor_b64 s[8:9], s[8:9], s[10:11]
	s_sub_u32 s20, s8, s10
	s_load_dwordx4 s[16:19], s[0:1], 0x44
	s_cbranch_execnz .LBB55_3
.LBB55_2:
	v_cvt_f32_u32_e32 v1, s22
	s_sub_i32 s6, 0, s22
	v_rcp_iflag_f32_e32 v1, v1
	s_nop 0
	v_mul_f32_e32 v1, 0x4f7ffffe, v1
	v_cvt_u32_f32_e32 v1, v1
	s_nop 0
	v_readfirstlane_b32 s7, v1
	s_mul_i32 s6, s6, s7
	s_mul_hi_u32 s6, s7, s6
	s_add_i32 s7, s7, s6
	s_mul_hi_u32 s6, s5, s7
	s_mul_i32 s8, s6, s22
	s_sub_i32 s5, s5, s8
	s_add_i32 s7, s6, 1
	s_sub_i32 s8, s5, s22
	s_cmp_ge_u32 s5, s22
	s_cselect_b32 s6, s7, s6
	s_cselect_b32 s5, s8, s5
	s_add_i32 s7, s6, 1
	s_cmp_ge_u32 s5, s22
	s_cselect_b32 s20, s7, s6
.LBB55_3:
	s_add_i32 s5, s2, 1
	s_mul_hi_i32 s9, s15, s5
	s_mov_b32 s8, 0
	s_cmp_lg_u64 s[8:9], 0
	s_mul_i32 s5, s15, s5
	s_cbranch_scc0 .LBB55_22
; %bb.4:
	v_cvt_f32_u32_e32 v1, s22
	v_cvt_f32_ubyte0_e32 v2, 0
	s_sub_u32 s8, 0, s22
	s_subb_u32 s10, 0, 0
	v_fmamk_f32 v1, v2, 0x4f800000, v1
	v_rcp_f32_e32 v1, v1
	s_nop 0
	v_mul_f32_e32 v1, 0x5f7ffffc, v1
	v_mul_f32_e32 v2, 0x2f800000, v1
	v_trunc_f32_e32 v2, v2
	v_fmamk_f32 v1, v2, 0xcf800000, v1
	v_cvt_u32_f32_e32 v2, v2
	v_cvt_u32_f32_e32 v1, v1
	v_readfirstlane_b32 s11, v2
	s_waitcnt lgkmcnt(0)
	v_readfirstlane_b32 s19, v1
	s_mul_i32 s21, s8, s11
	s_mul_hi_u32 s24, s8, s19
	s_mul_i32 s23, s10, s19
	s_add_i32 s21, s24, s21
	s_add_i32 s21, s21, s23
	s_mul_i32 s25, s8, s19
	s_mul_hi_u32 s23, s19, s21
	s_mul_i32 s24, s19, s21
	s_mul_hi_u32 s19, s19, s25
	s_add_u32 s19, s19, s24
	s_addc_u32 s23, 0, s23
	s_mul_hi_u32 s26, s11, s25
	s_mul_i32 s25, s11, s25
	s_add_u32 s19, s19, s25
	s_mul_hi_u32 s24, s11, s21
	s_addc_u32 s19, s23, s26
	s_addc_u32 s23, s24, 0
	s_mul_i32 s21, s11, s21
	s_add_u32 s19, s19, s21
	s_addc_u32 s21, 0, s23
	v_add_co_u32_e32 v1, vcc, s19, v1
	s_cmp_lg_u64 vcc, 0
	s_addc_u32 s11, s11, s21
	v_readfirstlane_b32 s21, v1
	s_mul_i32 s19, s8, s11
	s_mul_hi_u32 s23, s8, s21
	s_add_i32 s19, s23, s19
	s_mul_i32 s10, s10, s21
	s_add_i32 s19, s19, s10
	s_mul_i32 s8, s8, s21
	s_mul_hi_u32 s23, s11, s8
	s_mul_i32 s24, s11, s8
	s_mul_i32 s26, s21, s19
	s_mul_hi_u32 s8, s21, s8
	s_mul_hi_u32 s25, s21, s19
	s_add_u32 s8, s8, s26
	s_addc_u32 s21, 0, s25
	s_add_u32 s8, s8, s24
	s_mul_hi_u32 s10, s11, s19
	s_addc_u32 s8, s21, s23
	s_addc_u32 s10, s10, 0
	s_mul_i32 s19, s11, s19
	s_add_u32 s8, s8, s19
	s_addc_u32 s10, 0, s10
	v_add_co_u32_e32 v1, vcc, s8, v1
	s_cmp_lg_u64 vcc, 0
	s_addc_u32 s19, s11, s10
	s_ashr_i32 s10, s9, 31
	s_add_u32 s8, s5, s10
	s_mov_b32 s11, s10
	s_addc_u32 s9, s9, s10
	s_xor_b64 s[8:9], s[8:9], s[10:11]
	v_readfirstlane_b32 s23, v1
	s_mul_i32 s21, s8, s19
	s_mul_hi_u32 s24, s8, s23
	s_mul_hi_u32 s11, s8, s19
	s_add_u32 s21, s24, s21
	s_addc_u32 s11, 0, s11
	s_mul_hi_u32 s25, s9, s23
	s_mul_i32 s23, s9, s23
	s_add_u32 s21, s21, s23
	s_mul_hi_u32 s24, s9, s19
	s_addc_u32 s11, s11, s25
	s_addc_u32 s21, s24, 0
	s_mul_i32 s19, s9, s19
	s_add_u32 s11, s11, s19
	s_addc_u32 s19, 0, s21
	s_mul_i32 s19, s22, s19
	s_mul_hi_u32 s24, s22, s11
	s_add_i32 s24, s24, s19
	s_mul_i32 s19, s22, s11
	v_mov_b32_e32 v1, s19
	s_add_u32 s21, s11, 1
	s_add_u32 s23, s11, 2
	v_sub_co_u32_e32 v1, vcc, s8, v1
	s_cmp_lg_u64 vcc, 0
	s_subb_u32 s8, s9, s24
	v_subrev_co_u32_e32 v2, vcc, s22, v1
	s_cmp_lg_u64 vcc, 0
	s_subb_u32 s9, s8, 0
	v_cmp_le_u32_e32 vcc, s22, v2
	s_cmp_eq_u32 s9, 0
	v_mov_b32_e32 v3, s21
	v_cndmask_b32_e64 v2, 0, -1, vcc
	s_cselect_b64 vcc, -1, 0
	v_cndmask_b32_e32 v2, -1, v2, vcc
	v_mov_b32_e32 v4, s23
	v_cmp_ne_u32_e32 vcc, 0, v2
	s_cmp_eq_u32 s8, 0
	s_nop 0
	v_cndmask_b32_e32 v2, v3, v4, vcc
	v_cmp_le_u32_e32 vcc, s22, v1
	v_mov_b32_e32 v3, s11
	s_nop 0
	v_cndmask_b32_e64 v1, 0, -1, vcc
	s_cselect_b64 vcc, -1, 0
	v_cndmask_b32_e32 v1, -1, v1, vcc
	v_cmp_ne_u32_e32 vcc, 0, v1
	s_nop 1
	v_cndmask_b32_e32 v1, v3, v2, vcc
	v_xor_b32_e32 v1, s10, v1
	v_subrev_co_u32_e32 v2, vcc, s10, v1
	s_cbranch_execnz .LBB55_6
.LBB55_5:
	v_cvt_f32_u32_e32 v1, s22
	s_sub_i32 s6, 0, s22
	s_mov_b32 s7, 0
	v_rcp_iflag_f32_e32 v1, v1
	s_nop 0
	v_mul_f32_e32 v1, 0x4f7ffffe, v1
	v_cvt_u32_f32_e32 v1, v1
	s_nop 0
	v_readfirstlane_b32 s8, v1
	s_mul_i32 s6, s6, s8
	s_mul_hi_u32 s6, s8, s6
	s_add_i32 s8, s8, s6
	s_mul_hi_u32 s6, s5, s8
	s_mul_i32 s9, s6, s22
	s_sub_i32 s5, s5, s9
	s_add_i32 s8, s6, 1
	s_sub_i32 s9, s5, s22
	s_cmp_ge_u32 s5, s22
	s_cselect_b32 s6, s8, s6
	s_cselect_b32 s5, s9, s5
	s_add_i32 s8, s6, 1
	s_cmp_ge_u32 s5, s22
	s_cselect_b32 s6, s8, s6
	v_mov_b64_e32 v[2:3], s[6:7]
.LBB55_6:
	s_waitcnt lgkmcnt(0)
	s_mul_hi_u32 s5, s20, s16
	s_add_i32 s5, s5, s20
	v_mul_hi_u32 v1, v2, s16
	s_lshr_b32 s19, s5, s17
	v_add_u32_e32 v1, v1, v2
	s_mul_i32 s5, s19, s18
	v_lshrrev_b32_e32 v1, s17, v1
	s_cmp_eq_u32 s5, s20
	v_cmp_eq_u32_e64 s[6:7], s19, v1
	v_mul_lo_u32 v1, v1, s18
	v_cmp_eq_u32_e32 vcc, s20, v2
	s_cselect_b64 s[10:11], -1, 0
	v_cmp_ne_u32_e64 s[8:9], v1, v2
	s_and_b64 s[6:7], s[6:7], s[8:9]
	s_or_b64 s[8:9], vcc, s[10:11]
	s_or_b64 s[6:7], s[8:9], s[6:7]
	s_and_b64 vcc, exec, s[6:7]
	s_cbranch_vccnz .LBB55_24
; %bb.7:
	s_load_dwordx8 s[24:31], s[0:1], 0x20
	s_load_dword s5, s[0:1], 0x40
	s_waitcnt lgkmcnt(0)
	s_mul_hi_u32 s6, s20, s24
	s_add_i32 s6, s6, s20
	s_lshr_b32 s7, s6, s25
	s_mul_i32 s6, s7, s26
	s_sub_i32 s6, s20, s6
	s_mul_hi_u32 s8, s6, s27
	s_add_i32 s8, s6, s8
	s_lshr_b32 s23, s8, s28
	s_mul_i32 s8, s23, s29
	s_sub_i32 s6, s6, s8
	;; [unrolled: 5-line block ×3, first 2 shown]
	s_mul_hi_u32 s6, s5, s16
	s_add_i32 s5, s5, s6
	s_lshr_b32 s24, s5, s17
	s_lshl_b32 s5, s24, 6
	s_add_i32 s5, s5, s3
	s_cmp_lt_i32 s5, s12
	s_cselect_b64 s[8:9], -1, 0
	s_add_i32 s25, s25, s4
	s_cmp_lt_i32 s25, s14
	s_cselect_b64 s[10:11], -1, 0
	s_and_b64 s[8:9], s[8:9], s[10:11]
	s_andn2_b64 vcc, exec, s[8:9]
	s_mov_b32 s6, 0
	s_cbranch_vccnz .LBB55_24
; %bb.8:
	s_load_dwordx4 s[8:11], s[0:1], 0x0
	s_lshl_b32 s0, s22, 8
	s_mov_b32 s1, s6
	s_add_i32 s21, s3, s4
	s_lshl_b64 s[0:1], s[0:1], 2
	s_waitcnt lgkmcnt(0)
	s_add_u32 s4, s10, s0
	s_mul_i32 s0, s7, s12
	s_addc_u32 s5, s11, s1
	s_mul_i32 s23, s23, s14
	s_add_i32 s0, s0, s3
	s_mul_i32 s0, s0, s13
	s_add_i32 s3, s25, s23
	;; [unrolled: 2-line block ×3, first 2 shown]
	s_mulk_i32 s1, 0x1400
	s_mulk_i32 s0, 0x50
	s_add_i32 s1, s1, s0
	v_add_u32_e32 v4, s1, v0
	v_mov_b32_e32 v2, s8
	v_mov_b32_e32 v3, s9
	v_ashrrev_i32_e32 v5, 31, v4
	v_lshl_add_u64 v[2:3], v[4:5], 2, v[2:3]
	global_load_dword v5, v[2:3], off
	s_lshl_b32 s0, s2, 6
	s_add_i32 s0, s0, s21
	s_ashr_i32 s1, s0, 31
	s_lshl_b64 s[0:1], s[0:1], 3
	s_add_u32 s0, s10, s0
	s_addc_u32 s1, s11, s1
	s_add_i32 s12, s2, -1
	s_mul_i32 s2, s21, 0x50
	v_add_u32_e32 v4, s2, v0
	v_cvt_f32_u32_e32 v0, s22
	v_cvt_f32_ubyte0_e32 v1, 0
	s_load_dwordx2 s[0:1], s[0:1], 0x0
	v_mov_b32_e32 v8, s20
	v_fmac_f32_e32 v0, 0x4f800000, v1
	v_rcp_f32_e32 v0, v0
	v_cvt_f32_u32_e32 v1, s22
	s_waitcnt lgkmcnt(0)
	v_mov_b32_e32 v6, s1
	v_mov_b32_e32 v7, s0
	v_mul_f32_e32 v0, 0x5f7ffffc, v0
	v_rcp_iflag_f32_e32 v1, v1
	v_mul_f32_e32 v9, 0x2f800000, v0
	v_trunc_f32_e32 v10, v9
	v_fmac_f32_e32 v0, 0xcf800000, v10
	v_cvt_u32_f32_e32 v9, v0
	v_mul_f32_e32 v0, 0x4f7ffffe, v1
	v_cvt_u32_f32_e32 v10, v10
	v_cvt_u32_f32_e32 v11, v0
	s_mov_b32 s8, 0x3fb8aa3b
	s_mov_b32 s9, 0xc2ce8ed0
	;; [unrolled: 1-line block ×4, first 2 shown]
	v_mov_b32_e32 v12, 0x7f800000
	s_mul_hi_i32 s7, s12, s15
	s_cmp_lg_u64 s[6:7], 0
	s_mul_i32 s2, s12, s15
	s_cbranch_scc0 .LBB55_15
.LBB55_9:
	s_sub_u32 s0, 0, s22
	v_readfirstlane_b32 s3, v9
	v_readfirstlane_b32 s24, v10
	s_subb_u32 s1, 0, 0
	s_mul_hi_u32 s23, s0, s3
	s_mul_i32 s25, s0, s24
	s_mul_i32 s20, s1, s3
	s_add_i32 s23, s23, s25
	s_add_i32 s23, s23, s20
	s_mul_i32 s26, s0, s3
	s_mul_hi_u32 s20, s3, s23
	s_mul_i32 s25, s3, s23
	s_mul_hi_u32 s3, s3, s26
	s_add_u32 s3, s3, s25
	s_addc_u32 s20, 0, s20
	s_mul_hi_u32 s27, s24, s26
	s_mul_i32 s26, s24, s26
	s_add_u32 s3, s3, s26
	s_mul_hi_u32 s25, s24, s23
	s_addc_u32 s3, s20, s27
	s_addc_u32 s20, s25, 0
	s_mul_i32 s23, s24, s23
	s_add_u32 s3, s3, s23
	s_addc_u32 s20, 0, s20
	v_add_co_u32_e32 v0, vcc, s3, v9
	s_cmp_lg_u64 vcc, 0
	s_addc_u32 s3, s24, s20
	v_readfirstlane_b32 s23, v0
	s_mul_i32 s20, s0, s3
	s_mul_hi_u32 s24, s0, s23
	s_add_i32 s20, s24, s20
	s_mul_i32 s1, s1, s23
	s_add_i32 s20, s20, s1
	s_mul_i32 s0, s0, s23
	s_mul_hi_u32 s24, s3, s0
	s_mul_i32 s25, s3, s0
	s_mul_i32 s27, s23, s20
	s_mul_hi_u32 s0, s23, s0
	s_mul_hi_u32 s26, s23, s20
	s_add_u32 s0, s0, s27
	s_addc_u32 s23, 0, s26
	s_add_u32 s0, s0, s25
	s_mul_hi_u32 s1, s3, s20
	s_addc_u32 s0, s23, s24
	s_addc_u32 s1, s1, 0
	s_mul_i32 s20, s3, s20
	s_add_u32 s0, s0, s20
	s_addc_u32 s1, 0, s1
	v_add_co_u32_e32 v0, vcc, s0, v0
	s_cmp_lg_u64 vcc, 0
	s_addc_u32 s3, s3, s1
	s_ashr_i32 s0, s7, 31
	s_add_u32 s24, s2, s0
	s_mov_b32 s1, s0
	s_addc_u32 s25, s7, s0
	s_xor_b64 s[24:25], s[24:25], s[0:1]
	v_readfirstlane_b32 s20, v0
	s_mul_i32 s7, s24, s3
	s_mul_hi_u32 s23, s24, s20
	s_mul_hi_u32 s1, s24, s3
	s_add_u32 s7, s23, s7
	s_addc_u32 s1, 0, s1
	s_mul_hi_u32 s26, s25, s20
	s_mul_i32 s20, s25, s20
	s_add_u32 s7, s7, s20
	s_mul_hi_u32 s23, s25, s3
	s_addc_u32 s1, s1, s26
	s_addc_u32 s7, s23, 0
	s_mul_i32 s3, s25, s3
	s_add_u32 s1, s1, s3
	s_addc_u32 s3, 0, s7
	s_mul_i32 s3, s22, s3
	s_mul_hi_u32 s23, s22, s1
	s_add_i32 s23, s23, s3
	s_mul_i32 s3, s22, s1
	v_mov_b32_e32 v0, s3
	s_add_u32 s7, s1, 1
	s_add_u32 s20, s1, 2
	v_sub_co_u32_e32 v0, vcc, s24, v0
	s_cmp_lg_u64 vcc, 0
	s_subb_u32 s3, s25, s23
	v_subrev_co_u32_e32 v1, vcc, s22, v0
	s_cmp_lg_u64 vcc, 0
	s_subb_u32 s23, s3, 0
	v_cmp_le_u32_e32 vcc, s22, v1
	s_cmp_eq_u32 s23, 0
	v_mov_b32_e32 v13, s7
	v_cndmask_b32_e64 v1, 0, -1, vcc
	s_cselect_b64 vcc, -1, 0
	v_cndmask_b32_e32 v1, -1, v1, vcc
	v_mov_b32_e32 v14, s20
	v_cmp_ne_u32_e32 vcc, 0, v1
	s_cmp_eq_u32 s3, 0
	s_nop 0
	v_cndmask_b32_e32 v1, v13, v14, vcc
	v_cmp_le_u32_e32 vcc, s22, v0
	v_mov_b32_e32 v13, s1
	s_nop 0
	v_cndmask_b32_e64 v0, 0, -1, vcc
	s_cselect_b64 vcc, -1, 0
	v_cndmask_b32_e32 v0, -1, v0, vcc
	v_cmp_ne_u32_e32 vcc, 0, v0
	s_nop 1
	v_cndmask_b32_e32 v0, v13, v1, vcc
	v_xor_b32_e32 v0, s0, v0
	v_subrev_co_u32_e32 v0, vcc, s0, v0
	s_cbranch_execnz .LBB55_11
.LBB55_10:
	s_sub_i32 s0, 0, s22
	v_mul_lo_u32 v0, s0, v11
	v_mul_hi_u32 v0, v11, v0
	v_add_u32_e32 v0, v11, v0
	v_mul_hi_u32 v0, s2, v0
	v_mul_lo_u32 v13, v0, s22
	v_sub_u32_e32 v13, s2, v13
	v_add_u32_e32 v1, 1, v0
	v_subrev_u32_e32 v14, s22, v13
	v_cmp_le_u32_e32 vcc, s22, v13
	s_nop 1
	v_cndmask_b32_e32 v13, v13, v14, vcc
	v_cndmask_b32_e32 v0, v0, v1, vcc
	v_add_u32_e32 v1, 1, v0
	v_cmp_le_u32_e32 vcc, s22, v13
	s_nop 1
	v_cndmask_b32_e32 v0, v0, v1, vcc
.LBB55_11:
	v_cmp_ne_u32_e32 vcc, v8, v0
	s_cbranch_vccz .LBB55_14
; %bb.12:
	s_add_i32 s0, s12, s22
	s_lshl_b32 s0, s0, 6
	v_mul_hi_u32 v1, v0, s16
	s_add_i32 s0, s0, s21
	s_mov_b32 s1, s6
	v_add_u32_e32 v1, v1, v0
	s_lshl_b64 s[0:1], s[0:1], 3
	v_lshrrev_b32_e32 v1, s17, v1
	s_add_u32 s2, s10, s0
	v_mul_lo_u32 v13, v1, s18
	s_addc_u32 s3, s11, s1
	v_cmp_eq_u32_e32 vcc, v13, v0
	v_cmp_gt_u32_e64 s[0:1], s19, v1
	s_or_b64 s[0:1], s[0:1], vcc
	s_and_b64 vcc, exec, s[0:1]
	s_cbranch_vccnz .LBB55_16
; %bb.13:
	s_add_i32 s7, s12, -1
	s_mov_b64 s[0:1], 0
	s_branch .LBB55_17
.LBB55_14:
                                        ; implicit-def: $sgpr0_sgpr1
                                        ; implicit-def: $vgpr14
                                        ; implicit-def: $vgpr1
                                        ; implicit-def: $vgpr13
                                        ; implicit-def: $sgpr7
                                        ; implicit-def: $vgpr0
	s_branch .LBB55_18
.LBB55_15:
                                        ; implicit-def: $vgpr0_vgpr1
	s_branch .LBB55_10
.LBB55_16:
	s_mov_b64 s[0:1], -1
	s_mov_b32 s7, s12
	v_mov_b32_e32 v0, v8
.LBB55_17:
	s_mul_i32 s20, s12, 0x1400
	v_add_u32_e32 v14, s20, v4
	v_ashrrev_i32_e32 v15, 31, v14
	v_lshl_add_u64 v[14:15], v[14:15], 2, s[4:5]
	global_load_dword v14, v[14:15], off
	s_load_dwordx2 s[2:3], s[2:3], 0x0
	v_max_f32_e32 v1, v7, v7
	s_waitcnt lgkmcnt(0)
	v_max_f32_e64 v13, s2, s2
	v_max_f32_e32 v1, v1, v13
	v_sub_f32_e32 v13, v7, v1
	v_sub_f32_e32 v15, s2, v1
	v_mul_f32_e32 v16, 0x3fb8aa3b, v13
	v_mul_f32_e32 v17, 0x3fb8aa3b, v15
	v_fma_f32 v18, v13, s8, -v16
	v_rndne_f32_e32 v19, v16
	v_fma_f32 v20, v15, s8, -v17
	v_rndne_f32_e32 v21, v17
	v_fmac_f32_e32 v18, 0x32a5705f, v13
	v_sub_f32_e32 v16, v16, v19
	v_fmac_f32_e32 v20, 0x32a5705f, v15
	v_sub_f32_e32 v17, v17, v21
	v_add_f32_e32 v16, v16, v18
	v_cvt_i32_f32_e32 v19, v19
	v_add_f32_e32 v17, v17, v20
	v_exp_f32_e32 v16, v16
	v_cvt_i32_f32_e32 v21, v21
	v_exp_f32_e32 v17, v17
	v_cmp_ngt_f32_e32 vcc, s9, v13
	v_ldexp_f32 v16, v16, v19
	v_ldexp_f32 v17, v17, v21
	v_cndmask_b32_e32 v16, 0, v16, vcc
	v_cmp_ngt_f32_e32 vcc, s9, v15
	s_nop 1
	v_cndmask_b32_e32 v17, 0, v17, vcc
	v_cmp_nlt_f32_e32 vcc, s13, v13
	s_nop 1
	v_cndmask_b32_e32 v16, v12, v16, vcc
	v_cmp_nlt_f32_e32 vcc, s13, v15
	s_nop 1
	v_cndmask_b32_e32 v17, v12, v17, vcc
	v_cmp_le_f32_e32 vcc, s14, v13
	s_nop 1
	v_cndmask_b32_e32 v16, 0, v16, vcc
	v_cmp_le_f32_e32 vcc, s14, v15
	s_nop 1
	v_cndmask_b32_e32 v15, 0, v17, vcc
	v_mul_f32_e32 v13, s3, v15
	v_fmac_f32_e32 v13, v6, v16
	s_waitcnt vmcnt(0)
	v_mul_f32_e32 v14, v14, v15
	v_fmac_f32_e32 v14, v5, v16
	s_cbranch_execnz .LBB55_19
.LBB55_18:
	s_add_i32 s7, s12, -1
	s_mov_b64 s[0:1], 0
	v_mov_b32_e32 v0, v8
	v_mov_b32_e32 v13, v6
	;; [unrolled: 1-line block ×3, first 2 shown]
	s_waitcnt vmcnt(0)
	v_mov_b32_e32 v14, v5
.LBB55_19:
	s_andn2_b64 vcc, exec, s[0:1]
	s_cbranch_vccz .LBB55_23
; %bb.20:
	v_mov_b32_e32 v8, v0
	s_mov_b32 s12, s7
	v_mov_b32_e32 v6, v13
	v_mov_b32_e32 v7, v1
	s_waitcnt vmcnt(0)
	v_mov_b32_e32 v5, v14
	s_mul_hi_i32 s7, s12, s15
	s_cmp_lg_u64 s[6:7], 0
	s_mul_i32 s2, s12, s15
	s_cbranch_scc1 .LBB55_9
	s_branch .LBB55_15
.LBB55_21:
                                        ; implicit-def: $sgpr20_sgpr21
	s_load_dwordx4 s[16:19], s[0:1], 0x44
	s_branch .LBB55_2
.LBB55_22:
                                        ; implicit-def: $vgpr2_vgpr3
	s_branch .LBB55_5
.LBB55_23:
	v_div_scale_f32 v0, s[0:1], v13, v13, v14
	v_rcp_f32_e32 v1, v0
	v_div_scale_f32 v4, vcc, v14, v13, v14
	s_waitcnt vmcnt(0)
	v_fma_f32 v5, -v0, v1, 1.0
	v_fmac_f32_e32 v1, v5, v1
	v_mul_f32_e32 v5, v4, v1
	v_fma_f32 v6, -v0, v5, v4
	v_fmac_f32_e32 v5, v6, v1
	v_fma_f32 v0, -v0, v5, v4
	v_div_fmas_f32 v0, v0, v1, v5
	v_div_fixup_f32 v0, v0, v13, v14
	global_store_dword v[2:3], v0, off
.LBB55_24:
	s_endpgm
	.section	.rodata,"a",@progbits
	.p2align	6, 0x0
	.amdhsa_kernel _ZL33flash_attn_stream_k_fixup_generalILi80ELi64ELi1EEvPfPK15HIP_vector_typeIfLj2EEiiiiS1_IjLj3EES5_S5_S5_
		.amdhsa_group_segment_fixed_size 0
		.amdhsa_private_segment_fixed_size 0
		.amdhsa_kernarg_size 336
		.amdhsa_user_sgpr_count 2
		.amdhsa_user_sgpr_dispatch_ptr 0
		.amdhsa_user_sgpr_queue_ptr 0
		.amdhsa_user_sgpr_kernarg_segment_ptr 1
		.amdhsa_user_sgpr_dispatch_id 0
		.amdhsa_user_sgpr_kernarg_preload_length 0
		.amdhsa_user_sgpr_kernarg_preload_offset 0
		.amdhsa_user_sgpr_private_segment_size 0
		.amdhsa_uses_dynamic_stack 0
		.amdhsa_enable_private_segment 0
		.amdhsa_system_sgpr_workgroup_id_x 1
		.amdhsa_system_sgpr_workgroup_id_y 1
		.amdhsa_system_sgpr_workgroup_id_z 1
		.amdhsa_system_sgpr_workgroup_info 0
		.amdhsa_system_vgpr_workitem_id 0
		.amdhsa_next_free_vgpr 22
		.amdhsa_next_free_sgpr 32
		.amdhsa_accum_offset 24
		.amdhsa_reserve_vcc 1
		.amdhsa_float_round_mode_32 0
		.amdhsa_float_round_mode_16_64 0
		.amdhsa_float_denorm_mode_32 3
		.amdhsa_float_denorm_mode_16_64 3
		.amdhsa_dx10_clamp 1
		.amdhsa_ieee_mode 1
		.amdhsa_fp16_overflow 0
		.amdhsa_tg_split 0
		.amdhsa_exception_fp_ieee_invalid_op 0
		.amdhsa_exception_fp_denorm_src 0
		.amdhsa_exception_fp_ieee_div_zero 0
		.amdhsa_exception_fp_ieee_overflow 0
		.amdhsa_exception_fp_ieee_underflow 0
		.amdhsa_exception_fp_ieee_inexact 0
		.amdhsa_exception_int_div_zero 0
	.end_amdhsa_kernel
	.section	.text._ZL33flash_attn_stream_k_fixup_generalILi80ELi64ELi1EEvPfPK15HIP_vector_typeIfLj2EEiiiiS1_IjLj3EES5_S5_S5_,"axG",@progbits,_ZL33flash_attn_stream_k_fixup_generalILi80ELi64ELi1EEvPfPK15HIP_vector_typeIfLj2EEiiiiS1_IjLj3EES5_S5_S5_,comdat
.Lfunc_end55:
	.size	_ZL33flash_attn_stream_k_fixup_generalILi80ELi64ELi1EEvPfPK15HIP_vector_typeIfLj2EEiiiiS1_IjLj3EES5_S5_S5_, .Lfunc_end55-_ZL33flash_attn_stream_k_fixup_generalILi80ELi64ELi1EEvPfPK15HIP_vector_typeIfLj2EEiiiiS1_IjLj3EES5_S5_S5_
                                        ; -- End function
	.section	.AMDGPU.csdata,"",@progbits
; Kernel info:
; codeLenInByte = 2860
; NumSgprs: 38
; NumVgprs: 22
; NumAgprs: 0
; TotalNumVgprs: 22
; ScratchSize: 0
; MemoryBound: 0
; FloatMode: 240
; IeeeMode: 1
; LDSByteSize: 0 bytes/workgroup (compile time only)
; SGPRBlocks: 4
; VGPRBlocks: 2
; NumSGPRsForWavesPerEU: 38
; NumVGPRsForWavesPerEU: 22
; AccumOffset: 24
; Occupancy: 8
; WaveLimiterHint : 0
; COMPUTE_PGM_RSRC2:SCRATCH_EN: 0
; COMPUTE_PGM_RSRC2:USER_SGPR: 2
; COMPUTE_PGM_RSRC2:TRAP_HANDLER: 0
; COMPUTE_PGM_RSRC2:TGID_X_EN: 1
; COMPUTE_PGM_RSRC2:TGID_Y_EN: 1
; COMPUTE_PGM_RSRC2:TGID_Z_EN: 1
; COMPUTE_PGM_RSRC2:TIDIG_COMP_CNT: 0
; COMPUTE_PGM_RSRC3_GFX90A:ACCUM_OFFSET: 5
; COMPUTE_PGM_RSRC3_GFX90A:TG_SPLIT: 0
	.section	.text._ZL15flash_attn_tileILi80ELi80ELi32ELi1ELb0EEvPKcS1_S1_S1_S1_PKiPfP15HIP_vector_typeIfLj2EEffffjfiS5_IjLj3EEiiiiiiiiiiiliiliiiiil,"axG",@progbits,_ZL15flash_attn_tileILi80ELi80ELi32ELi1ELb0EEvPKcS1_S1_S1_S1_PKiPfP15HIP_vector_typeIfLj2EEffffjfiS5_IjLj3EEiiiiiiiiiiiliiliiiiil,comdat
	.globl	_ZL15flash_attn_tileILi80ELi80ELi32ELi1ELb0EEvPKcS1_S1_S1_S1_PKiPfP15HIP_vector_typeIfLj2EEffffjfiS5_IjLj3EEiiiiiiiiiiiliiliiiiil ; -- Begin function _ZL15flash_attn_tileILi80ELi80ELi32ELi1ELb0EEvPKcS1_S1_S1_S1_PKiPfP15HIP_vector_typeIfLj2EEffffjfiS5_IjLj3EEiiiiiiiiiiiliiliiiiil
	.p2align	8
	.type	_ZL15flash_attn_tileILi80ELi80ELi32ELi1ELb0EEvPKcS1_S1_S1_S1_PKiPfP15HIP_vector_typeIfLj2EEffffjfiS5_IjLj3EEiiiiiiiiiiiliiliiiiil,@function
_ZL15flash_attn_tileILi80ELi80ELi32ELi1ELb0EEvPKcS1_S1_S1_S1_PKiPfP15HIP_vector_typeIfLj2EEffffjfiS5_IjLj3EEiiiiiiiiiiiliiliiiiil: ; @_ZL15flash_attn_tileILi80ELi80ELi32ELi1ELb0EEvPKcS1_S1_S1_S1_PKiPfP15HIP_vector_typeIfLj2EEffffjfiS5_IjLj3EEiiiiiiiiiiiliiliiiiil
; %bb.0:
	s_load_dwordx4 s[28:31], s[0:1], 0x5c
	s_load_dwordx2 s[54:55], s[0:1], 0x80
	s_load_dwordx16 s[36:51], s[0:1], 0x0
	s_mov_b64 s[52:53], 0
	s_waitcnt lgkmcnt(0)
	v_cvt_f32_u32_e32 v1, s31
	s_sub_i32 s5, 0, s31
	v_rcp_iflag_f32_e32 v1, v1
	s_nop 0
	v_mul_f32_e32 v1, 0x4f7ffffe, v1
	v_cvt_u32_f32_e32 v1, v1
	s_nop 0
	v_readfirstlane_b32 s6, v1
	s_mul_i32 s5, s5, s6
	s_mul_hi_u32 s5, s6, s5
	s_add_i32 s6, s6, s5
	s_mul_hi_u32 s5, s4, s6
	s_mul_i32 s6, s5, s31
	s_sub_i32 s6, s4, s6
	s_add_i32 s7, s5, 1
	s_sub_i32 s8, s6, s31
	s_cmp_ge_u32 s6, s31
	s_cselect_b32 s5, s7, s5
	s_cselect_b32 s6, s8, s6
	s_add_i32 s7, s5, 1
	s_cmp_ge_u32 s6, s31
	s_cselect_b32 s33, s7, s5
	s_abs_i32 s5, s55
	v_cvt_f32_u32_e32 v1, s5
	s_sub_i32 s8, 0, s5
	s_abs_i32 s7, s31
	s_xor_b32 s6, s31, s55
	v_rcp_iflag_f32_e32 v1, v1
	s_ashr_i32 s6, s6, 31
	v_mul_f32_e32 v1, 0x4f7ffffe, v1
	v_cvt_u32_f32_e32 v1, v1
	s_nop 0
	v_readfirstlane_b32 s9, v1
	s_mul_i32 s8, s8, s9
	s_mul_hi_u32 s8, s9, s8
	s_add_i32 s9, s9, s8
	s_mul_hi_u32 s8, s7, s9
	s_mul_i32 s9, s8, s5
	s_sub_i32 s7, s7, s9
	s_add_i32 s10, s8, 1
	s_sub_i32 s9, s7, s5
	s_cmp_ge_u32 s7, s5
	s_cselect_b32 s8, s10, s8
	s_cselect_b32 s7, s9, s7
	s_add_i32 s9, s8, 1
	s_cmp_ge_u32 s7, s5
	s_cselect_b32 s5, s9, s8
	s_xor_b32 s5, s5, s6
	s_sub_i32 s17, s5, s6
	s_abs_i32 s16, s17
	v_cvt_f32_u32_e32 v1, s16
	s_load_dwordx2 s[10:11], s[0:1], 0xb8
	s_mul_i32 s5, s33, s31
	s_cmp_eq_u64 s[42:43], 0
	v_rcp_iflag_f32_e32 v1, v1
	s_nop 0
	v_mul_f32_e32 v1, 0x4f7ffffe, v1
	v_cvt_u32_f32_e32 v1, v1
	s_nop 0
	v_readfirstlane_b32 s18, v1
	s_cbranch_scc1 .LBB56_2
; %bb.1:
	s_waitcnt lgkmcnt(0)
	s_abs_i32 s8, s10
	v_cvt_f32_u32_e32 v1, s8
	s_sub_i32 s12, 0, s8
	s_abs_i32 s10, s33
	s_ashr_i32 s9, s33, 31
	v_rcp_iflag_f32_e32 v1, v1
	s_load_dwordx2 s[6:7], s[0:1], 0xc8
	v_mul_f32_e32 v1, 0x4f7ffffe, v1
	v_cvt_u32_f32_e32 v1, v1
	s_nop 0
	v_readfirstlane_b32 s13, v1
	s_mul_i32 s12, s12, s13
	s_mul_hi_u32 s12, s13, s12
	s_add_i32 s13, s13, s12
	s_mul_hi_u32 s12, s10, s13
	s_mul_i32 s12, s12, s8
	s_sub_i32 s10, s10, s12
	s_sub_i32 s12, s10, s8
	s_cmp_ge_u32 s10, s8
	s_cselect_b32 s10, s12, s10
	s_sub_i32 s12, s10, s8
	s_cmp_ge_u32 s10, s8
	s_cselect_b32 s8, s12, s10
	s_xor_b32 s8, s8, s9
	s_sub_i32 s8, s8, s9
	s_ashr_i32 s9, s8, 31
	s_waitcnt lgkmcnt(0)
	s_mul_i32 s7, s8, s7
	s_mul_hi_u32 s10, s8, s6
	s_add_i32 s7, s10, s7
	s_mul_i32 s9, s9, s6
	s_add_i32 s7, s7, s9
	s_mul_i32 s8, s8, s6
	s_add_u32 s52, s42, s8
	s_addc_u32 s53, s43, s7
.LBB56_2:
	s_load_dwordx4 s[12:15], s[0:1], 0x40
	s_sub_i32 s34, s4, s5
	s_load_dword s4, s[0:1], 0x50
	s_waitcnt lgkmcnt(0)
	s_sub_i32 s10, 0, s16
	v_mov_b32_e32 v75, 1.0
	v_cmp_le_f32_e64 s[6:7], s13, 0
	s_and_b64 vcc, exec, s[6:7]
	s_cbranch_vccnz .LBB56_4
; %bb.3:
	s_sub_i32 s5, s34, s4
	s_lshl_b32 s5, s5, 1
	s_add_i32 s6, s34, 1
	s_or_b32 s7, s5, 1
	s_cmp_lt_u32 s34, s4
	s_cselect_b64 vcc, -1, 0
	s_and_b64 s[4:5], vcc, exec
	v_mov_b32_e32 v1, s15
	v_mov_b32_e32 v2, s14
	s_cselect_b32 s4, s6, s7
	v_cndmask_b32_e32 v18, v1, v2, vcc
	v_cvt_f32_i32_e32 v1, s4
	v_cmp_neq_f32_e32 vcc, 1.0, v18
	s_mov_b32 s4, 0x3f2aaaab
	s_movk_i32 s6, 0x204
	v_cndmask_b32_e32 v19, 1.0, v1, vcc
	v_cmp_eq_f32_e32 vcc, 0, v19
	s_mov_b32 s8, 0x42b17218
	s_mov_b32 s7, 0x7f800000
	v_cndmask_b32_e64 v20, |v18|, 1.0, vcc
	v_frexp_mant_f32_e32 v1, v20
	v_cmp_gt_f32_e64 s[4:5], s4, v1
	s_brev_b32 s13, -2
	s_nop 0
	v_cndmask_b32_e64 v2, 1.0, 2.0, s[4:5]
	v_mul_f32_e32 v1, v1, v2
	v_add_f32_e32 v2, 1.0, v1
	v_rcp_f32_e32 v10, v2
	v_add_f32_e32 v3, -1.0, v2
	v_sub_f32_e32 v5, v1, v3
	v_add_f32_e32 v3, -1.0, v1
	v_mul_f32_e32 v1, v3, v10
	v_mul_f32_e32 v4, v2, v1
	v_fma_f32 v6, v1, v2, -v4
	v_fmac_f32_e32 v6, v1, v5
	v_add_f32_e32 v2, v4, v6
	v_sub_f32_e32 v5, v3, v2
	v_pk_add_f32 v[8:9], v[2:3], v[4:5] neg_lo:[0,1] neg_hi:[0,1]
	v_mov_b32_e32 v7, v2
	v_pk_add_f32 v[2:3], v[8:9], v[6:7] neg_lo:[0,1] neg_hi:[0,1]
	v_mov_b32_e32 v6, 0x3e91f4c4
	v_add_f32_e32 v2, v2, v3
	v_add_f32_e32 v2, v5, v2
	v_mul_f32_e32 v3, v10, v2
	v_add_f32_e32 v2, v1, v3
	v_sub_f32_e32 v1, v2, v1
	v_sub_f32_e32 v1, v3, v1
	v_mul_f32_e32 v3, v2, v2
	v_fma_f32 v5, v2, v2, -v3
	v_add_f32_e32 v4, v1, v1
	v_fmac_f32_e32 v5, v2, v4
	v_add_f32_e32 v4, v3, v5
	v_fmac_f32_e32 v6, 0x3e76c4e1, v4
	v_fmaak_f32 v6, v4, v6, 0x3ecccdef
	v_sub_f32_e32 v3, v4, v3
	v_sub_f32_e32 v12, v5, v3
	v_mul_f32_e32 v3, v4, v6
	v_fma_f32 v5, v4, v6, -v3
	v_fmac_f32_e32 v5, v12, v6
	v_add_f32_e32 v6, v3, v5
	v_add_f32_e32 v7, 0x3f2aaaaa, v6
	v_sub_f32_e32 v3, v6, v3
	v_sub_f32_e32 v3, v5, v3
	v_add_f32_e32 v5, 0xbf2aaaaa, v7
	v_add_f32_e32 v3, 0x31739010, v3
	v_sub_f32_e32 v5, v6, v5
	v_pk_mul_f32 v[8:9], v[2:3], v[4:5]
	v_pk_add_f32 v[10:11], v[2:3], v[4:5]
	v_fma_f32 v6, v4, v2, -v8
	v_fmac_f32_e32 v6, v4, v1
	v_mov_b32_e32 v9, v11
	v_fmac_f32_e32 v6, v12, v2
	v_pk_add_f32 v[4:5], v[8:9], v[6:7]
	v_ldexp_f32 v1, v1, 1
	v_sub_f32_e32 v3, v4, v8
	v_sub_f32_e32 v3, v6, v3
	v_sub_f32_e32 v6, v7, v5
	v_add_f32_e32 v9, v11, v6
	v_mov_b32_e32 v6, v5
	v_pk_mul_f32 v[6:7], v[4:5], v[6:7]
	v_cvt_f64_f32_e32 v[10:11], v20
	v_frexp_exp_i32_f64_e32 v7, v[10:11]
	v_subbrev_co_u32_e64 v7, s[4:5], 0, v7, s[4:5]
	v_cvt_f32_i32_e32 v7, v7
	v_fma_f32 v8, v4, v5, -v6
	v_fmac_f32_e32 v8, v4, v9
	s_mov_b32 s4, 0x3f317218
	v_mul_f32_e32 v4, 0x3f317218, v7
	v_fmac_f32_e32 v8, v3, v5
	v_fma_f32 v3, v7, s4, -v4
	v_fmamk_f32 v10, v7, 0xb102e308, v3
	v_ldexp_f32 v11, v2, 1
	v_add_f32_e32 v5, v6, v8
	v_pk_add_f32 v[2:3], v[4:5], v[10:11]
	v_mov_b32_e32 v12, v5
	v_mov_b32_e32 v13, v3
	;; [unrolled: 1-line block ×3, first 2 shown]
	v_pk_add_f32 v[6:7], v[12:13], v[6:7] neg_lo:[0,1] neg_hi:[0,1]
	v_mov_b32_e32 v9, v5
	v_pk_add_f32 v[6:7], v[8:9], v[6:7] neg_lo:[0,1] neg_hi:[0,1]
	v_mov_b32_e32 v11, v2
	v_add_f32_e32 v1, v1, v6
	v_add_f32_e32 v5, v1, v7
	v_pk_add_f32 v[6:7], v[2:3], v[4:5] neg_lo:[0,1] neg_hi:[0,1]
	v_pk_add_f32 v[8:9], v[2:3], v[4:5]
	v_mov_b32_e32 v12, v6
	v_mov_b32_e32 v13, v9
	v_pk_add_f32 v[12:13], v[10:11], v[12:13]
	v_pk_add_f32 v[6:7], v[10:11], v[6:7] neg_lo:[0,1] neg_hi:[0,1]
	v_mov_b32_e32 v4, v13
	v_pk_add_f32 v[14:15], v[4:5], v[2:3] neg_lo:[0,1] neg_hi:[0,1]
	v_mov_b32_e32 v12, v9
	v_mov_b32_e32 v1, v14
	;; [unrolled: 1-line block ×4, first 2 shown]
	v_pk_add_f32 v[16:17], v[8:9], v[0:1] neg_lo:[0,1] neg_hi:[0,1]
	v_pk_add_f32 v[2:3], v[12:13], v[2:3] neg_lo:[0,1] neg_hi:[0,1]
	v_mov_b32_e32 v10, v5
	v_pk_add_f32 v[2:3], v[10:11], v[2:3] neg_lo:[0,1] neg_hi:[0,1]
	v_mov_b32_e32 v16, v6
	v_pk_add_f32 v[8:9], v[16:17], v[2:3]
	v_mov_b32_e32 v7, v13
	v_mov_b32_e32 v10, v9
	v_pk_add_f32 v[10:11], v[8:9], v[10:11]
	s_nop 0
	v_pk_add_f32 v[4:5], v[4:5], v[10:11]
	v_mov_b32_e32 v3, v10
	v_mov_b32_e32 v9, v4
	v_pk_add_f32 v[12:13], v[8:9], v[6:7] neg_lo:[0,1] neg_hi:[0,1]
	s_nop 0
	v_sub_f32_e32 v1, v8, v12
	v_pk_add_f32 v[2:3], v[2:3], v[12:13] neg_lo:[0,1] neg_hi:[0,1]
	v_sub_f32_e32 v1, v6, v1
	v_add_f32_e32 v1, v2, v1
	v_add_f32_e32 v1, v1, v3
	;; [unrolled: 1-line block ×3, first 2 shown]
	v_sub_f32_e32 v3, v2, v4
	v_sub_f32_e32 v1, v1, v3
	v_mul_f32_e32 v3, v19, v2
	v_fma_f32 v2, v19, v2, -v3
	v_fmac_f32_e32 v2, v19, v1
	v_add_f32_e32 v1, v3, v2
	v_cmp_class_f32_e64 s[4:5], v3, s6
	v_sub_f32_e32 v4, v1, v3
	v_sub_f32_e32 v2, v2, v4
	v_cndmask_b32_e64 v1, v1, v3, s[4:5]
	v_mov_b32_e32 v3, 0x37000000
	v_cmp_eq_f32_e64 s[4:5], s8, v1
	s_nop 1
	v_cndmask_b32_e64 v3, 0, v3, s[4:5]
	v_sub_f32_e32 v4, v1, v3
	s_mov_b32 s4, 0x3fb8aa3b
	v_mul_f32_e32 v5, 0x3fb8aa3b, v4
	v_fma_f32 v6, v4, s4, -v5
	v_rndne_f32_e32 v7, v5
	v_fmamk_f32 v6, v4, 0x32a5705f, v6
	v_sub_f32_e32 v5, v5, v7
	v_add_f32_e32 v5, v5, v6
	v_exp_f32_e32 v5, v5
	v_cvt_i32_f32_e32 v6, v7
	v_cmp_neq_f32_e64 s[4:5], |v1|, s7
	s_nop 1
	v_cndmask_b32_e64 v1, 0, v2, s[4:5]
	s_mov_b32 s4, 0xc2ce8ed0
	v_ldexp_f32 v2, v5, v6
	v_cmp_ngt_f32_e64 s[4:5], s4, v4
	v_add_f32_e32 v1, v3, v1
	v_mov_b32_e32 v3, 0x7f800000
	v_cndmask_b32_e64 v2, 0, v2, s[4:5]
	v_cmp_nlt_f32_e64 s[4:5], s8, v4
	v_trunc_f32_e32 v4, v19
	v_mov_b32_e32 v5, 0x7fc00000
	v_cndmask_b32_e64 v2, v3, v2, s[4:5]
	v_fma_f32 v1, v2, v1, v2
	v_cmp_class_f32_e64 s[4:5], v2, s6
	v_cmp_gt_f32_e64 s[8:9], 0, v19
	s_nop 0
	v_cndmask_b32_e64 v1, v1, v2, s[4:5]
	v_cndmask_b32_e64 v2, v18, 1.0, vcc
	v_cmp_eq_f32_e32 vcc, v4, v19
	v_mul_f32_e32 v4, 0.5, v19
	v_trunc_f32_e32 v6, v4
	v_cmp_neq_f32_e64 s[4:5], v6, v4
	s_and_b64 s[4:5], vcc, s[4:5]
	s_nop 0
	v_cndmask_b32_e64 v4, 1.0, v2, s[4:5]
	v_bfi_b32 v1, s13, v1, v4
	v_cndmask_b32_e32 v4, v5, v1, vcc
	v_cmp_gt_f32_e32 vcc, 0, v2
	s_nop 1
	v_cndmask_b32_e32 v1, v1, v4, vcc
	v_cmp_eq_f32_e32 vcc, s7, v20
	v_cmp_eq_f32_e64 s[6:7], 0, v2
	s_xor_b64 s[8:9], s[8:9], s[6:7]
	v_cndmask_b32_e64 v3, v3, 0, s[8:9]
	v_cndmask_b32_e64 v4, 0, v2, s[4:5]
	v_bfi_b32 v3, s13, v3, v4
	s_or_b64 vcc, vcc, s[6:7]
	v_cndmask_b32_e32 v1, v1, v3, vcc
	v_cmp_o_f32_e32 vcc, v2, v2
	s_nop 1
	v_cndmask_b32_e32 v75, v5, v1, vcc
.LBB56_4:
	s_load_dwordx4 s[4:7], s[0:1], 0x70
	s_lshl_b32 s55, s2, 5
	v_bfe_u32 v73, v0, 10, 10
	v_and_b32_e32 v104, 0x3ff, v0
	v_lshlrev_b32_e32 v106, 2, v73
	s_waitcnt lgkmcnt(0)
	s_mul_i32 s6, s33, s6
	s_ashr_i32 s7, s6, 31
	s_mul_i32 s5, s34, s5
	s_add_u32 s6, s36, s6
	s_addc_u32 s7, s37, s7
	s_ashr_i32 s8, s5, 31
	s_add_u32 s6, s6, s5
	s_addc_u32 s7, s7, s8
	s_ashr_i32 s5, s4, 31
	v_lshlrev_b32_e32 v0, 4, v104
	v_mov_b32_e32 v1, 0
	s_mul_i32 s10, s10, s18
	v_cmp_gt_u32_e64 s[26:27], 20, v104
	s_lshr_b64 s[4:5], s[4:5], 2
	v_lshl_add_u64 v[0:1], s[6:7], 0, v[0:1]
	v_lshlrev_b32_e32 v2, 1, v104
	v_add_u32_e32 v107, s55, v106
	s_and_saveexec_b64 s[6:7], s[26:27]
	s_cbranch_execz .LBB56_6
; %bb.5:
	v_mul_hi_u32 v3, v107, s28
	v_add_u32_e32 v3, v107, v3
	v_lshrrev_b32_e32 v3, s29, v3
	v_mul_lo_u32 v3, v3, s30
	v_sub_u32_e32 v3, v107, v3
	v_mad_u64_u32 v[4:5], s[8:9], s4, v3, 0
	v_mov_b32_e32 v6, v5
	v_mad_u64_u32 v[6:7], s[8:9], s5, v3, v[6:7]
	v_mov_b32_e32 v5, v6
	v_lshl_add_u64 v[4:5], v[4:5], 2, v[0:1]
	global_load_dwordx4 v[4:7], v[4:5], off
	s_waitcnt vmcnt(0)
	v_pk_mul_f32 v[4:5], v[4:5], s[12:13] op_sel_hi:[1,0]
	v_pk_mul_f32 v[6:7], v[6:7], s[12:13] op_sel_hi:[1,0]
	v_cvt_f16_f32_e32 v3, v5
	v_cvt_f16_f32_e32 v5, v7
	v_cvt_f16_f32_e32 v6, v6
	v_cvt_f16_f32_e32 v4, v4
	v_mul_u32_u24_e32 v7, 0xa0, v73
	v_add_lshl_u32 v7, v7, v2, 2
	v_pack_b32_f16 v5, v6, v5
	v_pack_b32_f16 v4, v4, v3
	ds_write_b64 v7, v[4:5]
.LBB56_6:
	s_or_b64 exec, exec, s[6:7]
	v_or_b32_e32 v103, 1, v106
	s_mul_hi_u32 s9, s18, s10
	v_add_u32_e32 v105, s55, v103
	s_and_saveexec_b64 s[6:7], s[26:27]
	s_cbranch_execz .LBB56_8
; %bb.7:
	v_mul_hi_u32 v3, v105, s28
	v_add_u32_e32 v3, v105, v3
	v_lshrrev_b32_e32 v3, s29, v3
	v_mul_lo_u32 v3, v3, s30
	v_sub_u32_e32 v3, v105, v3
	v_mad_u64_u32 v[4:5], s[14:15], s4, v3, 0
	v_mov_b32_e32 v6, v5
	v_mad_u64_u32 v[6:7], s[14:15], s5, v3, v[6:7]
	v_mov_b32_e32 v5, v6
	v_lshl_add_u64 v[4:5], v[4:5], 2, v[0:1]
	global_load_dwordx4 v[4:7], v[4:5], off
	s_waitcnt vmcnt(0)
	v_pk_mul_f32 v[4:5], v[4:5], s[12:13] op_sel_hi:[1,0]
	v_pk_mul_f32 v[6:7], v[6:7], s[12:13] op_sel_hi:[1,0]
	v_cvt_f16_f32_e32 v3, v5
	v_cvt_f16_f32_e32 v5, v7
	;; [unrolled: 1-line block ×4, first 2 shown]
	v_mul_u32_u24_e32 v7, 40, v103
	v_add_lshl_u32 v7, v7, v2, 2
	v_pack_b32_f16 v5, v6, v5
	v_pack_b32_f16 v4, v4, v3
	ds_write_b64 v7, v[4:5]
.LBB56_8:
	s_or_b64 exec, exec, s[6:7]
	s_abs_i32 s8, s34
	s_add_i32 s18, s18, s9
	v_or_b32_e32 v102, 2, v106
	s_and_saveexec_b64 s[6:7], s[26:27]
	s_cbranch_execz .LBB56_10
; %bb.9:
	v_add_u32_e32 v3, s55, v102
	v_mul_hi_u32 v4, v3, s28
	v_add_u32_e32 v4, v3, v4
	v_lshrrev_b32_e32 v4, s29, v4
	v_mul_lo_u32 v4, v4, s30
	v_sub_u32_e32 v3, v3, v4
	v_mad_u64_u32 v[4:5], s[14:15], s4, v3, 0
	v_mov_b32_e32 v6, v5
	v_mad_u64_u32 v[6:7], s[14:15], s5, v3, v[6:7]
	v_mov_b32_e32 v5, v6
	v_lshl_add_u64 v[4:5], v[4:5], 2, v[0:1]
	global_load_dwordx4 v[4:7], v[4:5], off
	s_waitcnt vmcnt(0)
	v_pk_mul_f32 v[4:5], v[4:5], s[12:13] op_sel_hi:[1,0]
	v_pk_mul_f32 v[6:7], v[6:7], s[12:13] op_sel_hi:[1,0]
	v_cvt_f16_f32_e32 v3, v5
	v_cvt_f16_f32_e32 v5, v7
	v_cvt_f16_f32_e32 v6, v6
	v_cvt_f16_f32_e32 v4, v4
	v_mul_u32_u24_e32 v7, 40, v102
	v_add_lshl_u32 v7, v7, v2, 2
	v_pack_b32_f16 v5, v6, v5
	v_pack_b32_f16 v4, v4, v3
	ds_write_b64 v7, v[4:5]
.LBB56_10:
	s_or_b64 exec, exec, s[6:7]
	s_mul_hi_u32 s9, s8, s18
	v_or_b32_e32 v77, 3, v106
	s_and_saveexec_b64 s[6:7], s[26:27]
	s_cbranch_execz .LBB56_12
; %bb.11:
	v_add_u32_e32 v3, s55, v77
	v_mul_hi_u32 v4, v3, s28
	v_add_u32_e32 v4, v3, v4
	v_lshrrev_b32_e32 v4, s29, v4
	v_mul_lo_u32 v4, v4, s30
	v_sub_u32_e32 v3, v3, v4
	v_mad_u64_u32 v[4:5], s[14:15], s4, v3, 0
	v_mov_b32_e32 v6, v5
	v_mad_u64_u32 v[6:7], s[4:5], s5, v3, v[6:7]
	v_mov_b32_e32 v5, v6
	v_lshl_add_u64 v[0:1], v[4:5], 2, v[0:1]
	global_load_dwordx4 v[4:7], v[0:1], off
	s_waitcnt vmcnt(0)
	v_pk_mul_f32 v[0:1], v[4:5], s[12:13] op_sel_hi:[1,0]
	v_pk_mul_f32 v[4:5], v[6:7], s[12:13] op_sel_hi:[1,0]
	v_cvt_f16_f32_e32 v3, v1
	v_cvt_f16_f32_e32 v1, v5
	;; [unrolled: 1-line block ×4, first 2 shown]
	v_mul_u32_u24_e32 v5, 40, v77
	v_add_lshl_u32 v2, v5, v2, 2
	v_pack_b32_f16 v1, v4, v1
	v_pack_b32_f16 v0, v0, v3
	ds_write_b64 v2, v[0:1]
.LBB56_12:
	s_or_b64 exec, exec, s[6:7]
	s_ashr_i32 s35, s34, 31
	s_ashr_i32 s4, s17, 31
	s_cmp_eq_u64 s[46:47], 0
	s_waitcnt lgkmcnt(0)
	s_barrier
	s_cbranch_scc1 .LBB56_14
; %bb.13:
	s_load_dword s5, s[0:1], 0xd0
	s_mov_b32 s7, 0
	s_waitcnt lgkmcnt(0)
	s_mul_i32 s5, s5, s33
	s_add_i32 s6, s5, s2
	s_lshl_b64 s[6:7], s[6:7], 2
	s_add_u32 s6, s46, s6
	s_addc_u32 s7, s47, s7
	s_load_dword s54, s[6:7], 0x0
.LBB56_14:
	s_nop 0
	s_load_dwordx2 s[6:7], s[0:1], 0x8c
	s_load_dwordx4 s[12:15], s[0:1], 0x98
	s_ashr_i32 s5, s33, 31
	s_ashr_i32 s57, s11, 1
	s_mul_i32 s11, s9, s16
	s_waitcnt lgkmcnt(0)
	s_ashr_i32 s58, s6, 2
	s_mul_i32 s6, s33, s13
	s_mul_hi_u32 s10, s33, s12
	s_add_i32 s6, s10, s6
	s_mul_i32 s10, s5, s12
	s_ashr_i32 s2, s14, 2
	s_add_i32 s6, s6, s10
	s_mul_i32 s10, s33, s12
	s_add_u32 s10, s38, s10
	s_addc_u32 s6, s39, s6
	s_sub_i32 s8, s8, s11
	s_xor_b32 s4, s35, s4
	s_add_i32 s11, s9, 1
	s_sub_i32 s12, s8, s16
	s_cmp_ge_u32 s8, s16
	s_cselect_b32 s9, s11, s9
	s_cselect_b32 s8, s12, s8
	s_add_i32 s11, s9, 1
	s_cmp_ge_u32 s8, s16
	s_cselect_b32 s8, s11, s9
	s_load_dwordx2 s[18:19], s[0:1], 0xa8
	s_xor_b32 s8, s8, s4
	s_sub_i32 s4, s8, s4
	s_mul_i32 s7, s4, s7
	s_ashr_i32 s8, s7, 31
	s_add_u32 s59, s10, s7
	s_addc_u32 s60, s6, s8
	s_waitcnt lgkmcnt(0)
	s_mul_i32 s6, s33, s19
	s_mul_hi_u32 s7, s33, s18
	s_add_i32 s6, s7, s6
	s_mul_i32 s5, s5, s18
	s_add_i32 s6, s6, s5
	s_mul_i32 s5, s33, s18
	s_add_u32 s5, s40, s5
	s_mul_i32 s4, s4, s15
	s_addc_u32 s6, s41, s6
	s_ashr_i32 s7, s4, 31
	s_add_u32 s46, s5, s4
	v_lshlrev_b32_e32 v76, 2, v104
	s_addc_u32 s47, s6, s7
	s_lshl_b32 s56, s3, 5
	s_sub_i32 s61, s54, 32
	s_mov_b32 s4, 0xfeffffff
	s_cmp_ge_i32 s56, s61
	v_mov_b32_e32 v3, 0
	v_mov_b32_e32 v115, 0
	v_lshl_add_u32 v120, v73, 5, v104
	v_lshrrev_b32_e32 v119, 2, v104
	v_and_b32_e32 v78, 12, v76
	v_lshlrev_b32_e32 v112, 3, v104
	v_lshrrev_b32_e32 v79, 1, v104
	v_lshrrev_b32_e32 v117, 3, v104
	v_and_b32_e32 v74, 4, v76
	v_and_b32_e32 v72, 28, v76
	v_mbcnt_lo_u32_b32 v118, -1, 0
	s_cbranch_scc1 .LBB56_42
; %bb.15:
	v_lshl_add_u32 v0, v73, 3, v119
	s_movk_i32 s8, 0x60
	v_mov_b32_e32 v1, 0x1440
	v_cmp_gt_u32_e64 s[6:7], 32, v0
	v_mad_u32_u24 v123, v120, s8, v1
	v_mul_u32_u24_e32 v1, 0x60, v0
	v_mul_lo_u32 v84, s58, v0
	v_mul_hi_u32 v0, s28, v107
	v_add_u32_e32 v0, v107, v0
	v_lshrrev_b32_e32 v0, s29, v0
	v_mul_lo_u32 v0, v0, s30
	v_sub_u32_e32 v0, v107, v0
	v_lshlrev_b32_e32 v2, 2, v78
	s_movk_i32 s12, 0x1400
	v_mul_lo_u32 v125, v0, s57
	v_or_b32_e32 v0, 1, v107
	v_add3_u32 v124, v1, v2, s12
	v_mul_hi_u32 v1, s28, v0
	v_add_u32_e32 v1, v0, v1
	v_lshrrev_b32_e32 v1, s29, v1
	v_mul_lo_u32 v1, v1, s30
	v_sub_u32_e32 v0, v0, v1
	v_mul_lo_u32 v126, v0, s57
	v_or_b32_e32 v0, 2, v107
	v_mul_hi_u32 v1, s28, v0
	v_add_u32_e32 v1, v0, v1
	v_lshrrev_b32_e32 v1, s29, v1
	v_mul_lo_u32 v1, v1, s30
	v_sub_u32_e32 v0, v0, v1
	v_mul_lo_u32 v127, v0, s57
	v_or_b32_e32 v0, 3, v107
	v_mul_hi_u32 v1, s28, v0
	v_add_u32_e32 v1, v0, v1
	v_lshrrev_b32_e32 v1, s29, v1
	v_mul_lo_u32 v1, v1, s30
	v_sub_u32_e32 v0, v0, v1
	v_mul_lo_u32 v128, v0, s57
	v_mov_b32_e32 v0, 0x20c0
	v_lshl_add_u32 v129, v73, 8, v0
	v_lshl_add_u32 v0, v73, 4, v79
	v_mul_u32_u24_e32 v2, 0xa0, v0
	s_cmp_lg_u64 s[52:53], 0
	v_add_u32_e32 v1, v106, v117
	v_lshl_or_b32 v2, v74, 2, v2
	v_mul_lo_u32 v80, s58, v120
	v_mov_b32_e32 v83, 0
	s_cselect_b64 s[36:37], -1, 0
	v_cmp_gt_u32_e64 s[8:9], 16, v0
	v_add_u32_e32 v130, 0x1480, v2
	v_mul_lo_u32 v86, s2, v0
	v_mul_u32_u24_e32 v0, 0xa0, v1
	v_lshlrev_b32_e32 v2, 2, v72
	v_mul_lo_u32 v88, s2, v1
	s_add_u32 s38, s0, 0xd0
	v_mov_b32_e32 v8, 0xfeffffff
	v_cmp_gt_u32_e64 s[4:5], 32, v120
	v_mul_u32_u24_e32 v121, 0x60, v104
	v_mul_u32_u24_e32 v122, 0x280, v73
	v_ashrrev_i32_e32 v81, 31, v80
	v_ashrrev_i32_e32 v85, 31, v84
	v_cmp_gt_u32_e64 s[10:11], 16, v1
	v_ashrrev_i32_e32 v87, 31, v86
	v_add3_u32 v131, v0, v2, s12
	v_ashrrev_i32_e32 v89, 31, v88
	s_addc_u32 s39, s1, 0
	v_mbcnt_hi_u32_b32 v132, -1, v118
	s_mov_b32 s62, 0x3fb8aa3b
	s_mov_b32 s63, 0xc2ce8ed0
	;; [unrolled: 1-line block ×3, first 2 shown]
	v_lshlrev_b32_e32 v82, 2, v78
	v_mov_b32_e32 v133, 0x7f800000
	v_mov_b32_e32 v109, v83
	;; [unrolled: 1-line block ×16, first 2 shown]
.LBB56_16:                              ; =>This Inner Loop Header: Depth=1
	s_mul_hi_i32 s13, s56, s58
	s_mul_i32 s12, s56, s58
	s_lshl_b64 s[12:13], s[12:13], 2
	s_add_u32 s12, s59, s12
	s_addc_u32 s13, s60, s13
	v_lshl_add_u64 v[6:7], v[80:81], 2, s[12:13]
	s_and_saveexec_b64 s[14:15], s[4:5]
	s_cbranch_execz .LBB56_18
; %bb.17:                               ;   in Loop: Header=BB56_16 Depth=1
	global_load_dwordx4 v[12:15], v[6:7], off offset:64
	s_waitcnt vmcnt(0)
	ds_write_b128 v123, v[12:15]
.LBB56_18:                              ;   in Loop: Header=BB56_16 Depth=1
	s_or_b64 exec, exec, s[14:15]
	v_lshl_add_u64 v[4:5], v[84:85], 2, s[12:13]
	s_and_saveexec_b64 s[12:13], s[6:7]
	s_cbranch_execz .LBB56_20
; %bb.19:                               ;   in Loop: Header=BB56_16 Depth=1
	v_lshl_add_u64 v[12:13], v[4:5], 0, v[82:83]
	global_load_dwordx4 v[12:15], v[12:13], off
	s_waitcnt vmcnt(0)
	ds_write_b128 v124, v[12:15]
.LBB56_20:                              ;   in Loop: Header=BB56_16 Depth=1
	s_or_b64 exec, exec, s[12:13]
	s_waitcnt lgkmcnt(0)
	s_barrier
	ds_read_b128 v[16:19], v121 offset:5120
	ds_read_b128 v[20:23], v122
	ds_read_b128 v[24:27], v122 offset:160
	ds_read_b128 v[28:31], v122 offset:320
	;; [unrolled: 1-line block ×3, first 2 shown]
	v_mov_b32_e32 v12, 0
	s_waitcnt lgkmcnt(3)
	;;#ASMSTART
	v_dot2_f32_f16 v12, v16, v20, v12
	;;#ASMEND
	v_mov_b32_e32 v13, 0
	;;#ASMSTART
	v_dot2_f32_f16 v12, v17, v21, v12
	;;#ASMEND
	v_mov_b32_e32 v14, 0
	;; [unrolled: 4-line block ×3, first 2 shown]
	;;#ASMSTART
	v_dot2_f32_f16 v12, v19, v23, v12
	;;#ASMEND
	s_waitcnt lgkmcnt(2)
	;;#ASMSTART
	v_dot2_f32_f16 v13, v16, v24, v13
	;;#ASMEND
	s_nop 0
	;;#ASMSTART
	v_dot2_f32_f16 v13, v17, v25, v13
	;;#ASMEND
	s_nop 0
	;;#ASMSTART
	v_dot2_f32_f16 v13, v18, v26, v13
	;;#ASMEND
	s_nop 0
	;;#ASMSTART
	v_dot2_f32_f16 v13, v19, v27, v13
	;;#ASMEND
	s_waitcnt lgkmcnt(1)
	;;#ASMSTART
	v_dot2_f32_f16 v14, v16, v28, v14
	;;#ASMEND
	s_nop 0
	;;#ASMSTART
	v_dot2_f32_f16 v14, v17, v29, v14
	;;#ASMEND
	s_nop 0
	;;#ASMSTART
	v_dot2_f32_f16 v14, v18, v30, v14
	;;#ASMEND
	s_nop 0
	;; [unrolled: 16-line block ×3, first 2 shown]
	;;#ASMSTART
	v_dot2_f32_f16 v15, v19, v35, v15
	;;#ASMEND
	ds_read_b128 v[16:19], v121 offset:5136
	ds_read_b128 v[20:23], v122 offset:16
	;; [unrolled: 1-line block ×5, first 2 shown]
	s_waitcnt lgkmcnt(3)
	;;#ASMSTART
	v_dot2_f32_f16 v12, v16, v20, v12
	;;#ASMEND
	s_nop 0
	;;#ASMSTART
	v_dot2_f32_f16 v12, v17, v21, v12
	;;#ASMEND
	s_nop 0
	;;#ASMSTART
	v_dot2_f32_f16 v12, v18, v22, v12
	;;#ASMEND
	s_nop 0
	;;#ASMSTART
	v_dot2_f32_f16 v12, v19, v23, v12
	;;#ASMEND
	s_waitcnt lgkmcnt(2)
	;;#ASMSTART
	v_dot2_f32_f16 v13, v16, v24, v13
	;;#ASMEND
	s_nop 0
	;;#ASMSTART
	v_dot2_f32_f16 v13, v17, v25, v13
	;;#ASMEND
	s_nop 0
	;;#ASMSTART
	v_dot2_f32_f16 v13, v18, v26, v13
	;;#ASMEND
	s_nop 0
	;;#ASMSTART
	v_dot2_f32_f16 v13, v19, v27, v13
	;;#ASMEND
	;; [unrolled: 16-line block ×4, first 2 shown]
	ds_read_b128 v[16:19], v121 offset:5152
	ds_read_b128 v[20:23], v122 offset:32
	;; [unrolled: 1-line block ×5, first 2 shown]
	s_waitcnt lgkmcnt(3)
	;;#ASMSTART
	v_dot2_f32_f16 v12, v16, v20, v12
	;;#ASMEND
	s_nop 0
	;;#ASMSTART
	v_dot2_f32_f16 v12, v17, v21, v12
	;;#ASMEND
	s_nop 0
	;;#ASMSTART
	v_dot2_f32_f16 v12, v18, v22, v12
	;;#ASMEND
	s_nop 0
	;;#ASMSTART
	v_dot2_f32_f16 v12, v19, v23, v12
	;;#ASMEND
	s_waitcnt lgkmcnt(2)
	;;#ASMSTART
	v_dot2_f32_f16 v13, v16, v24, v13
	;;#ASMEND
	s_nop 0
	;;#ASMSTART
	v_dot2_f32_f16 v13, v17, v25, v13
	;;#ASMEND
	s_nop 0
	;;#ASMSTART
	v_dot2_f32_f16 v13, v18, v26, v13
	;;#ASMEND
	s_nop 0
	;;#ASMSTART
	v_dot2_f32_f16 v13, v19, v27, v13
	;;#ASMEND
	;; [unrolled: 16-line block ×4, first 2 shown]
	ds_read_b128 v[16:19], v121 offset:5168
	ds_read_b128 v[20:23], v122 offset:48
	;; [unrolled: 1-line block ×5, first 2 shown]
	s_waitcnt lgkmcnt(3)
	;;#ASMSTART
	v_dot2_f32_f16 v12, v16, v20, v12
	;;#ASMEND
	s_nop 0
	;;#ASMSTART
	v_dot2_f32_f16 v12, v17, v21, v12
	;;#ASMEND
	s_nop 0
	;;#ASMSTART
	v_dot2_f32_f16 v12, v18, v22, v12
	;;#ASMEND
	s_nop 0
	;;#ASMSTART
	v_dot2_f32_f16 v12, v19, v23, v12
	;;#ASMEND
	s_waitcnt lgkmcnt(2)
	;;#ASMSTART
	v_dot2_f32_f16 v13, v16, v24, v13
	;;#ASMEND
	s_nop 0
	;;#ASMSTART
	v_dot2_f32_f16 v13, v17, v25, v13
	;;#ASMEND
	s_nop 0
	;;#ASMSTART
	v_dot2_f32_f16 v13, v18, v26, v13
	;;#ASMEND
	s_nop 0
	;;#ASMSTART
	v_dot2_f32_f16 v13, v19, v27, v13
	;;#ASMEND
	;; [unrolled: 16-line block ×4, first 2 shown]
	ds_read_b128 v[16:19], v121 offset:5184
	ds_read_b128 v[20:23], v122 offset:64
	;; [unrolled: 1-line block ×5, first 2 shown]
	s_waitcnt lgkmcnt(3)
	;;#ASMSTART
	v_dot2_f32_f16 v12, v16, v20, v12
	;;#ASMEND
	s_nop 0
	;;#ASMSTART
	v_dot2_f32_f16 v12, v17, v21, v12
	;;#ASMEND
	s_nop 0
	;;#ASMSTART
	v_dot2_f32_f16 v12, v18, v22, v12
	;;#ASMEND
	s_nop 0
	;;#ASMSTART
	v_dot2_f32_f16 v12, v19, v23, v12
	;;#ASMEND
	s_waitcnt lgkmcnt(2)
	;;#ASMSTART
	v_dot2_f32_f16 v13, v16, v24, v13
	;;#ASMEND
	s_nop 0
	;;#ASMSTART
	v_dot2_f32_f16 v13, v17, v25, v13
	;;#ASMEND
	s_nop 0
	;;#ASMSTART
	v_dot2_f32_f16 v13, v18, v26, v13
	;;#ASMEND
	s_nop 0
	;;#ASMSTART
	v_dot2_f32_f16 v13, v19, v27, v13
	;;#ASMEND
	;; [unrolled: 16-line block ×4, first 2 shown]
	s_barrier
	s_and_saveexec_b64 s[12:13], s[4:5]
	s_cbranch_execz .LBB56_22
; %bb.21:                               ;   in Loop: Header=BB56_16 Depth=1
	global_load_dwordx4 v[16:19], v[6:7], off offset:144
	s_waitcnt vmcnt(0)
	ds_write_b128 v123, v[16:19]
.LBB56_22:                              ;   in Loop: Header=BB56_16 Depth=1
	s_or_b64 exec, exec, s[12:13]
	s_and_saveexec_b64 s[12:13], s[6:7]
	s_cbranch_execz .LBB56_24
; %bb.23:                               ;   in Loop: Header=BB56_16 Depth=1
	v_lshl_add_u64 v[4:5], v[4:5], 0, v[82:83]
	global_load_dwordx4 v[4:7], v[4:5], off offset:80
	s_waitcnt vmcnt(0)
	ds_write_b128 v124, v[4:7]
.LBB56_24:                              ;   in Loop: Header=BB56_16 Depth=1
	s_or_b64 exec, exec, s[12:13]
	s_waitcnt lgkmcnt(0)
	s_barrier
	ds_read_b128 v[4:7], v121 offset:5120
	ds_read_b128 v[16:19], v122 offset:80
	;; [unrolled: 1-line block ×5, first 2 shown]
	s_waitcnt lgkmcnt(3)
	;;#ASMSTART
	v_dot2_f32_f16 v12, v4, v16, v12
	;;#ASMEND
	s_nop 0
	;;#ASMSTART
	v_dot2_f32_f16 v12, v5, v17, v12
	;;#ASMEND
	s_andn2_b64 vcc, exec, s[36:37]
	;;#ASMSTART
	v_dot2_f32_f16 v12, v6, v18, v12
	;;#ASMEND
	s_nop 0
	;;#ASMSTART
	v_dot2_f32_f16 v12, v7, v19, v12
	;;#ASMEND
	s_waitcnt lgkmcnt(2)
	;;#ASMSTART
	v_dot2_f32_f16 v13, v4, v20, v13
	;;#ASMEND
	s_nop 0
	;;#ASMSTART
	v_dot2_f32_f16 v13, v5, v21, v13
	;;#ASMEND
	s_nop 0
	;;#ASMSTART
	v_dot2_f32_f16 v13, v6, v22, v13
	;;#ASMEND
	s_nop 0
	;;#ASMSTART
	v_dot2_f32_f16 v13, v7, v23, v13
	;;#ASMEND
	s_waitcnt lgkmcnt(1)
	;;#ASMSTART
	v_dot2_f32_f16 v14, v4, v24, v14
	;;#ASMEND
	s_nop 0
	;;#ASMSTART
	v_dot2_f32_f16 v14, v5, v25, v14
	;;#ASMEND
	s_nop 0
	;; [unrolled: 16-line block ×3, first 2 shown]
	;;#ASMSTART
	v_dot2_f32_f16 v15, v6, v30, v15
	;;#ASMEND
	s_nop 0
	;;#ASMSTART
	v_dot2_f32_f16 v15, v7, v31, v15
	;;#ASMEND
	ds_read_b128 v[4:7], v121 offset:5136
	ds_read_b128 v[16:19], v122 offset:96
	;; [unrolled: 1-line block ×5, first 2 shown]
	s_waitcnt lgkmcnt(3)
	;;#ASMSTART
	v_dot2_f32_f16 v12, v4, v16, v12
	;;#ASMEND
	s_nop 0
	;;#ASMSTART
	v_dot2_f32_f16 v12, v5, v17, v12
	;;#ASMEND
	s_nop 0
	;;#ASMSTART
	v_dot2_f32_f16 v12, v6, v18, v12
	;;#ASMEND
	s_nop 0
	;;#ASMSTART
	v_dot2_f32_f16 v12, v7, v19, v12
	;;#ASMEND
	s_waitcnt lgkmcnt(2)
	;;#ASMSTART
	v_dot2_f32_f16 v13, v4, v20, v13
	;;#ASMEND
	s_nop 0
	;;#ASMSTART
	v_dot2_f32_f16 v13, v5, v21, v13
	;;#ASMEND
	s_nop 0
	;;#ASMSTART
	v_dot2_f32_f16 v13, v6, v22, v13
	;;#ASMEND
	s_nop 0
	;;#ASMSTART
	v_dot2_f32_f16 v13, v7, v23, v13
	;;#ASMEND
	;; [unrolled: 16-line block ×4, first 2 shown]
	ds_read_b128 v[4:7], v121 offset:5152
	ds_read_b128 v[16:19], v122 offset:112
	;; [unrolled: 1-line block ×5, first 2 shown]
	s_waitcnt lgkmcnt(3)
	;;#ASMSTART
	v_dot2_f32_f16 v12, v4, v16, v12
	;;#ASMEND
	s_nop 0
	;;#ASMSTART
	v_dot2_f32_f16 v12, v5, v17, v12
	;;#ASMEND
	s_nop 0
	;;#ASMSTART
	v_dot2_f32_f16 v12, v6, v18, v12
	;;#ASMEND
	s_nop 0
	;;#ASMSTART
	v_dot2_f32_f16 v12, v7, v19, v12
	;;#ASMEND
	s_waitcnt lgkmcnt(2)
	;;#ASMSTART
	v_dot2_f32_f16 v13, v4, v20, v13
	;;#ASMEND
	s_nop 0
	;;#ASMSTART
	v_dot2_f32_f16 v13, v5, v21, v13
	;;#ASMEND
	s_nop 0
	;;#ASMSTART
	v_dot2_f32_f16 v13, v6, v22, v13
	;;#ASMEND
	s_nop 0
	;;#ASMSTART
	v_dot2_f32_f16 v13, v7, v23, v13
	;;#ASMEND
	;; [unrolled: 16-line block ×4, first 2 shown]
	ds_read_b128 v[4:7], v121 offset:5168
	ds_read_b128 v[16:19], v122 offset:128
	;; [unrolled: 1-line block ×5, first 2 shown]
	s_waitcnt lgkmcnt(3)
	;;#ASMSTART
	v_dot2_f32_f16 v12, v4, v16, v12
	;;#ASMEND
	s_nop 0
	;;#ASMSTART
	v_dot2_f32_f16 v12, v5, v17, v12
	;;#ASMEND
	s_nop 0
	;;#ASMSTART
	v_dot2_f32_f16 v12, v6, v18, v12
	;;#ASMEND
	s_nop 0
	;;#ASMSTART
	v_dot2_f32_f16 v12, v7, v19, v12
	;;#ASMEND
	s_waitcnt lgkmcnt(2)
	;;#ASMSTART
	v_dot2_f32_f16 v13, v4, v20, v13
	;;#ASMEND
	s_nop 0
	;;#ASMSTART
	v_dot2_f32_f16 v13, v5, v21, v13
	;;#ASMEND
	s_nop 0
	;;#ASMSTART
	v_dot2_f32_f16 v13, v6, v22, v13
	;;#ASMEND
	s_nop 0
	;;#ASMSTART
	v_dot2_f32_f16 v13, v7, v23, v13
	;;#ASMEND
	;; [unrolled: 16-line block ×4, first 2 shown]
	ds_read_b128 v[4:7], v121 offset:5184
	ds_read_b128 v[16:19], v122 offset:144
	;; [unrolled: 1-line block ×5, first 2 shown]
	s_waitcnt lgkmcnt(3)
	;;#ASMSTART
	v_dot2_f32_f16 v12, v4, v16, v12
	;;#ASMEND
	s_nop 0
	;;#ASMSTART
	v_dot2_f32_f16 v12, v5, v17, v12
	;;#ASMEND
	s_nop 0
	;; [unrolled: 4-line block ×3, first 2 shown]
	;;#ASMSTART
	v_dot2_f32_f16 v12, v7, v19, v12
	;;#ASMEND
	s_waitcnt lgkmcnt(2)
	;;#ASMSTART
	v_dot2_f32_f16 v13, v4, v20, v13
	;;#ASMEND
	v_mov_b32_e32 v20, 0
	;;#ASMSTART
	v_dot2_f32_f16 v13, v5, v21, v13
	;;#ASMEND
	s_nop 0
	;;#ASMSTART
	v_dot2_f32_f16 v13, v6, v22, v13
	;;#ASMEND
	s_nop 0
	;;#ASMSTART
	v_dot2_f32_f16 v13, v7, v23, v13
	;;#ASMEND
	s_waitcnt lgkmcnt(1)
	;;#ASMSTART
	v_dot2_f32_f16 v14, v4, v24, v14
	;;#ASMEND
	s_nop 0
	;;#ASMSTART
	v_dot2_f32_f16 v14, v5, v25, v14
	;;#ASMEND
	s_nop 0
	;; [unrolled: 4-line block ×3, first 2 shown]
	;;#ASMSTART
	v_dot2_f32_f16 v14, v7, v27, v14
	;;#ASMEND
	s_waitcnt lgkmcnt(0)
	;;#ASMSTART
	v_dot2_f32_f16 v15, v4, v28, v15
	;;#ASMEND
	v_add_u32_e32 v4, s56, v104
	;;#ASMSTART
	v_dot2_f32_f16 v15, v5, v29, v15
	;;#ASMEND
	v_cndmask_b32_e64 v5, 0, 1, s[36:37]
	;;#ASMSTART
	v_dot2_f32_f16 v15, v6, v30, v15
	;;#ASMEND
	v_cmp_ne_u32_e64 s[12:13], 1, v5
	v_mov_b32_e32 v6, 0
	;;#ASMSTART
	v_dot2_f32_f16 v15, v7, v31, v15
	;;#ASMEND
	s_cbranch_vccnz .LBB56_26
; %bb.25:                               ;   in Loop: Header=BB56_16 Depth=1
	v_add_u32_e32 v6, v4, v125
	v_ashrrev_i32_e32 v7, 31, v6
	v_lshl_add_u64 v[6:7], v[6:7], 1, s[52:53]
	flat_load_ushort v5, v[6:7]
	s_waitcnt vmcnt(0) lgkmcnt(0)
	v_cvt_f32_f16_e32 v5, v5
	v_mul_f32_e32 v6, v75, v5
.LBB56_26:                              ;   in Loop: Header=BB56_16 Depth=1
	v_and_b32_e32 v5, 0x60, v132
	v_add_u32_e32 v7, 32, v5
	v_xor_b32_e32 v5, 16, v132
	v_cmp_lt_i32_e32 vcc, v5, v7
	v_add_f32_e32 v12, v12, v6
	v_add_f32_e32 v6, 0x40051340, v12
	v_cndmask_b32_e32 v5, v132, v5, vcc
	v_max_f32_e32 v16, v8, v8
	v_lshlrev_b32_e32 v5, 2, v5
	v_max_f32_e32 v6, v16, v6
	ds_bpermute_b32 v16, v5, v6
	v_xor_b32_e32 v17, 8, v132
	v_cmp_lt_i32_e32 vcc, v17, v7
	v_xor_b32_e32 v21, 1, v132
	s_waitcnt lgkmcnt(0)
	v_max_f32_e32 v16, v16, v16
	v_cndmask_b32_e32 v17, v132, v17, vcc
	v_lshlrev_b32_e32 v17, 2, v17
	v_max_f32_e32 v16, v6, v16
	ds_bpermute_b32 v18, v17, v16
	v_xor_b32_e32 v6, 4, v132
	v_cmp_lt_i32_e32 vcc, v6, v7
	s_waitcnt lgkmcnt(0)
	v_max_f32_e32 v18, v18, v18
	v_cndmask_b32_e32 v6, v132, v6, vcc
	v_lshlrev_b32_e32 v6, 2, v6
	v_max_f32_e32 v18, v16, v18
	ds_bpermute_b32 v19, v6, v18
	v_xor_b32_e32 v16, 2, v132
	v_cmp_lt_i32_e32 vcc, v16, v7
	s_waitcnt lgkmcnt(0)
	v_max_f32_e32 v19, v19, v19
	v_cndmask_b32_e32 v16, v132, v16, vcc
	v_lshlrev_b32_e32 v16, 2, v16
	v_max_f32_e32 v18, v18, v19
	ds_bpermute_b32 v19, v16, v18
	v_cmp_lt_i32_e32 vcc, v21, v7
	s_waitcnt lgkmcnt(0)
	v_max_f32_e32 v19, v19, v19
	v_cndmask_b32_e32 v7, v132, v21, vcc
	v_lshlrev_b32_e32 v7, 2, v7
	v_max_f32_e32 v18, v18, v19
	ds_bpermute_b32 v19, v7, v18
	s_and_b64 vcc, exec, s[12:13]
	s_cbranch_vccnz .LBB56_28
; %bb.27:                               ;   in Loop: Header=BB56_16 Depth=1
	v_add_u32_e32 v20, v4, v126
	v_ashrrev_i32_e32 v21, 31, v20
	v_lshl_add_u64 v[20:21], v[20:21], 1, s[52:53]
	flat_load_ushort v20, v[20:21]
	s_waitcnt vmcnt(0) lgkmcnt(0)
	v_cvt_f32_f16_e32 v20, v20
	v_mul_f32_e32 v20, v75, v20
.LBB56_28:                              ;   in Loop: Header=BB56_16 Depth=1
	v_add_f32_e32 v13, v13, v20
	v_add_f32_e32 v20, 0x40051340, v13
	v_max_f32_e32 v21, v9, v9
	v_max_f32_e32 v20, v21, v20
	ds_bpermute_b32 v21, v5, v20
	s_and_b64 vcc, exec, s[12:13]
	v_mov_b32_e32 v22, 0
	v_mov_b32_e32 v23, 0
	s_waitcnt lgkmcnt(0)
	v_max_f32_e32 v21, v21, v21
	v_max_f32_e32 v20, v20, v21
	ds_bpermute_b32 v21, v17, v20
	s_waitcnt lgkmcnt(0)
	v_max_f32_e32 v21, v21, v21
	v_max_f32_e32 v20, v20, v21
	ds_bpermute_b32 v21, v6, v20
	;; [unrolled: 4-line block ×4, first 2 shown]
	s_cbranch_vccnz .LBB56_30
; %bb.29:                               ;   in Loop: Header=BB56_16 Depth=1
	v_add_u32_e32 v24, v4, v127
	v_ashrrev_i32_e32 v25, 31, v24
	v_lshl_add_u64 v[24:25], v[24:25], 1, s[52:53]
	flat_load_ushort v23, v[24:25]
	s_waitcnt vmcnt(0) lgkmcnt(0)
	v_cvt_f32_f16_e32 v23, v23
	v_mul_f32_e32 v23, v75, v23
.LBB56_30:                              ;   in Loop: Header=BB56_16 Depth=1
	v_add_f32_e32 v14, v14, v23
	v_add_f32_e32 v23, 0x40051340, v14
	v_max_f32_e32 v24, v10, v10
	v_max_f32_e32 v23, v24, v23
	ds_bpermute_b32 v24, v5, v23
	s_and_b64 vcc, exec, s[12:13]
	s_waitcnt lgkmcnt(0)
	v_max_f32_e32 v24, v24, v24
	v_max_f32_e32 v23, v23, v24
	ds_bpermute_b32 v24, v17, v23
	s_waitcnt lgkmcnt(0)
	v_max_f32_e32 v24, v24, v24
	v_max_f32_e32 v23, v23, v24
	ds_bpermute_b32 v24, v6, v23
	;; [unrolled: 4-line block ×4, first 2 shown]
	s_cbranch_vccnz .LBB56_32
; %bb.31:                               ;   in Loop: Header=BB56_16 Depth=1
	v_add_u32_e32 v26, v4, v128
	v_ashrrev_i32_e32 v27, 31, v26
	v_lshl_add_u64 v[26:27], v[26:27], 1, s[52:53]
	flat_load_ushort v4, v[26:27]
	s_waitcnt vmcnt(0) lgkmcnt(0)
	v_cvt_f32_f16_e32 v4, v4
	v_mul_f32_e32 v22, v75, v4
.LBB56_32:                              ;   in Loop: Header=BB56_16 Depth=1
	v_add_f32_e32 v15, v15, v22
	v_add_f32_e32 v4, 0x40051340, v15
	v_max_f32_e32 v22, v11, v11
	v_max_f32_e32 v4, v22, v4
	ds_bpermute_b32 v5, v5, v4
	s_waitcnt lgkmcnt(1)
	v_max_f32_e32 v22, v24, v24
	v_max_f32_e32 v21, v21, v21
	;; [unrolled: 1-line block ×4, first 2 shown]
	s_waitcnt lgkmcnt(0)
	v_max_f32_e32 v5, v5, v5
	v_max_f32_e32 v4, v4, v5
	ds_bpermute_b32 v5, v17, v4
	v_max_f32_e32 v17, v20, v20
	v_max_f32_e32 v23, v23, v23
	s_mul_hi_i32 s13, s56, s2
	s_mul_i32 s12, s56, s2
	s_waitcnt lgkmcnt(0)
	v_max_f32_e32 v5, v5, v5
	v_max_f32_e32 v20, v4, v5
	ds_bpermute_b32 v24, v6, v20
	v_max_f32_e32 v5, v17, v21
	v_max_f32_e32 v4, v18, v19
	v_pk_add_f32 v[12:13], v[12:13], v[4:5] neg_lo:[0,1] neg_hi:[0,1]
	v_max_f32_e32 v6, v23, v22
	s_waitcnt lgkmcnt(0)
	v_max_f32_e32 v17, v24, v24
	v_max_f32_e32 v17, v20, v17
	ds_bpermute_b32 v16, v16, v17
	v_mul_f32_e32 v18, 0x3fb8aa3b, v13
	v_fma_f32 v19, v13, s62, -v18
	v_rndne_f32_e32 v20, v18
	v_fmac_f32_e32 v19, 0x32a5705f, v13
	s_waitcnt lgkmcnt(0)
	v_max_f32_e32 v16, v16, v16
	v_max_f32_e32 v16, v17, v16
	ds_bpermute_b32 v7, v7, v16
	v_sub_f32_e32 v17, v18, v20
	v_add_f32_e32 v17, v17, v19
	v_cvt_i32_f32_e32 v18, v20
	v_exp_f32_e32 v17, v17
	s_waitcnt lgkmcnt(0)
	v_max_f32_e32 v7, v7, v7
	v_max_f32_e32 v7, v16, v7
	v_cmp_ngt_f32_e32 vcc, s63, v13
	v_ldexp_f32 v16, v17, v18
	v_mul_f32_e32 v17, 0x3fb8aa3b, v12
	v_fma_f32 v18, v12, s62, -v17
	v_rndne_f32_e32 v19, v17
	v_fmac_f32_e32 v18, 0x32a5705f, v12
	v_sub_f32_e32 v17, v17, v19
	v_add_f32_e32 v17, v17, v18
	v_exp_f32_e32 v17, v17
	v_cvt_i32_f32_e32 v18, v19
	v_cndmask_b32_e32 v16, 0, v16, vcc
	v_cmp_nlt_f32_e32 vcc, s64, v13
	v_pk_add_f32 v[14:15], v[14:15], v[6:7] neg_lo:[0,1] neg_hi:[0,1]
	v_ldexp_f32 v13, v17, v18
	v_cndmask_b32_e32 v91, v133, v16, vcc
	v_mul_f32_e32 v16, 0x3fb8aa3b, v15
	v_fma_f32 v17, v15, s62, -v16
	v_rndne_f32_e32 v18, v16
	v_fmac_f32_e32 v17, 0x32a5705f, v15
	v_sub_f32_e32 v16, v16, v18
	v_add_f32_e32 v16, v16, v17
	v_exp_f32_e32 v16, v16
	v_cvt_i32_f32_e32 v17, v18
	v_cmp_ngt_f32_e32 vcc, s63, v12
	s_lshl_b64 s[12:13], s[12:13], 2
	s_add_u32 s12, s46, s12
	v_cndmask_b32_e32 v13, 0, v13, vcc
	v_cmp_nlt_f32_e32 vcc, s64, v12
	s_addc_u32 s13, s47, s13
	v_lshlrev_b32_e32 v94, 2, v74
	v_cndmask_b32_e32 v90, v133, v13, vcc
	v_ldexp_f32 v13, v16, v17
	v_mul_f32_e32 v16, 0x3fb8aa3b, v14
	v_fma_f32 v17, v14, s62, -v16
	v_rndne_f32_e32 v18, v16
	v_fmac_f32_e32 v17, 0x32a5705f, v14
	v_sub_f32_e32 v16, v16, v18
	v_add_f32_e32 v16, v16, v17
	v_exp_f32_e32 v16, v16
	v_cvt_i32_f32_e32 v17, v18
	v_cmp_ngt_f32_e32 vcc, s63, v15
	v_cvt_f16_f32_e32 v12, v90
	s_nop 0
	v_cndmask_b32_e32 v13, 0, v13, vcc
	v_cmp_nlt_f32_e32 vcc, s64, v15
	v_cvt_f16_f32_e32 v15, v91
	s_barrier
	v_cndmask_b32_e32 v93, v133, v13, vcc
	v_ldexp_f32 v13, v16, v17
	v_cmp_ngt_f32_e32 vcc, s63, v14
	v_add_u32_e32 v16, v129, v112
	v_pack_b32_f16 v12, v12, v15
	v_cndmask_b32_e32 v13, 0, v13, vcc
	v_cmp_nlt_f32_e32 vcc, s64, v14
	v_cvt_f16_f32_e32 v14, v93
	s_nop 0
	v_cndmask_b32_e32 v92, v133, v13, vcc
	v_cvt_f16_f32_e32 v13, v92
	v_pack_b32_f16 v13, v13, v14
	ds_write_b64 v16, v[12:13]
	s_and_saveexec_b64 s[14:15], s[8:9]
	s_cbranch_execz .LBB56_34
; %bb.33:                               ;   in Loop: Header=BB56_16 Depth=1
	v_lshl_add_u64 v[12:13], v[86:87], 2, s[12:13]
	v_mov_b32_e32 v95, v83
	v_lshl_add_u64 v[12:13], v[12:13], 0, v[94:95]
	global_load_dwordx4 v[12:15], v[12:13], off offset:128
	s_waitcnt vmcnt(0)
	ds_write_b128 v130, v[12:15]
.LBB56_34:                              ;   in Loop: Header=BB56_16 Depth=1
	s_or_b64 exec, exec, s[14:15]
	v_lshlrev_b32_e32 v96, 2, v72
	s_and_saveexec_b64 s[14:15], s[10:11]
	s_cbranch_execz .LBB56_36
; %bb.35:                               ;   in Loop: Header=BB56_16 Depth=1
	v_lshl_add_u64 v[12:13], v[88:89], 2, s[12:13]
	v_mov_b32_e32 v97, v83
	v_lshl_add_u64 v[12:13], v[12:13], 0, v[96:97]
	global_load_dwordx4 v[12:15], v[12:13], off
	s_waitcnt vmcnt(0)
	ds_write_b128 v131, v[12:15]
.LBB56_36:                              ;   in Loop: Header=BB56_16 Depth=1
	s_or_b64 exec, exec, s[14:15]
	v_add_u32_e32 v136, 0x1000, v112
	v_add_u32_e32 v135, 0x1400, v112
	;; [unrolled: 1-line block ×3, first 2 shown]
	v_pk_add_f32 v[100:101], v[8:9], v[4:5] neg_lo:[0,1] neg_hi:[0,1]
	v_pk_add_f32 v[98:99], v[10:11], v[6:7] neg_lo:[0,1] neg_hi:[0,1]
	s_waitcnt lgkmcnt(0)
	s_barrier
	ds_read2_b64 v[64:67], v136 offset0:128 offset1:148
	ds_read_b128 v[68:71], v129
	ds_read_b128 v[56:59], v129 offset:16
	ds_read_b128 v[48:51], v129 offset:32
	;; [unrolled: 1-line block ×3, first 2 shown]
	ds_read2_b64 v[60:63], v136 offset0:168 offset1:188
	ds_read2_b64 v[52:55], v136 offset0:208 offset1:228
	;; [unrolled: 1-line block ×5, first 2 shown]
	ds_read_b128 v[40:43], v129 offset:64
	ds_read_b128 v[28:31], v129 offset:80
	ds_read2_b64 v[16:19], v134 offset0:112 offset1:132
	ds_read2_b64 v[8:11], v134 offset0:152 offset1:172
	ds_read_b128 v[20:23], v129 offset:96
	ds_read_b128 v[12:15], v129 offset:112
	s_or_b32 s40, s56, 16
	s_mul_hi_i32 s41, s40, s2
	s_mul_i32 s40, s40, s2
	s_lshl_b64 s[40:41], s[40:41], 2
	s_add_u32 s40, s46, s40
	v_cmp_ngt_f32_e64 s[22:23], s63, v101
	v_cmp_nlt_f32_e64 s[24:25], s64, v101
	v_cmp_ngt_f32_e64 s[18:19], s63, v100
	v_cmp_nlt_f32_e64 s[20:21], s64, v100
	;; [unrolled: 2-line block ×3, first 2 shown]
	v_cmp_ngt_f32_e32 vcc, s63, v98
	v_cmp_nlt_f32_e64 s[12:13], s64, v98
	s_addc_u32 s41, s47, s41
	s_waitcnt lgkmcnt(0)
	s_barrier
	s_and_saveexec_b64 s[42:43], s[8:9]
	s_cbranch_execz .LBB56_38
; %bb.37:                               ;   in Loop: Header=BB56_16 Depth=1
	v_lshl_add_u64 v[138:139], v[86:87], 2, s[40:41]
	v_mov_b32_e32 v95, v83
	v_lshl_add_u64 v[94:95], v[138:139], 0, v[94:95]
	global_load_dwordx4 v[138:141], v[94:95], off offset:128
	s_waitcnt vmcnt(0)
	ds_write_b128 v130, v[138:141]
.LBB56_38:                              ;   in Loop: Header=BB56_16 Depth=1
	s_or_b64 exec, exec, s[42:43]
	v_mul_f32_e32 v94, 0x3fb8aa3b, v101
	v_fma_f32 v95, v101, s62, -v94
	v_rndne_f32_e32 v97, v94
	v_fmac_f32_e32 v95, 0x32a5705f, v101
	v_sub_f32_e32 v94, v94, v97
	v_add_f32_e32 v94, v94, v95
	v_cvt_i32_f32_e32 v95, v97
	v_mul_f32_e32 v97, 0x3fb8aa3b, v100
	v_fma_f32 v101, v100, s62, -v97
	v_fmac_f32_e32 v101, 0x32a5705f, v100
	v_rndne_f32_e32 v100, v97
	v_exp_f32_e32 v94, v94
	v_sub_f32_e32 v97, v97, v100
	v_add_f32_e32 v97, v97, v101
	v_exp_f32_e32 v97, v97
	v_cvt_i32_f32_e32 v100, v100
	v_ldexp_f32 v94, v94, v95
	v_cndmask_b32_e64 v94, 0, v94, s[22:23]
	v_cndmask_b32_e64 v95, v133, v94, s[24:25]
	v_ldexp_f32 v94, v97, v100
	v_mul_f32_e32 v97, 0x3fb8aa3b, v99
	v_fma_f32 v100, v99, s62, -v97
	v_fmac_f32_e32 v100, 0x32a5705f, v99
	v_rndne_f32_e32 v99, v97
	v_sub_f32_e32 v97, v97, v99
	v_add_f32_e32 v97, v97, v100
	v_mul_f32_e32 v100, 0x3fb8aa3b, v98
	v_fma_f32 v101, v98, s62, -v100
	v_fmac_f32_e32 v101, 0x32a5705f, v98
	v_rndne_f32_e32 v98, v100
	v_exp_f32_e32 v97, v97
	v_cvt_i32_f32_e32 v99, v99
	v_sub_f32_e32 v100, v100, v98
	v_add_f32_e32 v100, v100, v101
	v_exp_f32_e32 v100, v100
	v_cvt_i32_f32_e32 v98, v98
	v_ldexp_f32 v97, v97, v99
	v_cndmask_b32_e64 v97, 0, v97, s[14:15]
	v_cndmask_b32_e64 v99, v133, v97, s[16:17]
	v_ldexp_f32 v97, v100, v98
	v_cndmask_b32_e64 v94, 0, v94, s[18:19]
	v_cndmask_b32_e32 v97, 0, v97, vcc
	v_cndmask_b32_e64 v94, v133, v94, s[20:21]
	v_cndmask_b32_e64 v98, v133, v97, s[12:13]
	s_and_saveexec_b64 s[12:13], s[10:11]
	s_cbranch_execz .LBB56_40
; %bb.39:                               ;   in Loop: Header=BB56_16 Depth=1
	v_lshl_add_u64 v[100:101], v[88:89], 2, s[40:41]
	v_mov_b32_e32 v97, v83
	v_lshl_add_u64 v[96:97], v[100:101], 0, v[96:97]
	global_load_dwordx4 v[138:141], v[96:97], off
	s_waitcnt vmcnt(0)
	ds_write_b128 v131, v[138:141]
.LBB56_40:                              ;   in Loop: Header=BB56_16 Depth=1
	s_or_b64 exec, exec, s[12:13]
	v_cvt_f16_f32_e32 v101, v99
	v_cvt_f16_f32_e32 v96, v94
	;; [unrolled: 1-line block ×4, first 2 shown]
	v_pk_mul_f16 v108, v101, v108 op_sel_hi:[0,1]
	v_pk_mul_f16 v101, v101, v109 op_sel_hi:[0,1]
	;; [unrolled: 1-line block ×4, first 2 shown]
	v_pk_fma_f16 v96, v96, v115, v109 op_sel_hi:[0,1,1]
	v_pk_mul_f16 v109, v64, v68 op_sel:[0,1]
	v_pk_mul_f16 v114, v97, v114 op_sel_hi:[0,1]
	v_pk_mul_f16 v111, v100, v111 op_sel_hi:[0,1]
	v_pk_fma_f16 v97, v97, v113, v109 op_sel_hi:[0,1,1]
	v_pk_mul_f16 v109, v64, v69 op_sel_hi:[1,0]
	v_pk_fma_f16 v64, v64, v69, v108 op_sel:[0,1,0]
	v_pk_fma_f16 v100, v100, v110, v109 op_sel_hi:[0,1,1]
	v_pk_fma_f16 v108, v65, v68, v116 op_sel_hi:[1,0,1]
	v_pk_fma_f16 v68, v65, v68, v114 op_sel:[0,1,0]
	v_pk_fma_f16 v109, v65, v69, v111 op_sel_hi:[1,0,1]
	v_pk_fma_f16 v65, v65, v69, v101 op_sel:[0,1,0]
	;; [unrolled: 2-line block ×62, first 2 shown]
	s_waitcnt lgkmcnt(0)
	s_barrier
	ds_read2_b64 v[8:11], v136 offset0:128 offset1:148
	ds_read_b128 v[12:15], v129 offset:128
	ds_read_b128 v[16:19], v129 offset:144
	;; [unrolled: 1-line block ×4, first 2 shown]
	v_pk_fma_f32 v[2:3], v[2:3], v[98:99], v[92:93]
	v_pk_fma_f32 v[0:1], v[0:1], v[94:95], v[90:91]
	s_waitcnt lgkmcnt(3)
	v_pk_fma_f16 v28, v8, v12, v28 op_sel_hi:[1,0,1]
	v_pk_fma_f16 v29, v8, v12, v29 op_sel:[0,1,0]
	v_pk_fma_f16 v30, v8, v13, v30 op_sel_hi:[1,0,1]
	v_pk_fma_f16 v8, v8, v13, v31 op_sel:[0,1,0]
	;; [unrolled: 2-line block ×5, first 2 shown]
	v_pk_fma_f16 v35, v10, v15, v30 op_sel_hi:[1,0,1]
	ds_read2_b64 v[28:31], v136 offset0:168 offset1:188
	v_pk_fma_f16 v8, v10, v15, v8 op_sel:[0,1,0]
	v_pk_fma_f16 v10, v11, v14, v32 op_sel_hi:[1,0,1]
	v_pk_fma_f16 v12, v11, v14, v12 op_sel:[0,1,0]
	v_pk_fma_f16 v14, v11, v15, v33 op_sel_hi:[1,0,1]
	v_pk_fma_f16 v9, v11, v15, v9 op_sel:[0,1,0]
	s_waitcnt lgkmcnt(0)
	v_pk_fma_f16 v11, v28, v16, v13 op_sel_hi:[1,0,1]
	v_pk_fma_f16 v8, v28, v17, v8 op_sel:[0,1,0]
	v_pk_fma_f16 v13, v28, v16, v34 op_sel:[0,1,0]
	v_pk_fma_f16 v15, v28, v17, v35 op_sel_hi:[1,0,1]
	v_pk_fma_f16 v28, v29, v16, v10 op_sel_hi:[1,0,1]
	v_pk_fma_f16 v12, v29, v16, v12 op_sel:[0,1,0]
	v_pk_fma_f16 v14, v29, v17, v14 op_sel_hi:[1,0,1]
	v_pk_fma_f16 v16, v29, v17, v9 op_sel:[0,1,0]
	;; [unrolled: 2-line block ×3, first 2 shown]
	ds_read2_b64 v[8:11], v136 offset0:208 offset1:228
	v_pk_fma_f16 v13, v30, v18, v13 op_sel:[0,1,0]
	v_pk_fma_f16 v15, v30, v19, v15 op_sel_hi:[1,0,1]
	v_pk_fma_f16 v28, v31, v18, v28 op_sel_hi:[1,0,1]
	v_pk_fma_f16 v12, v31, v18, v12 op_sel:[0,1,0]
	v_pk_fma_f16 v14, v31, v19, v14 op_sel_hi:[1,0,1]
	v_pk_fma_f16 v16, v31, v19, v16 op_sel:[0,1,0]
	s_waitcnt lgkmcnt(0)
	v_pk_fma_f16 v17, v8, v20, v17 op_sel_hi:[1,0,1]
	v_pk_fma_f16 v13, v8, v20, v13 op_sel:[0,1,0]
	v_pk_fma_f16 v15, v8, v21, v15 op_sel_hi:[1,0,1]
	v_pk_fma_f16 v8, v8, v21, v29 op_sel:[0,1,0]
	;; [unrolled: 2-line block ×5, first 2 shown]
	v_pk_fma_f16 v21, v10, v23, v15 op_sel_hi:[1,0,1]
	ds_read2_b64 v[12:15], v135 offset0:120 offset1:140
	v_pk_fma_f16 v8, v10, v23, v8 op_sel:[0,1,0]
	v_pk_fma_f16 v10, v11, v22, v18 op_sel_hi:[1,0,1]
	v_pk_fma_f16 v18, v11, v22, v19 op_sel:[0,1,0]
	v_pk_fma_f16 v19, v11, v23, v20 op_sel_hi:[1,0,1]
	v_pk_fma_f16 v9, v11, v23, v9 op_sel:[0,1,0]
	s_waitcnt lgkmcnt(0)
	v_pk_fma_f16 v11, v12, v24, v16 op_sel_hi:[1,0,1]
	v_pk_fma_f16 v16, v12, v24, v17 op_sel:[0,1,0]
	v_pk_fma_f16 v17, v12, v25, v21 op_sel_hi:[1,0,1]
	v_pk_fma_f16 v8, v12, v25, v8 op_sel:[0,1,0]
	;; [unrolled: 2-line block ×6, first 2 shown]
	v_pk_fma_f16 v25, v15, v26, v10 op_sel_hi:[1,0,1]
	ds_read2_b64 v[8:11], v134 offset0:32 offset1:52
	ds_read_b128 v[16:19], v129 offset:192
	v_pk_fma_f16 v26, v15, v26, v12 op_sel:[0,1,0]
	v_pk_fma_f16 v20, v15, v27, v20 op_sel_hi:[1,0,1]
	v_pk_fma_f16 v27, v15, v27, v13 op_sel:[0,1,0]
	ds_read_b128 v[12:15], v129 offset:208
	s_waitcnt lgkmcnt(1)
	v_pk_fma_f16 v21, v8, v16, v21 op_sel_hi:[1,0,1]
	v_pk_fma_f16 v22, v8, v16, v22 op_sel:[0,1,0]
	v_pk_fma_f16 v23, v8, v17, v23 op_sel_hi:[1,0,1]
	v_pk_fma_f16 v8, v8, v17, v24 op_sel:[0,1,0]
	;; [unrolled: 2-line block ×5, first 2 shown]
	v_pk_fma_f16 v27, v10, v19, v23 op_sel_hi:[1,0,1]
	ds_read2_b64 v[20:23], v134 offset0:72 offset1:92
	v_pk_fma_f16 v8, v10, v19, v8 op_sel:[0,1,0]
	v_pk_fma_f16 v10, v11, v18, v24 op_sel_hi:[1,0,1]
	v_pk_fma_f16 v16, v11, v18, v16 op_sel:[0,1,0]
	v_pk_fma_f16 v18, v11, v19, v25 op_sel_hi:[1,0,1]
	v_pk_fma_f16 v9, v11, v19, v9 op_sel:[0,1,0]
	s_waitcnt lgkmcnt(0)
	v_pk_fma_f16 v11, v20, v12, v17 op_sel_hi:[1,0,1]
	v_pk_fma_f16 v17, v20, v12, v26 op_sel:[0,1,0]
	v_pk_fma_f16 v19, v20, v13, v27 op_sel_hi:[1,0,1]
	v_pk_fma_f16 v8, v20, v13, v8 op_sel:[0,1,0]
	;; [unrolled: 2-line block ×6, first 2 shown]
	v_pk_fma_f16 v26, v23, v14, v10 op_sel_hi:[1,0,1]
	ds_read2_b64 v[8:11], v134 offset0:112 offset1:132
	ds_read_b128 v[16:19], v129 offset:224
	v_pk_fma_f16 v27, v23, v14, v12 op_sel:[0,1,0]
	v_pk_fma_f16 v20, v23, v15, v20 op_sel_hi:[1,0,1]
	v_pk_fma_f16 v23, v23, v15, v13 op_sel:[0,1,0]
	ds_read_b128 v[12:15], v129 offset:240
	s_waitcnt lgkmcnt(1)
	v_pk_fma_f16 v21, v8, v16, v21 op_sel_hi:[1,0,1]
	v_pk_fma_f16 v24, v8, v16, v24 op_sel:[0,1,0]
	v_pk_fma_f16 v25, v8, v17, v25 op_sel_hi:[1,0,1]
	v_pk_fma_f16 v8, v8, v17, v22 op_sel:[0,1,0]
	;; [unrolled: 2-line block ×4, first 2 shown]
	v_pk_fma_f16 v17, v10, v18, v21 op_sel_hi:[1,0,1]
	ds_read2_b64 v[20:23], v134 offset0:152 offset1:172
	s_waitcnt lgkmcnt(0)
	s_barrier
	s_load_dword s12, s[38:39], 0x4
	v_pk_fma_f16 v24, v10, v18, v24 op_sel:[0,1,0]
	v_pk_fma_f16 v25, v10, v19, v25 op_sel_hi:[1,0,1]
	v_pk_fma_f16 v8, v10, v19, v8 op_sel:[0,1,0]
	v_pk_fma_f16 v10, v11, v18, v26 op_sel_hi:[1,0,1]
	;; [unrolled: 2-line block ×3, first 2 shown]
	v_pk_fma_f16 v9, v11, v19, v9 op_sel:[0,1,0]
	s_waitcnt lgkmcnt(0)
	s_lshl_b32 s12, s12, 5
	v_pk_fma_f16 v11, v20, v12, v17 op_sel_hi:[1,0,1]
	v_pk_fma_f16 v17, v20, v12, v24 op_sel:[0,1,0]
	v_pk_fma_f16 v19, v20, v13, v25 op_sel_hi:[1,0,1]
	v_pk_fma_f16 v8, v20, v13, v8 op_sel:[0,1,0]
	;; [unrolled: 2-line block ×4, first 2 shown]
	s_add_i32 s56, s12, s56
	v_pk_fma_f16 v115, v22, v14, v11 op_sel_hi:[1,0,1]
	v_pk_fma_f16 v113, v22, v14, v17 op_sel:[0,1,0]
	v_pk_fma_f16 v110, v22, v15, v19 op_sel_hi:[1,0,1]
	v_pk_fma_f16 v108, v22, v15, v8 op_sel:[0,1,0]
	;; [unrolled: 2-line block ×3, first 2 shown]
	v_pk_fma_f16 v111, v23, v15, v16 op_sel_hi:[1,0,1]
	s_cmp_lt_i32 s56, s61
	v_pk_fma_f16 v109, v23, v15, v9 op_sel:[0,1,0]
	s_cbranch_scc0 .LBB56_43
; %bb.41:                               ;   in Loop: Header=BB56_16 Depth=1
	v_mov_b32_e32 v8, v4
	v_mov_b32_e32 v9, v5
	;; [unrolled: 1-line block ×4, first 2 shown]
	s_branch .LBB56_16
.LBB56_42:
	s_mov_b32 s5, s4
	s_mov_b32 s6, s4
	;; [unrolled: 1-line block ×3, first 2 shown]
	v_mov_b64_e32 v[4:5], s[4:5]
	v_mov_b64_e32 v[6:7], s[6:7]
	v_mov_b32_e32 v2, v3
	v_mov_b32_e32 v1, v3
	;; [unrolled: 1-line block ×10, first 2 shown]
.LBB56_43:
	s_cmp_gt_i32 s54, s56
	s_cbranch_scc1 .LBB56_45
; %bb.44:
	v_mbcnt_hi_u32_b32 v86, -1, v118
	v_and_b32_e32 v8, 0x60, v86
	v_mov_b64_e32 v[18:19], v[2:3]
	v_add_u32_e32 v87, 32, v8
	v_xor_b32_e32 v90, 16, v86
	v_xor_b32_e32 v91, 8, v86
	;; [unrolled: 1-line block ×5, first 2 shown]
	v_mov_b64_e32 v[16:17], v[0:1]
	s_cbranch_execz .LBB56_46
	s_branch .LBB56_83
.LBB56_45:
                                        ; implicit-def: $vgpr86
                                        ; implicit-def: $vgpr87
                                        ; implicit-def: $vgpr90
                                        ; implicit-def: $vgpr91
                                        ; implicit-def: $vgpr92
                                        ; implicit-def: $vgpr89
                                        ; implicit-def: $vgpr88
                                        ; implicit-def: $vgpr16_vgpr17_vgpr18_vgpr19
.LBB56_46:
	s_mul_hi_i32 s5, s56, s58
	s_mul_i32 s4, s56, s58
	s_sub_i32 s18, s54, s56
	s_lshl_b64 s[4:5], s[4:5], 2
	s_movk_i32 s6, 0x60
	v_mov_b32_e32 v8, 0x1440
	s_add_u32 s12, s59, s4
	v_mad_u32_u24 v20, v120, s6, v8
	v_mul_lo_u32 v8, s58, v120
	s_addc_u32 s13, s60, s5
	v_ashrrev_i32_e32 v9, 31, v8
	v_cmp_gt_u32_e64 s[4:5], 32, v120
	s_mov_b64 s[10:11], src_private_base
	v_cmp_gt_i32_e32 vcc, s18, v120
	v_lshl_add_u64 v[12:13], v[8:9], 2, s[12:13]
	s_and_saveexec_b64 s[6:7], s[4:5]
	s_cbranch_execz .LBB56_48
; %bb.47:
	v_mov_b32_e32 v8, 0
	v_mov_b32_e32 v9, v8
	;; [unrolled: 1-line block ×3, first 2 shown]
	scratch_store_dword off, v8, off
	scratch_store_dwordx3 off, v[8:10], off offset:4
	s_nop 1
	v_lshl_add_u64 v[8:9], v[12:13], 0, 64
	v_mov_b32_e32 v10, s11
	v_cndmask_b32_e32 v9, v10, v9, vcc
	v_mov_b32_e32 v10, 0
	v_cndmask_b32_e32 v8, v10, v8, vcc
	flat_load_dwordx4 v[8:11], v[8:9]
	s_waitcnt vmcnt(0) lgkmcnt(0)
	ds_write_b128 v20, v[8:11]
.LBB56_48:
	s_or_b64 exec, exec, s[6:7]
	v_lshl_add_u32 v8, v73, 3, v119
	v_mul_u32_u24_e32 v10, 0x60, v8
	v_lshlrev_b32_e32 v14, 2, v78
	s_movk_i32 s6, 0x1400
	v_add3_u32 v21, v10, v14, s6
	v_mul_lo_u32 v10, s58, v8
	v_ashrrev_i32_e32 v11, 31, v10
	v_cmp_gt_u32_e64 s[8:9], 32, v8
	v_mov_b32_e32 v9, 0
	v_cmp_gt_i32_e64 s[6:7], s18, v8
	v_lshl_add_u64 v[16:17], v[10:11], 2, s[12:13]
	s_and_saveexec_b64 s[12:13], s[8:9]
	s_cbranch_execz .LBB56_50
; %bb.49:
	v_mov_b32_e32 v15, v9
	v_lshl_add_u64 v[10:11], v[16:17], 0, v[14:15]
	v_mov_b32_e32 v8, s11
	v_mov_b32_e32 v22, v9
	v_mov_b32_e32 v23, v9
	v_mov_b32_e32 v24, v9
	v_cndmask_b32_e64 v11, v8, v11, s[6:7]
	v_mov_b32_e32 v8, 0
	scratch_store_dword off, v9, off
	scratch_store_dwordx3 off, v[22:24], off offset:4
	v_cndmask_b32_e64 v10, v8, v10, s[6:7]
	flat_load_dwordx4 v[22:25], v[10:11]
	s_waitcnt vmcnt(0) lgkmcnt(0)
	ds_write_b128 v21, v[22:25]
.LBB56_50:
	s_or_b64 exec, exec, s[12:13]
	v_mul_u32_u24_e32 v19, 0x60, v104
	v_mul_u32_u24_e32 v18, 0x280, v73
	s_waitcnt lgkmcnt(0)
	s_barrier
	ds_read_b128 v[22:25], v19 offset:5120
	ds_read_b128 v[26:29], v18
	ds_read_b128 v[30:33], v18 offset:160
	ds_read_b128 v[34:37], v18 offset:320
	;; [unrolled: 1-line block ×3, first 2 shown]
	v_mov_b32_e32 v10, 0
	s_waitcnt lgkmcnt(3)
	;;#ASMSTART
	v_dot2_f32_f16 v10, v22, v26, v10
	;;#ASMEND
	v_mov_b32_e32 v11, 0
	;;#ASMSTART
	v_dot2_f32_f16 v10, v23, v27, v10
	;;#ASMEND
	v_mov_b32_e32 v8, 0
	;;#ASMSTART
	v_dot2_f32_f16 v10, v24, v28, v10
	;;#ASMEND
	s_nop 0
	;;#ASMSTART
	v_dot2_f32_f16 v10, v25, v29, v10
	;;#ASMEND
	s_waitcnt lgkmcnt(2)
	;;#ASMSTART
	v_dot2_f32_f16 v11, v22, v30, v11
	;;#ASMEND
	s_nop 0
	;;#ASMSTART
	v_dot2_f32_f16 v11, v23, v31, v11
	;;#ASMEND
	s_nop 0
	;;#ASMSTART
	v_dot2_f32_f16 v11, v24, v32, v11
	;;#ASMEND
	s_nop 0
	;;#ASMSTART
	v_dot2_f32_f16 v11, v25, v33, v11
	;;#ASMEND
	s_waitcnt lgkmcnt(1)
	;;#ASMSTART
	v_dot2_f32_f16 v8, v22, v34, v8
	;;#ASMEND
	s_nop 0
	;;#ASMSTART
	v_dot2_f32_f16 v8, v23, v35, v8
	;;#ASMEND
	s_nop 0
	;; [unrolled: 16-line block ×3, first 2 shown]
	;;#ASMSTART
	v_dot2_f32_f16 v9, v24, v40, v9
	;;#ASMEND
	s_nop 0
	;;#ASMSTART
	v_dot2_f32_f16 v9, v25, v41, v9
	;;#ASMEND
	ds_read_b128 v[22:25], v19 offset:5136
	ds_read_b128 v[26:29], v18 offset:16
	;; [unrolled: 1-line block ×5, first 2 shown]
	s_waitcnt lgkmcnt(3)
	;;#ASMSTART
	v_dot2_f32_f16 v10, v22, v26, v10
	;;#ASMEND
	s_nop 0
	;;#ASMSTART
	v_dot2_f32_f16 v10, v23, v27, v10
	;;#ASMEND
	s_nop 0
	;;#ASMSTART
	v_dot2_f32_f16 v10, v24, v28, v10
	;;#ASMEND
	s_nop 0
	;;#ASMSTART
	v_dot2_f32_f16 v10, v25, v29, v10
	;;#ASMEND
	s_waitcnt lgkmcnt(2)
	;;#ASMSTART
	v_dot2_f32_f16 v11, v22, v30, v11
	;;#ASMEND
	s_nop 0
	;;#ASMSTART
	v_dot2_f32_f16 v11, v23, v31, v11
	;;#ASMEND
	s_nop 0
	;;#ASMSTART
	v_dot2_f32_f16 v11, v24, v32, v11
	;;#ASMEND
	s_nop 0
	;;#ASMSTART
	v_dot2_f32_f16 v11, v25, v33, v11
	;;#ASMEND
	;; [unrolled: 16-line block ×4, first 2 shown]
	ds_read_b128 v[22:25], v19 offset:5152
	ds_read_b128 v[26:29], v18 offset:32
	ds_read_b128 v[30:33], v18 offset:192
	ds_read_b128 v[34:37], v18 offset:352
	ds_read_b128 v[38:41], v18 offset:512
	s_waitcnt lgkmcnt(3)
	;;#ASMSTART
	v_dot2_f32_f16 v10, v22, v26, v10
	;;#ASMEND
	s_nop 0
	;;#ASMSTART
	v_dot2_f32_f16 v10, v23, v27, v10
	;;#ASMEND
	s_nop 0
	;;#ASMSTART
	v_dot2_f32_f16 v10, v24, v28, v10
	;;#ASMEND
	s_nop 0
	;;#ASMSTART
	v_dot2_f32_f16 v10, v25, v29, v10
	;;#ASMEND
	s_waitcnt lgkmcnt(2)
	;;#ASMSTART
	v_dot2_f32_f16 v11, v22, v30, v11
	;;#ASMEND
	s_nop 0
	;;#ASMSTART
	v_dot2_f32_f16 v11, v23, v31, v11
	;;#ASMEND
	s_nop 0
	;;#ASMSTART
	v_dot2_f32_f16 v11, v24, v32, v11
	;;#ASMEND
	s_nop 0
	;;#ASMSTART
	v_dot2_f32_f16 v11, v25, v33, v11
	;;#ASMEND
	;; [unrolled: 16-line block ×4, first 2 shown]
	ds_read_b128 v[22:25], v19 offset:5168
	ds_read_b128 v[26:29], v18 offset:48
	;; [unrolled: 1-line block ×5, first 2 shown]
	s_waitcnt lgkmcnt(3)
	;;#ASMSTART
	v_dot2_f32_f16 v10, v22, v26, v10
	;;#ASMEND
	s_nop 0
	;;#ASMSTART
	v_dot2_f32_f16 v10, v23, v27, v10
	;;#ASMEND
	s_nop 0
	;;#ASMSTART
	v_dot2_f32_f16 v10, v24, v28, v10
	;;#ASMEND
	s_nop 0
	;;#ASMSTART
	v_dot2_f32_f16 v10, v25, v29, v10
	;;#ASMEND
	s_waitcnt lgkmcnt(2)
	;;#ASMSTART
	v_dot2_f32_f16 v11, v22, v30, v11
	;;#ASMEND
	s_nop 0
	;;#ASMSTART
	v_dot2_f32_f16 v11, v23, v31, v11
	;;#ASMEND
	s_nop 0
	;;#ASMSTART
	v_dot2_f32_f16 v11, v24, v32, v11
	;;#ASMEND
	s_nop 0
	;;#ASMSTART
	v_dot2_f32_f16 v11, v25, v33, v11
	;;#ASMEND
	;; [unrolled: 16-line block ×4, first 2 shown]
	ds_read_b128 v[22:25], v19 offset:5184
	ds_read_b128 v[26:29], v18 offset:64
	;; [unrolled: 1-line block ×5, first 2 shown]
	s_waitcnt lgkmcnt(3)
	;;#ASMSTART
	v_dot2_f32_f16 v10, v22, v26, v10
	;;#ASMEND
	s_nop 0
	;;#ASMSTART
	v_dot2_f32_f16 v10, v23, v27, v10
	;;#ASMEND
	s_nop 0
	;;#ASMSTART
	v_dot2_f32_f16 v10, v24, v28, v10
	;;#ASMEND
	s_nop 0
	;;#ASMSTART
	v_dot2_f32_f16 v10, v25, v29, v10
	;;#ASMEND
	s_waitcnt lgkmcnt(2)
	;;#ASMSTART
	v_dot2_f32_f16 v11, v22, v30, v11
	;;#ASMEND
	s_nop 0
	;;#ASMSTART
	v_dot2_f32_f16 v11, v23, v31, v11
	;;#ASMEND
	s_nop 0
	;;#ASMSTART
	v_dot2_f32_f16 v11, v24, v32, v11
	;;#ASMEND
	s_nop 0
	;;#ASMSTART
	v_dot2_f32_f16 v11, v25, v33, v11
	;;#ASMEND
	;; [unrolled: 16-line block ×4, first 2 shown]
	s_barrier
	s_and_saveexec_b64 s[12:13], s[4:5]
	s_cbranch_execz .LBB56_52
; %bb.51:
	s_mov_b64 s[4:5], 0x90
	v_mov_b32_e32 v22, 0
	v_lshl_add_u64 v[12:13], v[12:13], 0, s[4:5]
	v_mov_b32_e32 v15, s11
	v_mov_b32_e32 v23, v22
	;; [unrolled: 1-line block ×3, first 2 shown]
	v_cndmask_b32_e32 v13, v15, v13, vcc
	v_mov_b32_e32 v15, 0
	scratch_store_dword off, v22, off
	scratch_store_dwordx3 off, v[22:24], off offset:4
	v_cndmask_b32_e32 v12, v15, v12, vcc
	flat_load_dwordx4 v[22:25], v[12:13]
	s_waitcnt vmcnt(0) lgkmcnt(0)
	ds_write_b128 v20, v[22:25]
.LBB56_52:
	s_or_b64 exec, exec, s[12:13]
	s_and_saveexec_b64 s[4:5], s[8:9]
	s_cbranch_execz .LBB56_54
; %bb.53:
	v_mov_b32_e32 v22, 0
	v_mov_b32_e32 v15, v22
	v_lshl_add_u64 v[12:13], v[16:17], 0, v[14:15]
	s_mov_b64 s[8:9], 0x50
	v_lshl_add_u64 v[12:13], v[12:13], 0, s[8:9]
	v_mov_b32_e32 v14, s11
	v_mov_b32_e32 v23, v22
	;; [unrolled: 1-line block ×3, first 2 shown]
	v_cndmask_b32_e64 v13, v14, v13, s[6:7]
	v_mov_b32_e32 v14, 0
	scratch_store_dword off, v22, off
	scratch_store_dwordx3 off, v[22:24], off offset:4
	v_cndmask_b32_e64 v12, v14, v12, s[6:7]
	flat_load_dwordx4 v[12:15], v[12:13]
	s_waitcnt vmcnt(0) lgkmcnt(0)
	ds_write_b128 v21, v[12:15]
.LBB56_54:
	s_or_b64 exec, exec, s[4:5]
	s_waitcnt lgkmcnt(0)
	s_barrier
	ds_read_b128 v[12:15], v19 offset:5120
	ds_read_b128 v[20:23], v18 offset:80
	;; [unrolled: 1-line block ×5, first 2 shown]
	s_waitcnt lgkmcnt(3)
	;;#ASMSTART
	v_dot2_f32_f16 v10, v12, v20, v10
	;;#ASMEND
	s_nop 0
	;;#ASMSTART
	v_dot2_f32_f16 v10, v13, v21, v10
	;;#ASMEND
	s_cmp_lg_u64 s[52:53], 0
	;;#ASMSTART
	v_dot2_f32_f16 v10, v14, v22, v10
	;;#ASMEND
	s_cselect_b64 s[6:7], -1, 0
	;;#ASMSTART
	v_dot2_f32_f16 v10, v15, v23, v10
	;;#ASMEND
	s_waitcnt lgkmcnt(2)
	;;#ASMSTART
	v_dot2_f32_f16 v11, v12, v24, v11
	;;#ASMEND
	v_cmp_gt_i32_e64 s[4:5], s18, v104
	;;#ASMSTART
	v_dot2_f32_f16 v11, v13, v25, v11
	;;#ASMEND
	s_nop 0
	;;#ASMSTART
	v_dot2_f32_f16 v11, v14, v26, v11
	;;#ASMEND
	s_nop 0
	;;#ASMSTART
	v_dot2_f32_f16 v11, v15, v27, v11
	;;#ASMEND
	s_waitcnt lgkmcnt(1)
	;;#ASMSTART
	v_dot2_f32_f16 v8, v12, v28, v8
	;;#ASMEND
	s_nop 0
	;;#ASMSTART
	v_dot2_f32_f16 v8, v13, v29, v8
	;;#ASMEND
	s_nop 0
	;; [unrolled: 4-line block ×3, first 2 shown]
	;;#ASMSTART
	v_dot2_f32_f16 v8, v15, v31, v8
	;;#ASMEND
	s_waitcnt lgkmcnt(0)
	;;#ASMSTART
	v_dot2_f32_f16 v9, v12, v32, v9
	;;#ASMEND
	s_nop 0
	;;#ASMSTART
	v_dot2_f32_f16 v9, v13, v33, v9
	;;#ASMEND
	s_nop 0
	;; [unrolled: 4-line block ×3, first 2 shown]
	;;#ASMSTART
	v_dot2_f32_f16 v9, v15, v35, v9
	;;#ASMEND
	ds_read_b128 v[12:15], v19 offset:5136
	ds_read_b128 v[20:23], v18 offset:96
	;; [unrolled: 1-line block ×5, first 2 shown]
	s_waitcnt lgkmcnt(3)
	;;#ASMSTART
	v_dot2_f32_f16 v10, v12, v20, v10
	;;#ASMEND
	s_nop 0
	;;#ASMSTART
	v_dot2_f32_f16 v10, v13, v21, v10
	;;#ASMEND
	s_nop 0
	;;#ASMSTART
	v_dot2_f32_f16 v10, v14, v22, v10
	;;#ASMEND
	s_nop 0
	;;#ASMSTART
	v_dot2_f32_f16 v10, v15, v23, v10
	;;#ASMEND
	s_waitcnt lgkmcnt(2)
	;;#ASMSTART
	v_dot2_f32_f16 v11, v12, v24, v11
	;;#ASMEND
	s_nop 0
	;;#ASMSTART
	v_dot2_f32_f16 v11, v13, v25, v11
	;;#ASMEND
	s_nop 0
	;;#ASMSTART
	v_dot2_f32_f16 v11, v14, v26, v11
	;;#ASMEND
	s_nop 0
	;;#ASMSTART
	v_dot2_f32_f16 v11, v15, v27, v11
	;;#ASMEND
	s_waitcnt lgkmcnt(1)
	;;#ASMSTART
	v_dot2_f32_f16 v8, v12, v28, v8
	;;#ASMEND
	s_nop 0
	;;#ASMSTART
	v_dot2_f32_f16 v8, v13, v29, v8
	;;#ASMEND
	s_nop 0
	;;#ASMSTART
	v_dot2_f32_f16 v8, v14, v30, v8
	;;#ASMEND
	s_nop 0
	;;#ASMSTART
	v_dot2_f32_f16 v8, v15, v31, v8
	;;#ASMEND
	s_waitcnt lgkmcnt(0)
	;;#ASMSTART
	v_dot2_f32_f16 v9, v12, v32, v9
	;;#ASMEND
	s_nop 0
	;;#ASMSTART
	v_dot2_f32_f16 v9, v13, v33, v9
	;;#ASMEND
	s_nop 0
	;;#ASMSTART
	v_dot2_f32_f16 v9, v14, v34, v9
	;;#ASMEND
	s_nop 0
	;;#ASMSTART
	v_dot2_f32_f16 v9, v15, v35, v9
	;;#ASMEND
	ds_read_b128 v[12:15], v19 offset:5152
	ds_read_b128 v[20:23], v18 offset:112
	;; [unrolled: 1-line block ×5, first 2 shown]
	s_waitcnt lgkmcnt(3)
	;;#ASMSTART
	v_dot2_f32_f16 v10, v12, v20, v10
	;;#ASMEND
	s_nop 0
	;;#ASMSTART
	v_dot2_f32_f16 v10, v13, v21, v10
	;;#ASMEND
	s_nop 0
	;;#ASMSTART
	v_dot2_f32_f16 v10, v14, v22, v10
	;;#ASMEND
	s_nop 0
	;;#ASMSTART
	v_dot2_f32_f16 v10, v15, v23, v10
	;;#ASMEND
	s_waitcnt lgkmcnt(2)
	;;#ASMSTART
	v_dot2_f32_f16 v11, v12, v24, v11
	;;#ASMEND
	s_nop 0
	;;#ASMSTART
	v_dot2_f32_f16 v11, v13, v25, v11
	;;#ASMEND
	s_nop 0
	;;#ASMSTART
	v_dot2_f32_f16 v11, v14, v26, v11
	;;#ASMEND
	s_nop 0
	;;#ASMSTART
	v_dot2_f32_f16 v11, v15, v27, v11
	;;#ASMEND
	;; [unrolled: 16-line block ×4, first 2 shown]
	ds_read_b128 v[12:15], v19 offset:5168
	ds_read_b128 v[20:23], v18 offset:128
	;; [unrolled: 1-line block ×5, first 2 shown]
	s_waitcnt lgkmcnt(3)
	;;#ASMSTART
	v_dot2_f32_f16 v10, v12, v20, v10
	;;#ASMEND
	s_nop 0
	;;#ASMSTART
	v_dot2_f32_f16 v10, v13, v21, v10
	;;#ASMEND
	s_nop 0
	;;#ASMSTART
	v_dot2_f32_f16 v10, v14, v22, v10
	;;#ASMEND
	s_nop 0
	;;#ASMSTART
	v_dot2_f32_f16 v10, v15, v23, v10
	;;#ASMEND
	s_waitcnt lgkmcnt(2)
	;;#ASMSTART
	v_dot2_f32_f16 v11, v12, v24, v11
	;;#ASMEND
	s_nop 0
	;;#ASMSTART
	v_dot2_f32_f16 v11, v13, v25, v11
	;;#ASMEND
	s_nop 0
	;;#ASMSTART
	v_dot2_f32_f16 v11, v14, v26, v11
	;;#ASMEND
	s_nop 0
	;;#ASMSTART
	v_dot2_f32_f16 v11, v15, v27, v11
	;;#ASMEND
	;; [unrolled: 16-line block ×4, first 2 shown]
	ds_read_b128 v[12:15], v19 offset:5184
	ds_read_b128 v[20:23], v18 offset:144
	ds_read_b128 v[24:27], v18 offset:304
	ds_read_b128 v[28:31], v18 offset:464
	ds_read_b128 v[16:19], v18 offset:624
	s_waitcnt lgkmcnt(3)
	;;#ASMSTART
	v_dot2_f32_f16 v10, v12, v20, v10
	;;#ASMEND
	s_nop 0
	;;#ASMSTART
	v_dot2_f32_f16 v10, v13, v21, v10
	;;#ASMEND
	s_nop 0
	;;#ASMSTART
	v_dot2_f32_f16 v10, v14, v22, v10
	;;#ASMEND
	s_nop 0
	;;#ASMSTART
	v_dot2_f32_f16 v10, v15, v23, v10
	;;#ASMEND
	s_waitcnt lgkmcnt(2)
	;;#ASMSTART
	v_dot2_f32_f16 v11, v12, v24, v11
	;;#ASMEND
	s_nop 0
	;;#ASMSTART
	v_dot2_f32_f16 v11, v13, v25, v11
	;;#ASMEND
	s_nop 0
	;;#ASMSTART
	v_dot2_f32_f16 v11, v14, v26, v11
	;;#ASMEND
	s_nop 0
	;;#ASMSTART
	v_dot2_f32_f16 v11, v15, v27, v11
	;;#ASMEND
	;; [unrolled: 16-line block ×3, first 2 shown]
	s_waitcnt lgkmcnt(0)
	;;#ASMSTART
	v_dot2_f32_f16 v9, v12, v16, v9
	;;#ASMEND
	v_cndmask_b32_e64 v12, 0, 1, s[6:7]
	;;#ASMSTART
	v_dot2_f32_f16 v9, v13, v17, v9
	;;#ASMEND
	v_cmp_ne_u32_e64 s[6:7], 1, v12
	;;#ASMSTART
	v_dot2_f32_f16 v9, v14, v18, v9
	;;#ASMEND
	v_add_u32_e32 v16, s56, v104
	;;#ASMSTART
	v_dot2_f32_f16 v9, v15, v19, v9
	;;#ASMEND
	v_mov_b64_e32 v[14:15], v[6:7]
	v_mov_b64_e32 v[12:13], v[4:5]
	v_mov_b32_e32 v17, v4
	s_and_saveexec_b64 s[8:9], s[4:5]
	s_cbranch_execz .LBB56_59
; %bb.55:
	s_and_b64 vcc, exec, s[6:7]
	s_cbranch_vccnz .LBB56_57
; %bb.56:
	v_mul_hi_u32 v12, s28, v107
	v_add_u32_e32 v12, v107, v12
	v_lshrrev_b32_e32 v12, s29, v12
	v_mul_lo_u32 v12, v12, s30
	v_sub_u32_e32 v12, v107, v12
	v_mad_u64_u32 v[12:13], s[10:11], v12, s57, v[16:17]
	v_ashrrev_i32_e32 v13, 31, v12
	v_lshl_add_u64 v[12:13], v[12:13], 1, s[52:53]
	flat_load_ushort v12, v[12:13]
	s_waitcnt vmcnt(0) lgkmcnt(0)
	v_cvt_f32_f16_e32 v12, v12
	v_mul_f32_e32 v12, v75, v12
	s_branch .LBB56_58
.LBB56_57:
	v_mov_b32_e32 v12, 0
.LBB56_58:
	v_add_f32_e32 v10, v10, v12
	v_add_f32_e32 v12, 0x40051340, v10
	v_max_f32_e32 v13, v4, v4
	v_max_f32_e32 v17, v13, v12
	v_mov_b64_e32 v[14:15], v[6:7]
	v_mov_b64_e32 v[12:13], v[4:5]
                                        ; kill: def $vgpr12 killed $vgpr17 killed $exec
.LBB56_59:
	s_or_b64 exec, exec, s[8:9]
	v_mbcnt_hi_u32_b32 v86, -1, v118
	v_and_b32_e32 v12, 0x60, v86
	v_add_u32_e32 v87, 32, v12
	v_xor_b32_e32 v90, 16, v86
	v_cmp_lt_i32_e32 vcc, v90, v87
	v_xor_b32_e32 v91, 8, v86
	v_xor_b32_e32 v92, 4, v86
	v_cndmask_b32_e32 v12, v86, v90, vcc
	v_lshlrev_b32_e32 v20, 2, v12
	ds_bpermute_b32 v12, v20, v17
	v_cmp_lt_i32_e32 vcc, v91, v87
	v_max_f32_e32 v17, v17, v17
	v_xor_b32_e32 v89, 2, v86
	v_cndmask_b32_e32 v18, v86, v91, vcc
	s_waitcnt lgkmcnt(0)
	v_max_f32_e32 v12, v12, v12
	v_lshlrev_b32_e32 v21, 2, v18
	v_max_f32_e32 v12, v17, v12
	ds_bpermute_b32 v18, v21, v12
	v_cmp_lt_i32_e32 vcc, v92, v87
	v_xor_b32_e32 v88, 1, v86
	s_waitcnt lgkmcnt(0)
	v_max_f32_e32 v18, v18, v18
	v_cndmask_b32_e32 v17, v86, v92, vcc
	v_lshlrev_b32_e32 v17, 2, v17
	v_max_f32_e32 v12, v12, v18
	ds_bpermute_b32 v19, v17, v12
	v_cmp_lt_i32_e32 vcc, v89, v87
	s_waitcnt lgkmcnt(0)
	v_max_f32_e32 v19, v19, v19
	v_cndmask_b32_e32 v18, v86, v89, vcc
	v_lshlrev_b32_e32 v18, 2, v18
	v_max_f32_e32 v12, v12, v19
	ds_bpermute_b32 v22, v18, v12
	v_cmp_lt_i32_e32 vcc, v88, v87
	s_waitcnt lgkmcnt(0)
	v_max_f32_e32 v22, v22, v22
	v_cndmask_b32_e32 v19, v86, v88, vcc
	v_lshlrev_b32_e32 v19, 2, v19
	v_max_f32_e32 v12, v12, v22
	ds_bpermute_b32 v22, v19, v12
	s_waitcnt lgkmcnt(0)
	v_max_f32_e32 v22, v22, v22
	v_max_f32_e32 v12, v12, v22
	s_and_saveexec_b64 s[8:9], s[4:5]
	s_cbranch_execz .LBB56_64
; %bb.60:
	s_and_b64 vcc, exec, s[6:7]
	s_cbranch_vccnz .LBB56_62
; %bb.61:
	v_or_b32_e32 v22, 1, v107
	v_mul_hi_u32 v23, s28, v22
	v_add_u32_e32 v23, v22, v23
	v_lshrrev_b32_e32 v23, s29, v23
	v_mul_lo_u32 v23, v23, s30
	v_sub_u32_e32 v22, v22, v23
	v_mad_u64_u32 v[22:23], s[10:11], v22, s57, v[16:17]
	v_ashrrev_i32_e32 v23, 31, v22
	v_lshl_add_u64 v[22:23], v[22:23], 1, s[52:53]
	flat_load_ushort v22, v[22:23]
	s_waitcnt vmcnt(0) lgkmcnt(0)
	v_cvt_f32_f16_e32 v22, v22
	v_mul_f32_e32 v22, v75, v22
	s_branch .LBB56_63
.LBB56_62:
	v_mov_b32_e32 v22, 0
.LBB56_63:
	v_add_f32_e32 v11, v11, v22
	v_add_f32_e32 v22, 0x40051340, v11
	v_max_f32_e32 v13, v13, v13
	v_max_f32_e32 v13, v13, v22
.LBB56_64:
	s_or_b64 exec, exec, s[8:9]
	ds_bpermute_b32 v22, v20, v13
	v_max_f32_e32 v13, v13, v13
	s_waitcnt lgkmcnt(0)
	v_max_f32_e32 v22, v22, v22
	v_max_f32_e32 v13, v13, v22
	ds_bpermute_b32 v22, v21, v13
	s_waitcnt lgkmcnt(0)
	v_max_f32_e32 v22, v22, v22
	v_max_f32_e32 v13, v13, v22
	ds_bpermute_b32 v22, v17, v13
	;; [unrolled: 4-line block ×4, first 2 shown]
	s_waitcnt lgkmcnt(0)
	v_max_f32_e32 v22, v22, v22
	v_max_f32_e32 v13, v13, v22
	s_and_saveexec_b64 s[8:9], s[4:5]
	s_cbranch_execz .LBB56_69
; %bb.65:
	s_and_b64 vcc, exec, s[6:7]
	s_cbranch_vccnz .LBB56_67
; %bb.66:
	v_or_b32_e32 v22, 2, v107
	v_mul_hi_u32 v23, s28, v22
	v_add_u32_e32 v23, v22, v23
	v_lshrrev_b32_e32 v23, s29, v23
	v_mul_lo_u32 v23, v23, s30
	v_sub_u32_e32 v22, v22, v23
	v_mad_u64_u32 v[22:23], s[10:11], v22, s57, v[16:17]
	v_ashrrev_i32_e32 v23, 31, v22
	v_lshl_add_u64 v[22:23], v[22:23], 1, s[52:53]
	flat_load_ushort v22, v[22:23]
	s_waitcnt vmcnt(0) lgkmcnt(0)
	v_cvt_f32_f16_e32 v22, v22
	v_mul_f32_e32 v22, v75, v22
	s_branch .LBB56_68
.LBB56_67:
	v_mov_b32_e32 v22, 0
.LBB56_68:
	v_add_f32_e32 v8, v8, v22
	v_add_f32_e32 v22, 0x40051340, v8
	v_max_f32_e32 v14, v14, v14
	v_max_f32_e32 v14, v14, v22
.LBB56_69:
	s_or_b64 exec, exec, s[8:9]
	ds_bpermute_b32 v22, v20, v14
	v_max_f32_e32 v14, v14, v14
	s_waitcnt lgkmcnt(0)
	v_max_f32_e32 v22, v22, v22
	v_max_f32_e32 v14, v14, v22
	ds_bpermute_b32 v22, v21, v14
	s_waitcnt lgkmcnt(0)
	v_max_f32_e32 v22, v22, v22
	v_max_f32_e32 v14, v14, v22
	ds_bpermute_b32 v22, v17, v14
	;; [unrolled: 4-line block ×4, first 2 shown]
	s_waitcnt lgkmcnt(0)
	v_max_f32_e32 v22, v22, v22
	v_max_f32_e32 v14, v14, v22
	s_and_saveexec_b64 s[8:9], s[4:5]
	s_cbranch_execz .LBB56_74
; %bb.70:
	s_and_b64 vcc, exec, s[6:7]
	s_cbranch_vccnz .LBB56_72
; %bb.71:
	v_or_b32_e32 v22, 3, v107
	v_mul_hi_u32 v23, s28, v22
	v_add_u32_e32 v23, v22, v23
	v_lshrrev_b32_e32 v23, s29, v23
	v_mul_lo_u32 v23, v23, s30
	v_sub_u32_e32 v22, v22, v23
	v_mad_u64_u32 v[22:23], s[4:5], v22, s57, v[16:17]
	v_ashrrev_i32_e32 v23, 31, v22
	v_lshl_add_u64 v[22:23], v[22:23], 1, s[52:53]
	flat_load_ushort v16, v[22:23]
	s_waitcnt vmcnt(0) lgkmcnt(0)
	v_cvt_f32_f16_e32 v16, v16
	v_mul_f32_e32 v16, v75, v16
	s_branch .LBB56_73
.LBB56_72:
	v_mov_b32_e32 v16, 0
.LBB56_73:
	v_add_f32_e32 v9, v9, v16
	v_add_f32_e32 v16, 0x40051340, v9
	v_max_f32_e32 v15, v15, v15
	v_max_f32_e32 v15, v15, v16
.LBB56_74:
	s_or_b64 exec, exec, s[8:9]
	ds_bpermute_b32 v16, v20, v15
	v_max_f32_e32 v15, v15, v15
	v_sub_f32_e32 v10, v10, v12
	s_mov_b32 s6, 0x3fb8aa3b
	s_mov_b32 s7, 0xc2ce8ed0
	s_waitcnt lgkmcnt(0)
	v_max_f32_e32 v16, v16, v16
	v_max_f32_e32 v15, v15, v16
	ds_bpermute_b32 v16, v21, v15
	s_mov_b32 s8, 0x42b17218
	v_cmp_ngt_f32_e32 vcc, s7, v10
	v_sub_f32_e32 v11, v11, v13
	v_sub_f32_e32 v8, v8, v14
	s_waitcnt lgkmcnt(0)
	v_max_f32_e32 v16, v16, v16
	v_max_f32_e32 v15, v15, v16
	ds_bpermute_b32 v16, v17, v15
	v_mul_f32_e32 v17, 0x3fb8aa3b, v10
	v_fma_f32 v20, v10, s6, -v17
	v_rndne_f32_e32 v21, v17
	v_fmac_f32_e32 v20, 0x32a5705f, v10
	s_waitcnt lgkmcnt(0)
	v_max_f32_e32 v16, v16, v16
	v_max_f32_e32 v15, v15, v16
	ds_bpermute_b32 v16, v18, v15
	v_sub_f32_e32 v17, v17, v21
	v_add_f32_e32 v17, v17, v20
	v_cvt_i32_f32_e32 v18, v21
	v_exp_f32_e32 v17, v17
	s_waitcnt lgkmcnt(0)
	v_max_f32_e32 v16, v16, v16
	v_max_f32_e32 v15, v15, v16
	ds_bpermute_b32 v16, v19, v15
	v_ldexp_f32 v17, v17, v18
	v_mov_b32_e32 v19, 0x7f800000
	v_cndmask_b32_e32 v17, 0, v17, vcc
	v_cmp_nlt_f32_e32 vcc, s8, v10
	s_waitcnt lgkmcnt(0)
	v_max_f32_e32 v16, v16, v16
	v_max_f32_e32 v15, v15, v16
	v_mul_f32_e32 v16, 0x3fb8aa3b, v11
	v_cndmask_b32_e32 v10, v19, v17, vcc
	v_fma_f32 v17, v11, s6, -v16
	v_rndne_f32_e32 v18, v16
	v_fmac_f32_e32 v17, 0x32a5705f, v11
	v_sub_f32_e32 v16, v16, v18
	v_add_f32_e32 v16, v16, v17
	v_exp_f32_e32 v17, v16
	v_cvt_i32_f32_e32 v18, v18
	v_sub_f32_e32 v9, v9, v15
	v_cmp_ngt_f32_e64 s[4:5], s7, v11
	v_cmp_gt_u32_e32 vcc, s18, v104
	v_ldexp_f32 v17, v17, v18
	v_mul_f32_e32 v18, 0x3fb8aa3b, v8
	v_fma_f32 v20, v8, s6, -v18
	v_rndne_f32_e32 v21, v18
	v_fmac_f32_e32 v20, 0x32a5705f, v8
	v_sub_f32_e32 v18, v18, v21
	v_add_f32_e32 v18, v18, v20
	v_exp_f32_e32 v18, v18
	v_cvt_i32_f32_e32 v20, v21
	v_cndmask_b32_e64 v17, 0, v17, s[4:5]
	v_cmp_nlt_f32_e64 s[4:5], s8, v11
	v_cndmask_b32_e32 v16, 0, v10, vcc
	v_ldexp_f32 v18, v18, v20
	v_mul_f32_e32 v20, 0x3fb8aa3b, v9
	v_fma_f32 v21, v9, s6, -v20
	v_rndne_f32_e32 v22, v20
	v_fmac_f32_e32 v21, 0x32a5705f, v9
	v_sub_f32_e32 v20, v20, v22
	v_add_f32_e32 v20, v20, v21
	v_exp_f32_e32 v20, v20
	v_cvt_i32_f32_e32 v21, v22
	v_cndmask_b32_e64 v11, v19, v17, s[4:5]
	v_cmp_ngt_f32_e64 s[4:5], s7, v8
	v_cndmask_b32_e32 v17, 0, v11, vcc
	v_ldexp_f32 v20, v20, v21
	v_cndmask_b32_e64 v18, 0, v18, s[4:5]
	v_cmp_nlt_f32_e64 s[4:5], s8, v8
	v_cvt_f16_f32_e32 v10, v16
	v_cvt_f16_f32_e32 v11, v17
	v_cndmask_b32_e64 v8, v19, v18, s[4:5]
	v_cmp_ngt_f32_e64 s[4:5], s7, v9
	v_cndmask_b32_e32 v18, 0, v8, vcc
	v_cvt_f16_f32_e32 v8, v18
	v_cndmask_b32_e64 v20, 0, v20, s[4:5]
	v_cmp_nlt_f32_e64 s[4:5], s8, v9
	v_lshl_add_u32 v95, v73, 4, v79
	s_nop 0
	v_cndmask_b32_e64 v9, v19, v20, s[4:5]
	v_cndmask_b32_e32 v19, 0, v9, vcc
	v_cvt_f16_f32_e32 v9, v19
	v_mov_b32_e32 v20, 0x20c0
	v_lshl_add_u32 v93, v73, 8, v20
	v_add_u32_e32 v20, v93, v112
	v_pack_b32_f16 v9, v8, v9
	v_pack_b32_f16 v8, v10, v11
	s_mul_hi_i32 s5, s56, s2
	s_mul_i32 s4, s56, s2
	s_barrier
	ds_write_b64 v20, v[8:9]
	v_mul_u32_u24_e32 v8, 0xa0, v95
	s_lshl_b64 s[4:5], s[4:5], 2
	v_lshl_or_b32 v8, v74, 2, v8
	v_mul_lo_u32 v78, s2, v95
	s_add_u32 s6, s46, s4
	v_cmp_gt_u32_e32 vcc, 16, v95
	s_mov_b64 s[14:15], src_private_base
	v_add_u32_e32 v94, 0x1480, v8
	v_ashrrev_i32_e32 v79, 31, v78
	s_addc_u32 s7, s47, s5
	v_lshlrev_b32_e32 v80, 2, v74
	s_and_saveexec_b64 s[8:9], vcc
	s_cbranch_execz .LBB56_76
; %bb.75:
	v_mov_b32_e32 v8, 0
	v_mov_b32_e32 v9, v8
	;; [unrolled: 1-line block ×3, first 2 shown]
	scratch_store_dwordx3 off, v[8:10], off offset:4
	v_mov_b32_e32 v81, v8
	scratch_store_dword off, v8, off
	v_lshl_add_u64 v[10:11], v[78:79], 2, s[6:7]
	v_lshl_add_u64 v[8:9], v[10:11], 0, v[80:81]
	s_mov_b64 s[4:5], 0x80
	v_lshl_add_u64 v[8:9], v[8:9], 0, s[4:5]
	v_mov_b32_e32 v10, s15
	v_cmp_gt_i32_e64 s[4:5], s18, v95
	s_nop 1
	v_cndmask_b32_e64 v9, v10, v9, s[4:5]
	v_mov_b32_e32 v10, 0
	v_cndmask_b32_e64 v8, v10, v8, s[4:5]
	flat_load_dwordx4 v[8:11], v[8:9]
	s_waitcnt vmcnt(0) lgkmcnt(0)
	ds_write_b128 v94, v[8:11]
.LBB56_76:
	s_or_b64 exec, exec, s[8:9]
	v_add_u32_e32 v97, v106, v117
	v_mul_u32_u24_e32 v9, 0xa0, v97
	v_lshlrev_b32_e32 v82, 2, v72
	s_movk_i32 s8, 0x1400
	v_mul_lo_u32 v84, s2, v97
	v_cmp_gt_u32_e64 s[4:5], 16, v97
	v_mov_b32_e32 v8, 0
	v_add3_u32 v96, v9, v82, s8
	v_ashrrev_i32_e32 v85, 31, v84
	s_and_saveexec_b64 s[8:9], s[4:5]
	s_cbranch_execz .LBB56_78
; %bb.77:
	v_mov_b32_e32 v9, v8
	v_mov_b32_e32 v10, v8
	scratch_store_dwordx3 off, v[8:10], off offset:4
	v_mov_b32_e32 v83, v8
	scratch_store_dword off, v8, off
	v_lshl_add_u64 v[10:11], v[84:85], 2, s[6:7]
	v_lshl_add_u64 v[8:9], v[10:11], 0, v[82:83]
	v_mov_b32_e32 v10, s15
	v_cmp_gt_i32_e64 s[6:7], s18, v97
	s_nop 1
	v_cndmask_b32_e64 v9, v10, v9, s[6:7]
	v_mov_b32_e32 v10, 0
	v_cndmask_b32_e64 v8, v10, v8, s[6:7]
	flat_load_dwordx4 v[8:11], v[8:9]
	s_waitcnt vmcnt(0) lgkmcnt(0)
	ds_write_b128 v96, v[8:11]
.LBB56_78:
	s_or_b64 exec, exec, s[8:9]
	v_sub_f32_e32 v4, v4, v12
	s_mov_b32 s10, 0x3fb8aa3b
	v_mul_f32_e32 v8, 0x3fb8aa3b, v4
	v_fma_f32 v9, v4, s10, -v8
	v_rndne_f32_e32 v10, v8
	v_fmac_f32_e32 v9, 0x32a5705f, v4
	v_sub_f32_e32 v8, v8, v10
	v_add_f32_e32 v8, v8, v9
	v_exp_f32_e32 v8, v8
	v_cvt_i32_f32_e32 v9, v10
	s_mov_b32 s12, 0xc2ce8ed0
	v_cmp_ngt_f32_e64 s[6:7], s12, v4
	v_sub_f32_e32 v5, v5, v13
	v_ldexp_f32 v8, v8, v9
	v_cndmask_b32_e64 v83, 0, v8, s[6:7]
	v_mul_f32_e32 v8, 0x3fb8aa3b, v5
	v_fma_f32 v9, v5, s10, -v8
	v_rndne_f32_e32 v10, v8
	v_fmac_f32_e32 v9, 0x32a5705f, v5
	v_sub_f32_e32 v8, v8, v10
	v_add_f32_e32 v8, v8, v9
	v_exp_f32_e32 v8, v8
	v_cvt_i32_f32_e32 v9, v10
	s_mov_b32 s14, 0x42b17218
	v_sub_f32_e32 v6, v6, v14
	v_cmp_nlt_f32_e64 s[6:7], s14, v4
	v_ldexp_f32 v4, v8, v9
	v_mul_f32_e32 v8, 0x3fb8aa3b, v6
	v_fma_f32 v9, v6, s10, -v8
	v_rndne_f32_e32 v10, v8
	v_fmac_f32_e32 v9, 0x32a5705f, v6
	v_sub_f32_e32 v8, v8, v10
	v_add_f32_e32 v8, v8, v9
	v_exp_f32_e32 v8, v8
	v_cvt_i32_f32_e32 v9, v10
	v_cmp_ngt_f32_e64 s[8:9], s12, v5
	s_waitcnt lgkmcnt(0)
	s_barrier
	v_cndmask_b32_e64 v99, 0, v4, s[8:9]
	v_cmp_nlt_f32_e64 s[8:9], s14, v5
	v_sub_f32_e32 v5, v7, v15
	v_mul_f32_e32 v7, 0x3fb8aa3b, v5
	v_ldexp_f32 v4, v8, v9
	v_fma_f32 v8, v5, s10, -v7
	v_rndne_f32_e32 v9, v7
	v_fmac_f32_e32 v8, 0x32a5705f, v5
	v_sub_f32_e32 v7, v7, v9
	v_add_f32_e32 v7, v7, v8
	v_exp_f32_e32 v7, v7
	v_cvt_i32_f32_e32 v8, v9
	v_cmp_ngt_f32_e64 s[10:11], s12, v6
	v_cmp_ngt_f32_e64 s[12:13], s12, v5
	s_nop 0
	v_cndmask_b32_e64 v100, 0, v4, s[10:11]
	v_ldexp_f32 v4, v7, v8
	v_cndmask_b32_e64 v101, 0, v4, s[12:13]
	v_add_u32_e32 v4, 0x1000, v112
	ds_read2_b64 v[68:71], v4 offset0:128 offset1:148
	ds_read_b128 v[72:75], v93
	ds_read_b128 v[60:63], v93 offset:16
	ds_read_b128 v[52:55], v93 offset:32
	ds_read_b128 v[40:43], v93 offset:48
	ds_read2_b64 v[64:67], v4 offset0:168 offset1:188
	ds_read2_b64 v[56:59], v4 offset0:208 offset1:228
	v_add_u32_e32 v4, 0x1400, v112
	ds_read2_b64 v[48:51], v4 offset0:120 offset1:140
	v_add_u32_e32 v4, 0x1800, v112
	v_cmp_nlt_f32_e64 s[10:11], s14, v6
	v_cmp_nlt_f32_e64 s[12:13], s14, v5
	ds_read2_b64 v[36:39], v4 offset0:32 offset1:52
	ds_read2_b64 v[28:31], v4 offset0:72 offset1:92
	ds_read_b128 v[44:47], v93 offset:64
	ds_read_b128 v[32:35], v93 offset:80
	ds_read2_b64 v[20:23], v4 offset0:112 offset1:132
	ds_read2_b64 v[4:7], v4 offset0:152 offset1:172
	ds_read_b128 v[24:27], v93 offset:96
	ds_read_b128 v[8:11], v93 offset:112
	s_or_b32 s14, s56, 16
	s_mul_hi_i32 s17, s14, s2
	s_mul_i32 s16, s14, s2
	s_lshl_b64 s[16:17], s[16:17], 2
	s_add_u32 s16, s46, s16
	v_mov_b32_e32 v98, 0x7f800000
	s_addc_u32 s17, s47, s17
	s_add_i32 s2, s18, -16
	s_waitcnt lgkmcnt(0)
	s_barrier
	s_and_saveexec_b64 s[18:19], vcc
	s_cbranch_execz .LBB56_80
; %bb.79:
	v_mov_b32_e32 v118, 0
	v_lshl_add_u64 v[78:79], v[78:79], 2, s[16:17]
	v_mov_b32_e32 v81, v118
	v_lshl_add_u64 v[78:79], v[78:79], 0, v[80:81]
	s_mov_b64 s[20:21], 0x80
	v_lshl_add_u64 v[78:79], v[78:79], 0, s[20:21]
	v_mov_b32_e32 v80, s15
	v_cmp_gt_i32_e32 vcc, s2, v95
	v_mov_b32_e32 v119, v118
	v_mov_b32_e32 v120, v118
	v_cndmask_b32_e32 v79, v80, v79, vcc
	v_mov_b32_e32 v80, 0
	scratch_store_dword off, v118, off
	scratch_store_dwordx3 off, v[118:120], off offset:4
	v_cndmask_b32_e32 v78, v80, v78, vcc
	flat_load_dwordx4 v[78:81], v[78:79]
	s_waitcnt vmcnt(0) lgkmcnt(0)
	ds_write_b128 v94, v[78:81]
.LBB56_80:
	s_or_b64 exec, exec, s[18:19]
	v_cndmask_b32_e64 v81, v98, v83, s[6:7]
	v_cndmask_b32_e64 v80, v98, v99, s[8:9]
	;; [unrolled: 1-line block ×4, first 2 shown]
	s_and_saveexec_b64 s[6:7], s[4:5]
	s_cbranch_execz .LBB56_82
; %bb.81:
	v_mov_b32_e32 v98, 0
	v_lshl_add_u64 v[84:85], v[84:85], 2, s[16:17]
	v_mov_b32_e32 v83, v98
	v_lshl_add_u64 v[82:83], v[84:85], 0, v[82:83]
	v_mov_b32_e32 v84, s15
	v_cmp_gt_i32_e32 vcc, s2, v97
	v_mov_b32_e32 v99, v98
	v_mov_b32_e32 v100, v98
	v_cndmask_b32_e32 v83, v84, v83, vcc
	v_mov_b32_e32 v84, 0
	scratch_store_dword off, v98, off
	scratch_store_dwordx3 off, v[98:100], off offset:4
	v_cndmask_b32_e32 v82, v84, v82, vcc
	flat_load_dwordx4 v[82:85], v[82:83]
	s_waitcnt vmcnt(0) lgkmcnt(0)
	ds_write_b128 v96, v[82:85]
.LBB56_82:
	s_or_b64 exec, exec, s[6:7]
	v_cvt_f16_f32_e32 v82, v81
	v_cvt_f16_f32_e32 v83, v80
	v_cvt_f16_f32_e32 v84, v79
	v_cvt_f16_f32_e32 v85, v78
	v_pk_mul_f16 v98, v68, v72 op_sel_hi:[1,0]
	v_pk_mul_f16 v94, v82, v116 op_sel_hi:[0,1]
	v_pk_fma_f16 v82, v82, v115, v98 op_sel_hi:[0,1,1]
	v_pk_mul_f16 v98, v68, v72 op_sel:[0,1]
	v_pk_mul_f16 v95, v83, v114 op_sel_hi:[0,1]
	v_pk_mul_f16 v96, v84, v111 op_sel_hi:[0,1]
	v_pk_mul_f16 v97, v85, v108 op_sel_hi:[0,1]
	v_pk_mul_f16 v85, v85, v109 op_sel_hi:[0,1]
	v_pk_fma_f16 v83, v83, v113, v98 op_sel_hi:[0,1,1]
	v_pk_mul_f16 v98, v68, v73 op_sel_hi:[1,0]
	v_pk_fma_f16 v68, v68, v73, v97 op_sel:[0,1,0]
	v_pk_fma_f16 v84, v84, v110, v98 op_sel_hi:[0,1,1]
	v_pk_fma_f16 v94, v69, v72, v94 op_sel_hi:[1,0,1]
	v_pk_fma_f16 v72, v69, v72, v95 op_sel:[0,1,0]
	v_pk_fma_f16 v95, v69, v73, v96 op_sel_hi:[1,0,1]
	v_pk_fma_f16 v69, v69, v73, v85 op_sel:[0,1,0]
	;; [unrolled: 2-line block ×58, first 2 shown]
	v_add_u32_e32 v36, 0x1000, v112
	v_pk_fma_f16 v28, v6, v10, v23 op_sel_hi:[1,0,1]
	v_pk_fma_f16 v29, v6, v10, v25 op_sel:[0,1,0]
	v_pk_fma_f16 v30, v6, v11, v27 op_sel_hi:[1,0,1]
	v_pk_fma_f16 v31, v6, v11, v4 op_sel:[0,1,0]
	;; [unrolled: 2-line block ×4, first 2 shown]
	s_waitcnt lgkmcnt(0)
	s_barrier
	ds_read2_b64 v[4:7], v36 offset0:128 offset1:148
	ds_read_b128 v[8:11], v93 offset:128
	v_fmac_f32_e32 v16, v0, v81
	v_fmac_f32_e32 v17, v1, v80
	;; [unrolled: 1-line block ×4, first 2 shown]
	s_waitcnt lgkmcnt(0)
	v_pk_fma_f16 v28, v4, v8, v28 op_sel_hi:[1,0,1]
	v_pk_fma_f16 v29, v4, v8, v29 op_sel:[0,1,0]
	v_pk_fma_f16 v30, v4, v9, v30 op_sel_hi:[1,0,1]
	ds_read_b128 v[0:3], v93 offset:144
	ds_read_b128 v[20:23], v93 offset:160
	;; [unrolled: 1-line block ×3, first 2 shown]
	v_pk_fma_f16 v4, v4, v9, v31 op_sel:[0,1,0]
	v_pk_fma_f16 v32, v5, v8, v32 op_sel_hi:[1,0,1]
	v_pk_fma_f16 v8, v5, v8, v33 op_sel:[0,1,0]
	v_pk_fma_f16 v33, v5, v9, v34 op_sel_hi:[1,0,1]
	;; [unrolled: 2-line block ×4, first 2 shown]
	ds_read2_b64 v[28:31], v36 offset0:168 offset1:188
	v_pk_fma_f16 v4, v6, v11, v4 op_sel:[0,1,0]
	v_pk_fma_f16 v6, v7, v10, v32 op_sel_hi:[1,0,1]
	v_pk_fma_f16 v8, v7, v10, v8 op_sel:[0,1,0]
	v_pk_fma_f16 v10, v7, v11, v33 op_sel_hi:[1,0,1]
	v_pk_fma_f16 v5, v7, v11, v5 op_sel:[0,1,0]
	s_waitcnt lgkmcnt(0)
	v_pk_fma_f16 v7, v28, v0, v9 op_sel_hi:[1,0,1]
	v_pk_fma_f16 v4, v28, v1, v4 op_sel:[0,1,0]
	v_pk_fma_f16 v9, v28, v0, v34 op_sel:[0,1,0]
	v_pk_fma_f16 v11, v28, v1, v35 op_sel_hi:[1,0,1]
	v_pk_fma_f16 v28, v29, v0, v6 op_sel_hi:[1,0,1]
	v_pk_fma_f16 v0, v29, v0, v8 op_sel:[0,1,0]
	v_pk_fma_f16 v8, v29, v1, v10 op_sel_hi:[1,0,1]
	v_pk_fma_f16 v1, v29, v1, v5 op_sel:[0,1,0]
	;; [unrolled: 2-line block ×3, first 2 shown]
	ds_read2_b64 v[4:7], v36 offset0:208 offset1:228
	v_pk_fma_f16 v9, v30, v2, v9 op_sel:[0,1,0]
	v_pk_fma_f16 v11, v30, v3, v11 op_sel_hi:[1,0,1]
	v_pk_fma_f16 v0, v31, v2, v0 op_sel:[0,1,0]
	v_pk_fma_f16 v28, v31, v2, v28 op_sel_hi:[1,0,1]
	v_pk_fma_f16 v2, v31, v3, v8 op_sel_hi:[1,0,1]
	v_pk_fma_f16 v1, v31, v3, v1 op_sel:[0,1,0]
	s_waitcnt lgkmcnt(0)
	v_pk_fma_f16 v3, v4, v20, v10 op_sel_hi:[1,0,1]
	v_pk_fma_f16 v8, v4, v20, v9 op_sel:[0,1,0]
	v_pk_fma_f16 v9, v4, v21, v11 op_sel_hi:[1,0,1]
	v_pk_fma_f16 v11, v5, v20, v0 op_sel:[0,1,0]
	v_add_u32_e32 v0, 0x1400, v112
	v_pk_fma_f16 v4, v4, v21, v29 op_sel:[0,1,0]
	v_pk_fma_f16 v10, v5, v20, v28 op_sel_hi:[1,0,1]
	v_pk_fma_f16 v20, v5, v21, v2 op_sel_hi:[1,0,1]
	v_pk_fma_f16 v5, v5, v21, v1 op_sel:[0,1,0]
	v_pk_fma_f16 v21, v6, v22, v3 op_sel_hi:[1,0,1]
	ds_read2_b64 v[0:3], v0 offset0:120 offset1:140
	v_pk_fma_f16 v8, v6, v22, v8 op_sel:[0,1,0]
	v_pk_fma_f16 v9, v6, v23, v9 op_sel_hi:[1,0,1]
	v_pk_fma_f16 v4, v6, v23, v4 op_sel:[0,1,0]
	v_pk_fma_f16 v6, v7, v22, v10 op_sel_hi:[1,0,1]
	;; [unrolled: 2-line block ×3, first 2 shown]
	v_pk_fma_f16 v5, v7, v23, v5 op_sel:[0,1,0]
	s_waitcnt lgkmcnt(0)
	v_pk_fma_f16 v7, v0, v24, v21 op_sel_hi:[1,0,1]
	v_pk_fma_f16 v8, v0, v24, v8 op_sel:[0,1,0]
	v_pk_fma_f16 v9, v0, v25, v9 op_sel_hi:[1,0,1]
	v_pk_fma_f16 v0, v0, v25, v4 op_sel:[0,1,0]
	v_pk_fma_f16 v4, v1, v24, v6 op_sel_hi:[1,0,1]
	v_add_u32_e32 v29, 0x1800, v112
	v_pk_fma_f16 v20, v1, v24, v10 op_sel:[0,1,0]
	v_pk_fma_f16 v21, v1, v25, v11 op_sel_hi:[1,0,1]
	v_pk_fma_f16 v1, v1, v25, v5 op_sel:[0,1,0]
	v_pk_fma_f16 v22, v2, v26, v7 op_sel_hi:[1,0,1]
	;; [unrolled: 2-line block ×3, first 2 shown]
	v_pk_fma_f16 v28, v3, v26, v4 op_sel_hi:[1,0,1]
	ds_read2_b64 v[4:7], v29 offset0:32 offset1:52
	ds_read_b128 v[8:11], v93 offset:192
	v_pk_fma_f16 v25, v2, v27, v0 op_sel:[0,1,0]
	v_pk_fma_f16 v20, v3, v26, v20 op_sel:[0,1,0]
	v_pk_fma_f16 v21, v3, v27, v21 op_sel_hi:[1,0,1]
	v_pk_fma_f16 v26, v3, v27, v1 op_sel:[0,1,0]
	s_waitcnt lgkmcnt(0)
	v_pk_fma_f16 v22, v4, v8, v22 op_sel_hi:[1,0,1]
	v_pk_fma_f16 v23, v4, v8, v23 op_sel:[0,1,0]
	ds_read_b128 v[0:3], v93 offset:208
	v_pk_fma_f16 v24, v4, v9, v24 op_sel_hi:[1,0,1]
	v_pk_fma_f16 v4, v4, v9, v25 op_sel:[0,1,0]
	v_pk_fma_f16 v25, v5, v8, v28 op_sel_hi:[1,0,1]
	v_pk_fma_f16 v8, v5, v8, v20 op_sel:[0,1,0]
	;; [unrolled: 2-line block ×4, first 2 shown]
	ds_read2_b64 v[20:23], v29 offset0:72 offset1:92
	v_pk_fma_f16 v24, v6, v11, v24 op_sel_hi:[1,0,1]
	v_pk_fma_f16 v4, v6, v11, v4 op_sel:[0,1,0]
	v_pk_fma_f16 v6, v7, v10, v25 op_sel_hi:[1,0,1]
	v_pk_fma_f16 v8, v7, v10, v8 op_sel:[0,1,0]
	;; [unrolled: 2-line block ×3, first 2 shown]
	s_waitcnt lgkmcnt(0)
	v_pk_fma_f16 v7, v20, v0, v9 op_sel_hi:[1,0,1]
	v_pk_fma_f16 v9, v20, v0, v26 op_sel:[0,1,0]
	v_pk_fma_f16 v11, v20, v1, v24 op_sel_hi:[1,0,1]
	v_pk_fma_f16 v4, v20, v1, v4 op_sel:[0,1,0]
	;; [unrolled: 2-line block ×6, first 2 shown]
	v_pk_fma_f16 v26, v23, v2, v6 op_sel_hi:[1,0,1]
	ds_read2_b64 v[4:7], v29 offset0:112 offset1:132
	ds_read_b128 v[8:11], v93 offset:224
	v_pk_fma_f16 v27, v23, v2, v0 op_sel:[0,1,0]
	v_pk_fma_f16 v20, v23, v3, v20 op_sel_hi:[1,0,1]
	v_pk_fma_f16 v23, v23, v3, v1 op_sel:[0,1,0]
	ds_read_b128 v[0:3], v93 offset:240
	s_waitcnt lgkmcnt(1)
	v_pk_fma_f16 v21, v4, v8, v21 op_sel_hi:[1,0,1]
	v_pk_fma_f16 v24, v4, v8, v24 op_sel:[0,1,0]
	v_pk_fma_f16 v25, v4, v9, v25 op_sel_hi:[1,0,1]
	v_pk_fma_f16 v4, v4, v9, v22 op_sel:[0,1,0]
	;; [unrolled: 2-line block ×4, first 2 shown]
	v_pk_fma_f16 v9, v6, v10, v21 op_sel_hi:[1,0,1]
	ds_read2_b64 v[20:23], v29 offset0:152 offset1:172
	v_pk_fma_f16 v24, v6, v10, v24 op_sel:[0,1,0]
	v_pk_fma_f16 v25, v6, v11, v25 op_sel_hi:[1,0,1]
	v_pk_fma_f16 v4, v6, v11, v4 op_sel:[0,1,0]
	v_pk_fma_f16 v6, v7, v10, v26 op_sel_hi:[1,0,1]
	;; [unrolled: 2-line block ×3, first 2 shown]
	v_pk_fma_f16 v5, v7, v11, v5 op_sel:[0,1,0]
	s_waitcnt lgkmcnt(0)
	v_pk_fma_f16 v7, v20, v0, v9 op_sel_hi:[1,0,1]
	v_pk_fma_f16 v4, v20, v1, v4 op_sel:[0,1,0]
	v_pk_fma_f16 v6, v21, v0, v6 op_sel_hi:[1,0,1]
	v_pk_fma_f16 v9, v20, v0, v24 op_sel:[0,1,0]
	;; [unrolled: 2-line block ×5, first 2 shown]
	v_pk_fma_f16 v116, v23, v2, v6 op_sel_hi:[1,0,1]
	v_mov_b64_e32 v[4:5], v[12:13]
	v_pk_fma_f16 v113, v22, v2, v9 op_sel:[0,1,0]
	v_pk_fma_f16 v110, v22, v3, v11 op_sel_hi:[1,0,1]
	v_pk_fma_f16 v114, v23, v2, v0 op_sel:[0,1,0]
	v_pk_fma_f16 v111, v23, v3, v8 op_sel_hi:[1,0,1]
	v_pk_fma_f16 v109, v23, v3, v1 op_sel:[0,1,0]
	v_mov_b64_e32 v[6:7], v[14:15]
	s_barrier
.LBB56_83:
	v_cmp_lt_i32_e32 vcc, v90, v87
	s_cmp_eq_u64 s[44:45], 0
	s_cselect_b64 s[4:5], -1, 0
	v_cndmask_b32_e32 v0, v86, v90, vcc
	v_cmp_lt_i32_e32 vcc, v91, v87
	v_lshlrev_b32_e32 v3, 2, v0
	ds_bpermute_b32 v1, v3, v17
	v_cndmask_b32_e32 v0, v86, v91, vcc
	v_cmp_lt_i32_e32 vcc, v92, v87
	v_lshlrev_b32_e32 v11, 2, v0
	ds_bpermute_b32 v2, v3, v18
	v_cndmask_b32_e32 v0, v86, v92, vcc
	v_lshlrev_b32_e32 v12, 2, v0
	ds_bpermute_b32 v0, v3, v16
	ds_bpermute_b32 v3, v3, v19
	v_cmp_lt_i32_e32 vcc, v89, v87
	s_cmp_lg_u32 s3, 0
	s_cselect_b64 s[6:7], -1, 0
	s_waitcnt lgkmcnt(1)
	v_pk_add_f32 v[0:1], v[16:17], v[0:1]
	s_waitcnt lgkmcnt(0)
	v_pk_add_f32 v[2:3], v[18:19], v[2:3]
	ds_bpermute_b32 v8, v11, v0
	ds_bpermute_b32 v9, v11, v1
	;; [unrolled: 1-line block ×4, first 2 shown]
	v_cndmask_b32_e32 v13, v86, v89, vcc
	v_lshlrev_b32_e32 v13, 2, v13
	s_waitcnt lgkmcnt(2)
	v_pk_add_f32 v[0:1], v[0:1], v[8:9]
	ds_bpermute_b32 v8, v12, v0
	s_waitcnt lgkmcnt(1)
	v_pk_add_f32 v[2:3], v[2:3], v[10:11]
	ds_bpermute_b32 v9, v12, v1
	ds_bpermute_b32 v10, v12, v2
	;; [unrolled: 1-line block ×3, first 2 shown]
	v_cmp_lt_i32_e32 vcc, v88, v87
	s_or_b64 s[4:5], s[6:7], s[4:5]
	s_waitcnt lgkmcnt(2)
	v_pk_add_f32 v[0:1], v[0:1], v[8:9]
	ds_bpermute_b32 v8, v13, v0
	s_waitcnt lgkmcnt(1)
	v_pk_add_f32 v[2:3], v[2:3], v[10:11]
	ds_bpermute_b32 v9, v13, v1
	ds_bpermute_b32 v10, v13, v2
	;; [unrolled: 1-line block ×3, first 2 shown]
	v_cndmask_b32_e32 v12, v86, v88, vcc
	v_lshlrev_b32_e32 v13, 2, v12
	s_waitcnt lgkmcnt(2)
	v_pk_add_f32 v[0:1], v[0:1], v[8:9]
	ds_bpermute_b32 v8, v13, v0
	s_waitcnt lgkmcnt(1)
	v_pk_add_f32 v[10:11], v[2:3], v[10:11]
	ds_bpermute_b32 v9, v13, v1
	ds_bpermute_b32 v12, v13, v10
	;; [unrolled: 1-line block ×3, first 2 shown]
	s_and_b64 vcc, exec, s[4:5]
	s_waitcnt lgkmcnt(2)
	v_pk_add_f32 v[2:3], v[0:1], v[8:9]
	s_waitcnt lgkmcnt(0)
	v_pk_add_f32 v[0:1], v[10:11], v[12:13]
	s_cbranch_vccnz .LBB56_85
; %bb.84:
	s_lshl_b64 s[4:5], s[34:35], 2
	s_add_u32 s4, s44, s4
	s_addc_u32 s5, s45, s5
	v_mov_b32_e32 v8, 0
	global_load_dword v12, v8, s[4:5]
	v_max_f32_e32 v8, v5, v5
	v_max_f32_e32 v10, v4, v4
	;; [unrolled: 1-line block ×4, first 2 shown]
	s_mov_b32 s5, 0x3fb8aa3b
	s_mov_b32 s2, 0xc2ce8ed0
	;; [unrolled: 1-line block ×3, first 2 shown]
	v_mov_b32_e32 v14, 0x7f800000
	s_waitcnt vmcnt(0)
	v_max_f32_e32 v15, v12, v12
	v_max_f32_e32 v9, v8, v15
	;; [unrolled: 1-line block ×3, first 2 shown]
	v_pk_add_f32 v[4:5], v[4:5], v[8:9] neg_lo:[0,1] neg_hi:[0,1]
	v_max_f32_e32 v11, v11, v15
	v_max_f32_e32 v10, v13, v15
	v_mul_f32_e32 v13, 0x3fb8aa3b, v5
	v_pk_add_f32 v[6:7], v[6:7], v[10:11] neg_lo:[0,1] neg_hi:[0,1]
	v_mul_f32_e32 v18, 0x3fb8aa3b, v4
	v_fma_f32 v23, v5, s5, -v13
	v_rndne_f32_e32 v24, v13
	v_mul_f32_e32 v19, 0x3fb8aa3b, v7
	v_fma_f32 v25, v4, s5, -v18
	v_rndne_f32_e32 v26, v18
	v_fmac_f32_e32 v23, 0x32a5705f, v5
	v_sub_f32_e32 v13, v13, v24
	v_mul_f32_e32 v20, 0x3fb8aa3b, v6
	v_fma_f32 v27, v7, s5, -v19
	v_rndne_f32_e32 v28, v19
	v_fmac_f32_e32 v25, 0x32a5705f, v4
	v_sub_f32_e32 v18, v18, v26
	v_add_f32_e32 v13, v13, v23
	v_fma_f32 v29, v6, s5, -v20
	v_rndne_f32_e32 v30, v20
	v_cvt_i32_f32_e32 v24, v24
	v_fmac_f32_e32 v27, 0x32a5705f, v7
	v_sub_f32_e32 v19, v19, v28
	v_add_f32_e32 v18, v18, v25
	v_exp_f32_e32 v13, v13
	v_cvt_i32_f32_e32 v26, v26
	v_fmac_f32_e32 v29, 0x32a5705f, v6
	v_sub_f32_e32 v20, v20, v30
	v_add_f32_e32 v19, v19, v27
	v_exp_f32_e32 v18, v18
	v_cvt_i32_f32_e32 v28, v28
	v_add_f32_e32 v20, v20, v29
	v_exp_f32_e32 v19, v19
	v_cvt_i32_f32_e32 v30, v30
	v_exp_f32_e32 v20, v20
	v_ldexp_f32 v13, v13, v24
	v_cmp_ngt_f32_e32 vcc, s2, v5
	v_ldexp_f32 v18, v18, v26
	v_ldexp_f32 v19, v19, v28
	v_cndmask_b32_e32 v13, 0, v13, vcc
	v_cmp_ngt_f32_e32 vcc, s2, v4
	v_ldexp_f32 v20, v20, v30
	v_sub_f32_e32 v16, v12, v10
	v_cndmask_b32_e32 v18, 0, v18, vcc
	v_cmp_ngt_f32_e32 vcc, s2, v7
	v_sub_f32_e32 v15, v12, v11
	v_sub_f32_e32 v17, v12, v8
	v_cndmask_b32_e32 v19, 0, v19, vcc
	v_cmp_ngt_f32_e32 vcc, s2, v6
	v_sub_f32_e32 v12, v12, v9
	v_mul_f32_e32 v21, 0x3fb8aa3b, v12
	v_cndmask_b32_e32 v20, 0, v20, vcc
	v_cmp_nlt_f32_e32 vcc, s4, v5
	v_mul_f32_e32 v22, 0x3fb8aa3b, v17
	v_fma_f32 v31, v12, s5, -v21
	v_cndmask_b32_e32 v5, v14, v13, vcc
	v_cmp_nlt_f32_e32 vcc, s4, v4
	v_rndne_f32_e32 v32, v21
	v_fma_f32 v33, v17, s5, -v22
	v_cndmask_b32_e32 v4, v14, v18, vcc
	v_cmp_nlt_f32_e32 vcc, s4, v7
	v_cvt_f16_f32_e32 v13, v4
	v_cvt_f16_f32_e32 v18, v5
	v_cndmask_b32_e32 v7, v14, v19, vcc
	v_cmp_nlt_f32_e32 vcc, s4, v6
	v_rndne_f32_e32 v34, v22
	v_fmac_f32_e32 v31, 0x32a5705f, v12
	v_cndmask_b32_e32 v6, v14, v20, vcc
	v_cvt_f16_f32_e32 v19, v6
	v_sub_f32_e32 v21, v21, v32
	v_fmac_f32_e32 v33, 0x32a5705f, v17
	v_sub_f32_e32 v22, v22, v34
	v_add_f32_e32 v21, v21, v31
	v_cvt_i32_f32_e32 v32, v32
	v_exp_f32_e32 v21, v21
	v_pk_mul_f16 v115, v13, v115 op_sel_hi:[0,1]
	v_pk_mul_f16 v116, v13, v116 op_sel_hi:[0,1]
	v_add_f32_e32 v13, v22, v33
	v_pk_mul_f16 v113, v18, v113 op_sel_hi:[0,1]
	v_pk_mul_f16 v114, v18, v114 op_sel_hi:[0,1]
	;; [unrolled: 1-line block ×4, first 2 shown]
	v_exp_f32_e32 v18, v13
	v_cvt_i32_f32_e32 v19, v34
	v_cvt_f16_f32_e32 v20, v7
	v_ldexp_f32 v21, v21, v32
	v_cmp_ngt_f32_e32 vcc, s2, v12
	v_pk_mul_f16 v108, v20, v108 op_sel_hi:[0,1]
	s_nop 0
	v_cndmask_b32_e32 v13, 0, v21, vcc
	v_cmp_nlt_f32_e32 vcc, s4, v12
	v_ldexp_f32 v12, v18, v19
	v_mul_f32_e32 v18, 0x3fb8aa3b, v15
	v_pk_mul_f16 v109, v20, v109 op_sel_hi:[0,1]
	v_fma_f32 v19, v15, s5, -v18
	v_rndne_f32_e32 v20, v18
	v_fmac_f32_e32 v19, 0x32a5705f, v15
	v_sub_f32_e32 v18, v18, v20
	v_add_f32_e32 v18, v18, v19
	v_exp_f32_e32 v18, v18
	v_cvt_i32_f32_e32 v19, v20
	v_cndmask_b32_e32 v13, v14, v13, vcc
	v_cmp_ngt_f32_e32 vcc, s2, v17
	s_nop 1
	v_cndmask_b32_e32 v12, 0, v12, vcc
	v_cmp_nlt_f32_e32 vcc, s4, v17
	v_ldexp_f32 v17, v18, v19
	v_mul_f32_e32 v18, 0x3fb8aa3b, v16
	v_fma_f32 v19, v16, s5, -v18
	v_rndne_f32_e32 v20, v18
	v_fmac_f32_e32 v19, 0x32a5705f, v16
	v_sub_f32_e32 v18, v18, v20
	v_add_f32_e32 v18, v18, v19
	v_exp_f32_e32 v18, v18
	v_cvt_i32_f32_e32 v19, v20
	v_cndmask_b32_e32 v12, v14, v12, vcc
	v_cmp_ngt_f32_e32 vcc, s2, v15
	v_pk_fma_f32 v[2:3], v[2:3], v[4:5], v[12:13]
	s_nop 0
	v_cndmask_b32_e32 v17, 0, v17, vcc
	v_cmp_nlt_f32_e32 vcc, s4, v15
	s_nop 1
	v_cndmask_b32_e32 v15, v14, v17, vcc
	v_ldexp_f32 v17, v18, v19
	v_cmp_ngt_f32_e32 vcc, s2, v16
	s_nop 1
	v_cndmask_b32_e32 v17, 0, v17, vcc
	v_cmp_nlt_f32_e32 vcc, s4, v16
	s_nop 1
	v_cndmask_b32_e32 v14, v14, v17, vcc
	v_pk_fma_f32 v[0:1], v[0:1], v[6:7], v[14:15]
	v_mov_b64_e32 v[4:5], v[8:9]
	v_mov_b64_e32 v[6:7], v[10:11]
.LBB56_85:
	v_cmp_gt_i32_e32 vcc, s30, v107
	s_and_saveexec_b64 s[4:5], vcc
	s_cbranch_execz .LBB56_113
; %bb.86:
	s_load_dword s2, s[0:1], 0xd4
	v_mov_b32_e32 v10, 1.0
	s_waitcnt lgkmcnt(0)
	s_cmp_lg_u32 s2, 1
	s_cselect_b64 s[0:1], -1, 0
	s_cmp_eq_u32 s2, 1
	s_cselect_b64 s[6:7], -1, 0
	s_and_b64 vcc, exec, s[0:1]
	s_cbranch_vccnz .LBB56_88
; %bb.87:
	v_div_scale_f32 v8, s[4:5], v2, v2, 1.0
	v_rcp_f32_e32 v9, v8
	v_div_scale_f32 v10, vcc, 1.0, v2, 1.0
	v_fma_f32 v11, -v8, v9, 1.0
	v_fmac_f32_e32 v9, v11, v9
	v_mul_f32_e32 v11, v10, v9
	v_fma_f32 v12, -v8, v11, v10
	v_fmac_f32_e32 v11, v12, v9
	v_fma_f32 v8, -v8, v11, v10
	v_div_fmas_f32 v8, v8, v9, v11
	v_div_fixup_f32 v10, v8, v2, 1.0
.LBB56_88:
	s_mul_i32 s8, s33, s30
	s_add_i32 s8, s8, s55
	v_add_u32_e32 v8, s8, v106
	v_mul_lo_u32 v8, v8, s31
	v_add_u32_e32 v8, s34, v8
	v_mul_lo_u32 v8, s2, v8
	v_add_u32_e32 v8, s3, v8
	s_and_saveexec_b64 s[4:5], s[26:27]
	s_cbranch_execz .LBB56_90
; %bb.89:
	v_cvt_f32_f16_sdwa v15, v115 dst_sel:DWORD dst_unused:UNUSED_PAD src0_sel:WORD_1
	v_cvt_f32_f16_e32 v14, v115
	v_cvt_f32_f16_sdwa v17, v116 dst_sel:DWORD dst_unused:UNUSED_PAD src0_sel:WORD_1
	v_cvt_f32_f16_e32 v16, v116
	s_movk_i32 s9, 0x50
	v_mad_u64_u32 v[12:13], s[10:11], v8, s9, v[76:77]
	v_mov_b32_e32 v13, 0
	v_lshl_add_u64 v[18:19], v[12:13], 2, s[48:49]
	v_pk_mul_f32 v[12:13], v[10:11], v[14:15] op_sel_hi:[0,1]
	v_pk_mul_f32 v[14:15], v[10:11], v[16:17] op_sel_hi:[0,1]
	global_store_dwordx4 v[18:19], v[12:15], off
.LBB56_90:
	s_or_b64 exec, exec, s[4:5]
	v_cmp_eq_u32_e32 vcc, 0, v104
	s_and_b64 s[4:5], vcc, s[0:1]
	s_and_saveexec_b64 s[0:1], s[4:5]
	s_cbranch_execz .LBB56_92
; %bb.91:
	v_ashrrev_i32_e32 v9, 31, v8
	v_lshl_add_u64 v[8:9], v[8:9], 3, s[50:51]
	v_mov_b32_e32 v10, v4
	v_mov_b32_e32 v11, v2
	global_store_dwordx2 v[8:9], v[10:11], off
.LBB56_92:
	s_or_b64 exec, exec, s[0:1]
	v_cmp_gt_i32_e32 vcc, s30, v105
	s_and_b64 exec, exec, vcc
	s_cbranch_execz .LBB56_113
; %bb.93:
	v_cndmask_b32_e64 v2, 0, 1, s[6:7]
	v_cmp_ne_u32_e64 s[0:1], 1, v2
	s_andn2_b64 vcc, exec, s[6:7]
	v_mov_b32_e32 v2, 1.0
	s_cbranch_vccnz .LBB56_95
; %bb.94:
	v_div_scale_f32 v2, s[6:7], v3, v3, 1.0
	v_rcp_f32_e32 v4, v2
	v_div_scale_f32 v8, vcc, 1.0, v3, 1.0
	v_fma_f32 v9, -v2, v4, 1.0
	v_fmac_f32_e32 v4, v9, v4
	v_mul_f32_e32 v9, v8, v4
	v_fma_f32 v10, -v2, v9, v8
	v_fmac_f32_e32 v9, v10, v4
	v_fma_f32 v2, -v2, v9, v8
	v_div_fmas_f32 v2, v2, v4, v9
	v_div_fixup_f32 v2, v2, v3, 1.0
.LBB56_95:
	v_add_u32_e32 v4, s8, v103
	v_mul_lo_u32 v4, v4, s31
	v_add_u32_e32 v4, s34, v4
	v_mul_lo_u32 v4, s2, v4
	v_add_u32_e32 v8, s3, v4
	s_and_saveexec_b64 s[6:7], s[26:27]
	s_cbranch_execz .LBB56_97
; %bb.96:
	v_cvt_f32_f16_sdwa v13, v113 dst_sel:DWORD dst_unused:UNUSED_PAD src0_sel:WORD_1
	v_cvt_f32_f16_e32 v12, v113
	v_cvt_f32_f16_sdwa v15, v114 dst_sel:DWORD dst_unused:UNUSED_PAD src0_sel:WORD_1
	v_cvt_f32_f16_e32 v14, v114
	s_movk_i32 s9, 0x50
	v_mad_u64_u32 v[10:11], s[10:11], v8, s9, v[76:77]
	v_mov_b32_e32 v11, 0
	v_lshl_add_u64 v[16:17], v[10:11], 2, s[48:49]
	v_pk_mul_f32 v[10:11], v[2:3], v[12:13] op_sel_hi:[0,1]
	v_pk_mul_f32 v[12:13], v[2:3], v[14:15] op_sel_hi:[0,1]
	global_store_dwordx4 v[16:17], v[10:13], off
.LBB56_97:
	s_or_b64 exec, exec, s[6:7]
	s_and_saveexec_b64 s[6:7], s[4:5]
	s_cbranch_execz .LBB56_99
; %bb.98:
	v_ashrrev_i32_e32 v9, 31, v8
	v_lshl_add_u64 v[8:9], v[8:9], 3, s[50:51]
	v_mov_b32_e32 v2, v5
	global_store_dwordx2 v[8:9], v[2:3], off
.LBB56_99:
	s_or_b64 exec, exec, s[6:7]
	v_add_u32_e32 v2, s55, v102
	v_cmp_gt_i32_e32 vcc, s30, v2
	s_and_b64 exec, exec, vcc
	s_cbranch_execz .LBB56_113
; %bb.100:
	s_and_b64 vcc, exec, s[0:1]
	v_mov_b32_e32 v4, 1.0
	s_cbranch_vccnz .LBB56_102
; %bb.101:
	v_div_scale_f32 v2, s[6:7], v0, v0, 1.0
	v_rcp_f32_e32 v3, v2
	v_div_scale_f32 v4, vcc, 1.0, v0, 1.0
	v_fma_f32 v5, -v2, v3, 1.0
	v_fmac_f32_e32 v3, v5, v3
	v_mul_f32_e32 v5, v4, v3
	v_fma_f32 v8, -v2, v5, v4
	v_fmac_f32_e32 v5, v8, v3
	v_fma_f32 v2, -v2, v5, v4
	v_div_fmas_f32 v2, v2, v3, v5
	v_div_fixup_f32 v4, v2, v0, 1.0
.LBB56_102:
	v_add_u32_e32 v2, s8, v102
	v_mul_lo_u32 v2, v2, s31
	v_add_u32_e32 v2, s34, v2
	v_mul_lo_u32 v2, s2, v2
	v_add_u32_e32 v2, s3, v2
	s_and_saveexec_b64 s[6:7], s[26:27]
	s_cbranch_execz .LBB56_104
; %bb.103:
	v_cvt_f32_f16_sdwa v11, v110 dst_sel:DWORD dst_unused:UNUSED_PAD src0_sel:WORD_1
	v_cvt_f32_f16_e32 v10, v110
	v_cvt_f32_f16_sdwa v13, v111 dst_sel:DWORD dst_unused:UNUSED_PAD src0_sel:WORD_1
	v_cvt_f32_f16_e32 v12, v111
	s_movk_i32 s9, 0x50
	v_mad_u64_u32 v[8:9], s[10:11], v2, s9, v[76:77]
	v_mov_b32_e32 v9, 0
	v_lshl_add_u64 v[14:15], v[8:9], 2, s[48:49]
	v_pk_mul_f32 v[8:9], v[4:5], v[10:11] op_sel_hi:[0,1]
	v_pk_mul_f32 v[10:11], v[4:5], v[12:13] op_sel_hi:[0,1]
	global_store_dwordx4 v[14:15], v[8:11], off
.LBB56_104:
	s_or_b64 exec, exec, s[6:7]
	s_and_saveexec_b64 s[6:7], s[4:5]
	s_cbranch_execz .LBB56_106
; %bb.105:
	v_ashrrev_i32_e32 v3, 31, v2
	v_lshl_add_u64 v[2:3], v[2:3], 3, s[50:51]
	v_mov_b32_e32 v4, v6
	v_mov_b32_e32 v5, v0
	global_store_dwordx2 v[2:3], v[4:5], off
.LBB56_106:
	s_or_b64 exec, exec, s[6:7]
	v_add_u32_e32 v0, s55, v77
	v_cmp_gt_i32_e32 vcc, s30, v0
	s_and_b64 exec, exec, vcc
	s_cbranch_execz .LBB56_113
; %bb.107:
	s_and_b64 vcc, exec, s[0:1]
	v_mov_b32_e32 v0, 1.0
	s_cbranch_vccnz .LBB56_109
; %bb.108:
	v_div_scale_f32 v0, s[0:1], v1, v1, 1.0
	v_rcp_f32_e32 v2, v0
	v_div_scale_f32 v3, vcc, 1.0, v1, 1.0
	v_fma_f32 v4, -v0, v2, 1.0
	v_fmac_f32_e32 v2, v4, v2
	v_mul_f32_e32 v4, v3, v2
	v_fma_f32 v5, -v0, v4, v3
	v_fmac_f32_e32 v4, v5, v2
	v_fma_f32 v0, -v0, v4, v3
	v_div_fmas_f32 v0, v0, v2, v4
	v_div_fixup_f32 v0, v0, v1, 1.0
.LBB56_109:
	v_add_u32_e32 v2, s8, v77
	v_mul_lo_u32 v2, v2, s31
	v_add_u32_e32 v2, s34, v2
	v_mul_lo_u32 v2, s2, v2
	v_add_u32_e32 v2, s3, v2
	s_and_saveexec_b64 s[0:1], s[26:27]
	s_cbranch_execz .LBB56_111
; %bb.110:
	v_cvt_f32_f16_sdwa v9, v108 dst_sel:DWORD dst_unused:UNUSED_PAD src0_sel:WORD_1
	v_cvt_f32_f16_e32 v8, v108
	v_cvt_f32_f16_sdwa v11, v109 dst_sel:DWORD dst_unused:UNUSED_PAD src0_sel:WORD_1
	v_cvt_f32_f16_e32 v10, v109
	s_movk_i32 s2, 0x50
	v_mad_u64_u32 v[4:5], s[2:3], v2, s2, v[76:77]
	v_mov_b32_e32 v5, 0
	v_lshl_add_u64 v[4:5], v[4:5], 2, s[48:49]
	v_pk_mul_f32 v[8:9], v[0:1], v[8:9] op_sel_hi:[0,1]
	v_pk_mul_f32 v[10:11], v[0:1], v[10:11] op_sel_hi:[0,1]
	global_store_dwordx4 v[4:5], v[8:11], off
.LBB56_111:
	s_or_b64 exec, exec, s[0:1]
	s_and_b64 exec, exec, s[4:5]
	s_cbranch_execz .LBB56_113
; %bb.112:
	v_ashrrev_i32_e32 v3, 31, v2
	v_lshl_add_u64 v[2:3], v[2:3], 3, s[50:51]
	v_mov_b32_e32 v0, v7
	global_store_dwordx2 v[2:3], v[0:1], off
.LBB56_113:
	s_endpgm
	.section	.rodata,"a",@progbits
	.p2align	6, 0x0
	.amdhsa_kernel _ZL15flash_attn_tileILi80ELi80ELi32ELi1ELb0EEvPKcS1_S1_S1_S1_PKiPfP15HIP_vector_typeIfLj2EEffffjfiS5_IjLj3EEiiiiiiiiiiiliiliiiiil
		.amdhsa_group_segment_fixed_size 10432
		.amdhsa_private_segment_fixed_size 32
		.amdhsa_kernarg_size 464
		.amdhsa_user_sgpr_count 2
		.amdhsa_user_sgpr_dispatch_ptr 0
		.amdhsa_user_sgpr_queue_ptr 0
		.amdhsa_user_sgpr_kernarg_segment_ptr 1
		.amdhsa_user_sgpr_dispatch_id 0
		.amdhsa_user_sgpr_kernarg_preload_length 0
		.amdhsa_user_sgpr_kernarg_preload_offset 0
		.amdhsa_user_sgpr_private_segment_size 0
		.amdhsa_uses_dynamic_stack 0
		.amdhsa_enable_private_segment 1
		.amdhsa_system_sgpr_workgroup_id_x 1
		.amdhsa_system_sgpr_workgroup_id_y 1
		.amdhsa_system_sgpr_workgroup_id_z 1
		.amdhsa_system_sgpr_workgroup_info 0
		.amdhsa_system_vgpr_workitem_id 1
		.amdhsa_next_free_vgpr 142
		.amdhsa_next_free_sgpr 65
		.amdhsa_accum_offset 144
		.amdhsa_reserve_vcc 1
		.amdhsa_float_round_mode_32 0
		.amdhsa_float_round_mode_16_64 0
		.amdhsa_float_denorm_mode_32 3
		.amdhsa_float_denorm_mode_16_64 3
		.amdhsa_dx10_clamp 1
		.amdhsa_ieee_mode 1
		.amdhsa_fp16_overflow 0
		.amdhsa_tg_split 0
		.amdhsa_exception_fp_ieee_invalid_op 0
		.amdhsa_exception_fp_denorm_src 0
		.amdhsa_exception_fp_ieee_div_zero 0
		.amdhsa_exception_fp_ieee_overflow 0
		.amdhsa_exception_fp_ieee_underflow 0
		.amdhsa_exception_fp_ieee_inexact 0
		.amdhsa_exception_int_div_zero 0
	.end_amdhsa_kernel
	.section	.text._ZL15flash_attn_tileILi80ELi80ELi32ELi1ELb0EEvPKcS1_S1_S1_S1_PKiPfP15HIP_vector_typeIfLj2EEffffjfiS5_IjLj3EEiiiiiiiiiiiliiliiiiil,"axG",@progbits,_ZL15flash_attn_tileILi80ELi80ELi32ELi1ELb0EEvPKcS1_S1_S1_S1_PKiPfP15HIP_vector_typeIfLj2EEffffjfiS5_IjLj3EEiiiiiiiiiiiliiliiiiil,comdat
.Lfunc_end56:
	.size	_ZL15flash_attn_tileILi80ELi80ELi32ELi1ELb0EEvPKcS1_S1_S1_S1_PKiPfP15HIP_vector_typeIfLj2EEffffjfiS5_IjLj3EEiiiiiiiiiiiliiliiiiil, .Lfunc_end56-_ZL15flash_attn_tileILi80ELi80ELi32ELi1ELb0EEvPKcS1_S1_S1_S1_PKiPfP15HIP_vector_typeIfLj2EEffffjfiS5_IjLj3EEiiiiiiiiiiiliiliiiiil
                                        ; -- End function
	.section	.AMDGPU.csdata,"",@progbits
; Kernel info:
; codeLenInByte = 20252
; NumSgprs: 71
; NumVgprs: 142
; NumAgprs: 0
; TotalNumVgprs: 142
; ScratchSize: 32
; MemoryBound: 0
; FloatMode: 240
; IeeeMode: 1
; LDSByteSize: 10432 bytes/workgroup (compile time only)
; SGPRBlocks: 8
; VGPRBlocks: 17
; NumSGPRsForWavesPerEU: 71
; NumVGPRsForWavesPerEU: 142
; AccumOffset: 144
; Occupancy: 3
; WaveLimiterHint : 1
; COMPUTE_PGM_RSRC2:SCRATCH_EN: 1
; COMPUTE_PGM_RSRC2:USER_SGPR: 2
; COMPUTE_PGM_RSRC2:TRAP_HANDLER: 0
; COMPUTE_PGM_RSRC2:TGID_X_EN: 1
; COMPUTE_PGM_RSRC2:TGID_Y_EN: 1
; COMPUTE_PGM_RSRC2:TGID_Z_EN: 1
; COMPUTE_PGM_RSRC2:TIDIG_COMP_CNT: 1
; COMPUTE_PGM_RSRC3_GFX90A:ACCUM_OFFSET: 35
; COMPUTE_PGM_RSRC3_GFX90A:TG_SPLIT: 0
	.section	.text._ZL33flash_attn_stream_k_fixup_uniformILi80ELi32ELi1EEvPfPK15HIP_vector_typeIfLj2EEiiiiiiS1_IjLj3EES5_S5_,"axG",@progbits,_ZL33flash_attn_stream_k_fixup_uniformILi80ELi32ELi1EEvPfPK15HIP_vector_typeIfLj2EEiiiiiiS1_IjLj3EES5_S5_,comdat
	.globl	_ZL33flash_attn_stream_k_fixup_uniformILi80ELi32ELi1EEvPfPK15HIP_vector_typeIfLj2EEiiiiiiS1_IjLj3EES5_S5_ ; -- Begin function _ZL33flash_attn_stream_k_fixup_uniformILi80ELi32ELi1EEvPfPK15HIP_vector_typeIfLj2EEiiiiiiS1_IjLj3EES5_S5_
	.p2align	8
	.type	_ZL33flash_attn_stream_k_fixup_uniformILi80ELi32ELi1EEvPfPK15HIP_vector_typeIfLj2EEiiiiiiS1_IjLj3EES5_S5_,@function
_ZL33flash_attn_stream_k_fixup_uniformILi80ELi32ELi1EEvPfPK15HIP_vector_typeIfLj2EEiiiiiiS1_IjLj3EES5_S5_: ; @_ZL33flash_attn_stream_k_fixup_uniformILi80ELi32ELi1EEvPfPK15HIP_vector_typeIfLj2EEiiiiiiS1_IjLj3EES5_S5_
; %bb.0:
	s_load_dwordx8 s[8:15], s[0:1], 0x1c
	s_load_dwordx2 s[6:7], s[0:1], 0x10
	s_load_dwordx4 s[16:19], s[0:1], 0x3c
	s_waitcnt lgkmcnt(0)
	s_mul_hi_u32 s5, s11, s2
	s_add_i32 s5, s2, s5
	s_lshr_b32 s5, s5, s12
	s_mul_i32 s11, s5, s13
	s_sub_i32 s12, s2, s11
	s_mul_hi_u32 s11, s12, s14
	s_add_i32 s11, s12, s11
	s_lshr_b32 s11, s11, s15
	s_mul_i32 s13, s11, s16
	s_sub_i32 s12, s12, s13
	;; [unrolled: 5-line block ×3, first 2 shown]
	s_lshl_b32 s12, s17, 5
	s_add_i32 s12, s12, s3
	s_cmp_lt_i32 s12, s6
	s_cselect_b64 s[12:13], -1, 0
	s_add_i32 s16, s16, s4
	s_cmp_lt_i32 s16, s9
	s_cselect_b64 s[14:15], -1, 0
	s_and_b64 s[12:13], s[12:13], s[14:15]
	s_andn2_b64 vcc, exec, s[12:13]
	s_cbranch_vccnz .LBB57_6
; %bb.1:
	s_load_dwordx4 s[12:15], s[0:1], 0x0
	s_mul_i32 s0, s5, s6
	s_mul_i32 s11, s11, s9
	s_add_i32 s0, s0, s3
	s_mul_i32 s0, s0, s7
	s_add_i32 s5, s16, s11
	;; [unrolled: 2-line block ×3, first 2 shown]
	s_mulk_i32 s1, 0xa00
	s_mulk_i32 s0, 0x50
	s_add_i32 s0, s0, s1
	v_add_u32_e32 v4, s0, v0
	s_waitcnt lgkmcnt(0)
	v_mov_b32_e32 v2, s12
	v_mov_b32_e32 v3, s13
	v_ashrrev_i32_e32 v5, 31, v4
	v_lshl_add_u64 v[2:3], v[4:5], 2, v[2:3]
	global_load_dword v7, v[2:3], off
	s_mul_i32 s6, s2, s10
	s_add_i32 s7, s6, s10
	s_add_i32 s3, s3, s4
	s_lshl_b32 s0, s7, 5
	s_add_i32 s0, s3, s0
	s_sub_i32 s0, s0, 32
	s_ashr_i32 s1, s0, 31
	s_lshl_b64 s[0:1], s[0:1], 3
	s_add_u32 s0, s14, s0
	s_addc_u32 s1, s15, s1
	s_load_dword s9, s[0:1], 0x4
	s_add_i32 s4, s7, -2
	s_cmp_lt_i32 s4, s6
	s_cbranch_scc1 .LBB57_4
; %bb.2:
	s_lshl_b32 s4, s8, 7
	s_ashr_i32 s5, s4, 31
	s_lshl_b64 s[4:5], s[4:5], 2
	s_add_u32 s4, s14, s4
	s_addc_u32 s5, s15, s5
	s_load_dword s0, s[0:1], 0x0
	s_add_i32 s2, s2, 1
	s_mul_i32 s10, s10, s2
	s_mul_i32 s1, s3, 0x50
	s_lshl_b32 s2, s10, 5
	s_mulk_i32 s10, 0xa00
	s_add_i32 s2, s3, s2
	s_lshl_b32 s3, s8, 5
	s_add_i32 s1, s1, s10
	s_add_i32 s2, s2, s3
	v_add_u32_e32 v0, s1, v0
	s_add_i32 s7, s7, -1
	s_sub_i32 s2, s2, 64
	v_add_u32_e32 v0, 0xffffec00, v0
	s_waitcnt lgkmcnt(0)
	v_mov_b32_e32 v6, s9
	v_mov_b32_e32 v5, s0
	s_mov_b32 s8, 0x3fb8aa3b
	s_mov_b32 s9, 0xc2ce8ed0
	;; [unrolled: 1-line block ×3, first 2 shown]
	v_mov_b32_e32 v4, 0x7f800000
	s_mov_b32 s11, 0xc1a00000
.LBB57_3:                               ; =>This Inner Loop Header: Depth=1
	v_ashrrev_i32_e32 v1, 31, v0
	v_lshl_add_u64 v[8:9], v[0:1], 2, s[4:5]
	global_load_dword v1, v[8:9], off
	s_ashr_i32 s3, s2, 31
	s_lshl_b64 s[0:1], s[2:3], 3
	s_add_u32 s0, s14, s0
	s_addc_u32 s1, s15, s1
	s_load_dwordx2 s[12:13], s[0:1], 0x0
	s_waitcnt vmcnt(1)
	v_mov_b32_e32 v8, v7
	v_max_f32_e32 v7, v5, v5
	v_mov_b32_e32 v9, v6
	s_add_i32 s7, s7, -1
	s_waitcnt lgkmcnt(0)
	v_max_f32_e64 v6, s12, s12
	v_max_f32_e32 v6, v7, v6
	v_sub_f32_e32 v10, s12, v6
	v_sub_f32_e32 v7, v5, v6
	v_mul_f32_e32 v11, 0x3fb8aa3b, v10
	v_mov_b32_e32 v5, v6
	v_mul_f32_e32 v6, 0x3fb8aa3b, v7
	v_fma_f32 v14, v10, s8, -v11
	v_rndne_f32_e32 v15, v11
	v_fma_f32 v12, v7, s8, -v6
	v_rndne_f32_e32 v13, v6
	v_fmac_f32_e32 v14, 0x32a5705f, v10
	v_sub_f32_e32 v11, v11, v15
	v_fmac_f32_e32 v12, 0x32a5705f, v7
	v_sub_f32_e32 v6, v6, v13
	v_add_f32_e32 v11, v11, v14
	v_cvt_i32_f32_e32 v15, v15
	v_add_f32_e32 v6, v6, v12
	v_exp_f32_e32 v11, v11
	v_cvt_i32_f32_e32 v13, v13
	v_exp_f32_e32 v6, v6
	v_cmp_ngt_f32_e32 vcc, s9, v10
	v_ldexp_f32 v11, v11, v15
	v_cmp_ngt_f32_e64 s[0:1], s9, v7
	v_ldexp_f32 v6, v6, v13
	v_cndmask_b32_e32 v11, 0, v11, vcc
	v_cmp_nlt_f32_e32 vcc, s10, v10
	v_cndmask_b32_e64 v6, 0, v6, s[0:1]
	v_cmp_nlt_f32_e64 s[0:1], s10, v7
	v_cndmask_b32_e32 v11, v4, v11, vcc
	v_cmp_le_f32_e32 vcc, s11, v10
	v_cndmask_b32_e64 v6, v4, v6, s[0:1]
	v_cmp_le_f32_e64 s[0:1], s11, v7
	v_cndmask_b32_e32 v7, 0, v11, vcc
	s_sub_i32 s2, s2, 32
	v_cndmask_b32_e64 v10, 0, v6, s[0:1]
	v_mul_f32_e32 v6, s13, v7
	v_add_u32_e32 v0, 0xfffff600, v0
	s_cmp_le_i32 s7, s6
	v_fmac_f32_e32 v6, v9, v10
	s_waitcnt vmcnt(0)
	v_mul_f32_e32 v7, v1, v7
	v_fmac_f32_e32 v7, v8, v10
	s_cbranch_scc0 .LBB57_3
	s_branch .LBB57_5
.LBB57_4:
	s_waitcnt lgkmcnt(0)
	v_mov_b32_e32 v6, s9
.LBB57_5:
	s_waitcnt vmcnt(0)
	v_div_scale_f32 v0, s[0:1], v6, v6, v7
	v_rcp_f32_e32 v1, v0
	v_div_scale_f32 v4, vcc, v7, v6, v7
	v_fma_f32 v5, -v0, v1, 1.0
	v_fmac_f32_e32 v1, v5, v1
	v_mul_f32_e32 v5, v4, v1
	v_fma_f32 v8, -v0, v5, v4
	v_fmac_f32_e32 v5, v8, v1
	v_fma_f32 v0, -v0, v5, v4
	v_div_fmas_f32 v0, v0, v1, v5
	v_div_fixup_f32 v0, v0, v6, v7
	global_store_dword v[2:3], v0, off
.LBB57_6:
	s_endpgm
	.section	.rodata,"a",@progbits
	.p2align	6, 0x0
	.amdhsa_kernel _ZL33flash_attn_stream_k_fixup_uniformILi80ELi32ELi1EEvPfPK15HIP_vector_typeIfLj2EEiiiiiiS1_IjLj3EES5_S5_
		.amdhsa_group_segment_fixed_size 0
		.amdhsa_private_segment_fixed_size 0
		.amdhsa_kernarg_size 76
		.amdhsa_user_sgpr_count 2
		.amdhsa_user_sgpr_dispatch_ptr 0
		.amdhsa_user_sgpr_queue_ptr 0
		.amdhsa_user_sgpr_kernarg_segment_ptr 1
		.amdhsa_user_sgpr_dispatch_id 0
		.amdhsa_user_sgpr_kernarg_preload_length 0
		.amdhsa_user_sgpr_kernarg_preload_offset 0
		.amdhsa_user_sgpr_private_segment_size 0
		.amdhsa_uses_dynamic_stack 0
		.amdhsa_enable_private_segment 0
		.amdhsa_system_sgpr_workgroup_id_x 1
		.amdhsa_system_sgpr_workgroup_id_y 1
		.amdhsa_system_sgpr_workgroup_id_z 1
		.amdhsa_system_sgpr_workgroup_info 0
		.amdhsa_system_vgpr_workitem_id 0
		.amdhsa_next_free_vgpr 16
		.amdhsa_next_free_sgpr 20
		.amdhsa_accum_offset 16
		.amdhsa_reserve_vcc 1
		.amdhsa_float_round_mode_32 0
		.amdhsa_float_round_mode_16_64 0
		.amdhsa_float_denorm_mode_32 3
		.amdhsa_float_denorm_mode_16_64 3
		.amdhsa_dx10_clamp 1
		.amdhsa_ieee_mode 1
		.amdhsa_fp16_overflow 0
		.amdhsa_tg_split 0
		.amdhsa_exception_fp_ieee_invalid_op 0
		.amdhsa_exception_fp_denorm_src 0
		.amdhsa_exception_fp_ieee_div_zero 0
		.amdhsa_exception_fp_ieee_overflow 0
		.amdhsa_exception_fp_ieee_underflow 0
		.amdhsa_exception_fp_ieee_inexact 0
		.amdhsa_exception_int_div_zero 0
	.end_amdhsa_kernel
	.section	.text._ZL33flash_attn_stream_k_fixup_uniformILi80ELi32ELi1EEvPfPK15HIP_vector_typeIfLj2EEiiiiiiS1_IjLj3EES5_S5_,"axG",@progbits,_ZL33flash_attn_stream_k_fixup_uniformILi80ELi32ELi1EEvPfPK15HIP_vector_typeIfLj2EEiiiiiiS1_IjLj3EES5_S5_,comdat
.Lfunc_end57:
	.size	_ZL33flash_attn_stream_k_fixup_uniformILi80ELi32ELi1EEvPfPK15HIP_vector_typeIfLj2EEiiiiiiS1_IjLj3EES5_S5_, .Lfunc_end57-_ZL33flash_attn_stream_k_fixup_uniformILi80ELi32ELi1EEvPfPK15HIP_vector_typeIfLj2EEiiiiiiS1_IjLj3EES5_S5_
                                        ; -- End function
	.section	.AMDGPU.csdata,"",@progbits
; Kernel info:
; codeLenInByte = 820
; NumSgprs: 26
; NumVgprs: 16
; NumAgprs: 0
; TotalNumVgprs: 16
; ScratchSize: 0
; MemoryBound: 0
; FloatMode: 240
; IeeeMode: 1
; LDSByteSize: 0 bytes/workgroup (compile time only)
; SGPRBlocks: 3
; VGPRBlocks: 1
; NumSGPRsForWavesPerEU: 26
; NumVGPRsForWavesPerEU: 16
; AccumOffset: 16
; Occupancy: 8
; WaveLimiterHint : 0
; COMPUTE_PGM_RSRC2:SCRATCH_EN: 0
; COMPUTE_PGM_RSRC2:USER_SGPR: 2
; COMPUTE_PGM_RSRC2:TRAP_HANDLER: 0
; COMPUTE_PGM_RSRC2:TGID_X_EN: 1
; COMPUTE_PGM_RSRC2:TGID_Y_EN: 1
; COMPUTE_PGM_RSRC2:TGID_Z_EN: 1
; COMPUTE_PGM_RSRC2:TIDIG_COMP_CNT: 0
; COMPUTE_PGM_RSRC3_GFX90A:ACCUM_OFFSET: 3
; COMPUTE_PGM_RSRC3_GFX90A:TG_SPLIT: 0
	.section	.text._ZL33flash_attn_stream_k_fixup_generalILi80ELi32ELi1EEvPfPK15HIP_vector_typeIfLj2EEiiiiS1_IjLj3EES5_S5_S5_,"axG",@progbits,_ZL33flash_attn_stream_k_fixup_generalILi80ELi32ELi1EEvPfPK15HIP_vector_typeIfLj2EEiiiiS1_IjLj3EES5_S5_S5_,comdat
	.globl	_ZL33flash_attn_stream_k_fixup_generalILi80ELi32ELi1EEvPfPK15HIP_vector_typeIfLj2EEiiiiS1_IjLj3EES5_S5_S5_ ; -- Begin function _ZL33flash_attn_stream_k_fixup_generalILi80ELi32ELi1EEvPfPK15HIP_vector_typeIfLj2EEiiiiS1_IjLj3EES5_S5_S5_
	.p2align	8
	.type	_ZL33flash_attn_stream_k_fixup_generalILi80ELi32ELi1EEvPfPK15HIP_vector_typeIfLj2EEiiiiS1_IjLj3EES5_S5_S5_,@function
_ZL33flash_attn_stream_k_fixup_generalILi80ELi32ELi1EEvPfPK15HIP_vector_typeIfLj2EEiiiiS1_IjLj3EES5_S5_S5_: ; @_ZL33flash_attn_stream_k_fixup_generalILi80ELi32ELi1EEvPfPK15HIP_vector_typeIfLj2EEiiiiS1_IjLj3EES5_S5_S5_
; %bb.0:
	s_load_dwordx4 s[12:15], s[0:1], 0x10
	s_load_dword s22, s[0:1], 0x50
	s_mov_b32 s8, 0
	s_waitcnt lgkmcnt(0)
	s_mul_hi_i32 s9, s15, s2
	s_cmp_lg_u64 s[8:9], 0
	s_mul_i32 s5, s15, s2
	s_cbranch_scc0 .LBB58_21
; %bb.1:
	v_cvt_f32_u32_e32 v1, s22
	v_cvt_f32_ubyte0_e32 v2, 0
	s_sub_u32 s8, 0, s22
	s_subb_u32 s10, 0, 0
	v_fmamk_f32 v1, v2, 0x4f800000, v1
	v_rcp_f32_e32 v1, v1
	s_nop 0
	v_mul_f32_e32 v1, 0x5f7ffffc, v1
	v_mul_f32_e32 v2, 0x2f800000, v1
	v_trunc_f32_e32 v2, v2
	v_fmamk_f32 v1, v2, 0xcf800000, v1
	v_cvt_u32_f32_e32 v2, v2
	v_cvt_u32_f32_e32 v1, v1
	v_readfirstlane_b32 s11, v2
	v_readfirstlane_b32 s16, v1
	s_mul_i32 s17, s8, s11
	s_mul_hi_u32 s19, s8, s16
	s_mul_i32 s18, s10, s16
	s_add_i32 s17, s19, s17
	s_add_i32 s17, s17, s18
	s_mul_i32 s20, s8, s16
	s_mul_hi_u32 s18, s16, s17
	s_mul_i32 s19, s16, s17
	s_mul_hi_u32 s16, s16, s20
	s_add_u32 s16, s16, s19
	s_addc_u32 s18, 0, s18
	s_mul_hi_u32 s21, s11, s20
	s_mul_i32 s20, s11, s20
	s_add_u32 s16, s16, s20
	s_mul_hi_u32 s19, s11, s17
	s_addc_u32 s16, s18, s21
	s_addc_u32 s18, s19, 0
	s_mul_i32 s17, s11, s17
	s_add_u32 s16, s16, s17
	s_addc_u32 s17, 0, s18
	v_add_co_u32_e32 v1, vcc, s16, v1
	s_cmp_lg_u64 vcc, 0
	s_addc_u32 s11, s11, s17
	v_readfirstlane_b32 s17, v1
	s_mul_i32 s16, s8, s11
	s_mul_hi_u32 s18, s8, s17
	s_add_i32 s16, s18, s16
	s_mul_i32 s10, s10, s17
	s_add_i32 s16, s16, s10
	s_mul_i32 s8, s8, s17
	s_mul_hi_u32 s18, s11, s8
	s_mul_i32 s19, s11, s8
	s_mul_i32 s21, s17, s16
	s_mul_hi_u32 s8, s17, s8
	s_mul_hi_u32 s20, s17, s16
	s_add_u32 s8, s8, s21
	s_addc_u32 s17, 0, s20
	s_add_u32 s8, s8, s19
	s_mul_hi_u32 s10, s11, s16
	s_addc_u32 s8, s17, s18
	s_addc_u32 s10, s10, 0
	s_mul_i32 s16, s11, s16
	s_add_u32 s8, s8, s16
	s_addc_u32 s10, 0, s10
	v_add_co_u32_e32 v1, vcc, s8, v1
	s_cmp_lg_u64 vcc, 0
	s_addc_u32 s16, s11, s10
	s_ashr_i32 s10, s9, 31
	s_add_u32 s8, s5, s10
	s_mov_b32 s11, s10
	s_addc_u32 s9, s9, s10
	s_xor_b64 s[8:9], s[8:9], s[10:11]
	v_readfirstlane_b32 s19, v1
	s_mul_i32 s18, s8, s16
	s_mul_hi_u32 s20, s8, s19
	s_mul_hi_u32 s17, s8, s16
	s_add_u32 s18, s20, s18
	s_addc_u32 s17, 0, s17
	s_mul_hi_u32 s21, s9, s19
	s_mul_i32 s19, s9, s19
	s_add_u32 s18, s18, s19
	s_mul_hi_u32 s20, s9, s16
	s_addc_u32 s17, s17, s21
	s_addc_u32 s18, s20, 0
	s_mul_i32 s16, s9, s16
	s_add_u32 s16, s17, s16
	s_addc_u32 s17, 0, s18
	s_add_u32 s18, s16, 1
	s_addc_u32 s19, s17, 0
	s_add_u32 s20, s16, 2
	s_mul_i32 s23, s22, s17
	s_mul_hi_u32 s24, s22, s16
	s_addc_u32 s21, s17, 0
	s_add_i32 s24, s24, s23
	s_mul_i32 s23, s22, s16
	v_mov_b32_e32 v1, s23
	v_sub_co_u32_e32 v1, vcc, s8, v1
	s_cmp_lg_u64 vcc, 0
	s_subb_u32 s8, s9, s24
	v_subrev_co_u32_e32 v2, vcc, s22, v1
	s_cmp_lg_u64 vcc, 0
	s_subb_u32 s9, s8, 0
	v_readfirstlane_b32 s23, v2
	s_cmp_ge_u32 s23, s22
	s_cselect_b32 s23, -1, 0
	s_cmp_eq_u32 s9, 0
	s_cselect_b32 s9, s23, -1
	s_cmp_lg_u32 s9, 0
	s_cselect_b32 s9, s21, s19
	v_readfirstlane_b32 s19, v1
	s_cselect_b32 s18, s20, s18
	s_cmp_ge_u32 s19, s22
	s_cselect_b32 s19, -1, 0
	s_cmp_eq_u32 s8, 0
	s_cselect_b32 s8, s19, -1
	s_cmp_lg_u32 s8, 0
	s_cselect_b32 s9, s9, s17
	s_cselect_b32 s8, s18, s16
	s_xor_b64 s[8:9], s[8:9], s[10:11]
	s_sub_u32 s20, s8, s10
	s_load_dwordx4 s[16:19], s[0:1], 0x44
	s_cbranch_execnz .LBB58_3
.LBB58_2:
	v_cvt_f32_u32_e32 v1, s22
	s_sub_i32 s6, 0, s22
	v_rcp_iflag_f32_e32 v1, v1
	s_nop 0
	v_mul_f32_e32 v1, 0x4f7ffffe, v1
	v_cvt_u32_f32_e32 v1, v1
	s_nop 0
	v_readfirstlane_b32 s7, v1
	s_mul_i32 s6, s6, s7
	s_mul_hi_u32 s6, s7, s6
	s_add_i32 s7, s7, s6
	s_mul_hi_u32 s6, s5, s7
	s_mul_i32 s8, s6, s22
	s_sub_i32 s5, s5, s8
	s_add_i32 s7, s6, 1
	s_sub_i32 s8, s5, s22
	s_cmp_ge_u32 s5, s22
	s_cselect_b32 s6, s7, s6
	s_cselect_b32 s5, s8, s5
	s_add_i32 s7, s6, 1
	s_cmp_ge_u32 s5, s22
	s_cselect_b32 s20, s7, s6
.LBB58_3:
	s_add_i32 s5, s2, 1
	s_mul_hi_i32 s9, s15, s5
	s_mov_b32 s8, 0
	s_cmp_lg_u64 s[8:9], 0
	s_mul_i32 s5, s15, s5
	s_cbranch_scc0 .LBB58_22
; %bb.4:
	v_cvt_f32_u32_e32 v1, s22
	v_cvt_f32_ubyte0_e32 v2, 0
	s_sub_u32 s8, 0, s22
	s_subb_u32 s10, 0, 0
	v_fmamk_f32 v1, v2, 0x4f800000, v1
	v_rcp_f32_e32 v1, v1
	s_nop 0
	v_mul_f32_e32 v1, 0x5f7ffffc, v1
	v_mul_f32_e32 v2, 0x2f800000, v1
	v_trunc_f32_e32 v2, v2
	v_fmamk_f32 v1, v2, 0xcf800000, v1
	v_cvt_u32_f32_e32 v2, v2
	v_cvt_u32_f32_e32 v1, v1
	v_readfirstlane_b32 s11, v2
	s_waitcnt lgkmcnt(0)
	v_readfirstlane_b32 s19, v1
	s_mul_i32 s21, s8, s11
	s_mul_hi_u32 s24, s8, s19
	s_mul_i32 s23, s10, s19
	s_add_i32 s21, s24, s21
	s_add_i32 s21, s21, s23
	s_mul_i32 s25, s8, s19
	s_mul_hi_u32 s23, s19, s21
	s_mul_i32 s24, s19, s21
	s_mul_hi_u32 s19, s19, s25
	s_add_u32 s19, s19, s24
	s_addc_u32 s23, 0, s23
	s_mul_hi_u32 s26, s11, s25
	s_mul_i32 s25, s11, s25
	s_add_u32 s19, s19, s25
	s_mul_hi_u32 s24, s11, s21
	s_addc_u32 s19, s23, s26
	s_addc_u32 s23, s24, 0
	s_mul_i32 s21, s11, s21
	s_add_u32 s19, s19, s21
	s_addc_u32 s21, 0, s23
	v_add_co_u32_e32 v1, vcc, s19, v1
	s_cmp_lg_u64 vcc, 0
	s_addc_u32 s11, s11, s21
	v_readfirstlane_b32 s21, v1
	s_mul_i32 s19, s8, s11
	s_mul_hi_u32 s23, s8, s21
	s_add_i32 s19, s23, s19
	s_mul_i32 s10, s10, s21
	s_add_i32 s19, s19, s10
	s_mul_i32 s8, s8, s21
	s_mul_hi_u32 s23, s11, s8
	s_mul_i32 s24, s11, s8
	s_mul_i32 s26, s21, s19
	s_mul_hi_u32 s8, s21, s8
	s_mul_hi_u32 s25, s21, s19
	s_add_u32 s8, s8, s26
	s_addc_u32 s21, 0, s25
	s_add_u32 s8, s8, s24
	s_mul_hi_u32 s10, s11, s19
	s_addc_u32 s8, s21, s23
	s_addc_u32 s10, s10, 0
	s_mul_i32 s19, s11, s19
	s_add_u32 s8, s8, s19
	s_addc_u32 s10, 0, s10
	v_add_co_u32_e32 v1, vcc, s8, v1
	s_cmp_lg_u64 vcc, 0
	s_addc_u32 s19, s11, s10
	s_ashr_i32 s10, s9, 31
	s_add_u32 s8, s5, s10
	s_mov_b32 s11, s10
	s_addc_u32 s9, s9, s10
	s_xor_b64 s[8:9], s[8:9], s[10:11]
	v_readfirstlane_b32 s23, v1
	s_mul_i32 s21, s8, s19
	s_mul_hi_u32 s24, s8, s23
	s_mul_hi_u32 s11, s8, s19
	s_add_u32 s21, s24, s21
	s_addc_u32 s11, 0, s11
	s_mul_hi_u32 s25, s9, s23
	s_mul_i32 s23, s9, s23
	s_add_u32 s21, s21, s23
	s_mul_hi_u32 s24, s9, s19
	s_addc_u32 s11, s11, s25
	s_addc_u32 s21, s24, 0
	s_mul_i32 s19, s9, s19
	s_add_u32 s11, s11, s19
	s_addc_u32 s19, 0, s21
	s_mul_i32 s19, s22, s19
	s_mul_hi_u32 s24, s22, s11
	s_add_i32 s24, s24, s19
	s_mul_i32 s19, s22, s11
	v_mov_b32_e32 v1, s19
	s_add_u32 s21, s11, 1
	s_add_u32 s23, s11, 2
	v_sub_co_u32_e32 v1, vcc, s8, v1
	s_cmp_lg_u64 vcc, 0
	s_subb_u32 s8, s9, s24
	v_subrev_co_u32_e32 v2, vcc, s22, v1
	s_cmp_lg_u64 vcc, 0
	s_subb_u32 s9, s8, 0
	v_cmp_le_u32_e32 vcc, s22, v2
	s_cmp_eq_u32 s9, 0
	v_mov_b32_e32 v3, s21
	v_cndmask_b32_e64 v2, 0, -1, vcc
	s_cselect_b64 vcc, -1, 0
	v_cndmask_b32_e32 v2, -1, v2, vcc
	v_mov_b32_e32 v4, s23
	v_cmp_ne_u32_e32 vcc, 0, v2
	s_cmp_eq_u32 s8, 0
	s_nop 0
	v_cndmask_b32_e32 v2, v3, v4, vcc
	v_cmp_le_u32_e32 vcc, s22, v1
	v_mov_b32_e32 v3, s11
	s_nop 0
	v_cndmask_b32_e64 v1, 0, -1, vcc
	s_cselect_b64 vcc, -1, 0
	v_cndmask_b32_e32 v1, -1, v1, vcc
	v_cmp_ne_u32_e32 vcc, 0, v1
	s_nop 1
	v_cndmask_b32_e32 v1, v3, v2, vcc
	v_xor_b32_e32 v1, s10, v1
	v_subrev_co_u32_e32 v2, vcc, s10, v1
	s_cbranch_execnz .LBB58_6
.LBB58_5:
	v_cvt_f32_u32_e32 v1, s22
	s_sub_i32 s6, 0, s22
	s_mov_b32 s7, 0
	v_rcp_iflag_f32_e32 v1, v1
	s_nop 0
	v_mul_f32_e32 v1, 0x4f7ffffe, v1
	v_cvt_u32_f32_e32 v1, v1
	s_nop 0
	v_readfirstlane_b32 s8, v1
	s_mul_i32 s6, s6, s8
	s_mul_hi_u32 s6, s8, s6
	s_add_i32 s8, s8, s6
	s_mul_hi_u32 s6, s5, s8
	s_mul_i32 s9, s6, s22
	s_sub_i32 s5, s5, s9
	s_add_i32 s8, s6, 1
	s_sub_i32 s9, s5, s22
	s_cmp_ge_u32 s5, s22
	s_cselect_b32 s6, s8, s6
	s_cselect_b32 s5, s9, s5
	s_add_i32 s8, s6, 1
	s_cmp_ge_u32 s5, s22
	s_cselect_b32 s6, s8, s6
	v_mov_b64_e32 v[2:3], s[6:7]
.LBB58_6:
	s_waitcnt lgkmcnt(0)
	s_mul_hi_u32 s5, s20, s16
	s_add_i32 s5, s5, s20
	v_mul_hi_u32 v1, v2, s16
	s_lshr_b32 s19, s5, s17
	v_add_u32_e32 v1, v1, v2
	s_mul_i32 s5, s19, s18
	v_lshrrev_b32_e32 v1, s17, v1
	s_cmp_eq_u32 s5, s20
	v_cmp_eq_u32_e64 s[6:7], s19, v1
	v_mul_lo_u32 v1, v1, s18
	v_cmp_eq_u32_e32 vcc, s20, v2
	s_cselect_b64 s[10:11], -1, 0
	v_cmp_ne_u32_e64 s[8:9], v1, v2
	s_and_b64 s[6:7], s[6:7], s[8:9]
	s_or_b64 s[8:9], vcc, s[10:11]
	s_or_b64 s[6:7], s[8:9], s[6:7]
	s_and_b64 vcc, exec, s[6:7]
	s_cbranch_vccnz .LBB58_24
; %bb.7:
	s_load_dwordx8 s[24:31], s[0:1], 0x20
	s_load_dword s5, s[0:1], 0x40
	s_waitcnt lgkmcnt(0)
	s_mul_hi_u32 s6, s20, s24
	s_add_i32 s6, s6, s20
	s_lshr_b32 s7, s6, s25
	s_mul_i32 s6, s7, s26
	s_sub_i32 s6, s20, s6
	s_mul_hi_u32 s8, s6, s27
	s_add_i32 s8, s6, s8
	s_lshr_b32 s23, s8, s28
	s_mul_i32 s8, s23, s29
	s_sub_i32 s6, s6, s8
	;; [unrolled: 5-line block ×3, first 2 shown]
	s_mul_hi_u32 s6, s5, s16
	s_add_i32 s5, s5, s6
	s_lshr_b32 s24, s5, s17
	s_lshl_b32 s5, s24, 5
	s_add_i32 s5, s5, s3
	s_cmp_lt_i32 s5, s12
	s_cselect_b64 s[8:9], -1, 0
	s_add_i32 s25, s25, s4
	s_cmp_lt_i32 s25, s14
	s_cselect_b64 s[10:11], -1, 0
	s_and_b64 s[8:9], s[8:9], s[10:11]
	s_andn2_b64 vcc, exec, s[8:9]
	s_mov_b32 s6, 0
	s_cbranch_vccnz .LBB58_24
; %bb.8:
	s_load_dwordx4 s[8:11], s[0:1], 0x0
	s_lshl_b32 s0, s22, 7
	s_mov_b32 s1, s6
	s_add_i32 s21, s3, s4
	s_lshl_b64 s[0:1], s[0:1], 2
	s_waitcnt lgkmcnt(0)
	s_add_u32 s4, s10, s0
	s_mul_i32 s0, s7, s12
	s_addc_u32 s5, s11, s1
	s_mul_i32 s23, s23, s14
	s_add_i32 s0, s0, s3
	s_mul_i32 s0, s0, s13
	s_add_i32 s3, s25, s23
	;; [unrolled: 2-line block ×3, first 2 shown]
	s_mulk_i32 s1, 0xa00
	s_mulk_i32 s0, 0x50
	s_add_i32 s1, s1, s0
	v_add_u32_e32 v4, s1, v0
	v_mov_b32_e32 v2, s8
	v_mov_b32_e32 v3, s9
	v_ashrrev_i32_e32 v5, 31, v4
	v_lshl_add_u64 v[2:3], v[4:5], 2, v[2:3]
	global_load_dword v5, v[2:3], off
	s_lshl_b32 s0, s2, 5
	s_add_i32 s0, s0, s21
	s_ashr_i32 s1, s0, 31
	s_lshl_b64 s[0:1], s[0:1], 3
	s_add_u32 s0, s10, s0
	s_addc_u32 s1, s11, s1
	s_add_i32 s12, s2, -1
	s_mul_i32 s2, s21, 0x50
	v_add_u32_e32 v4, s2, v0
	v_cvt_f32_u32_e32 v0, s22
	v_cvt_f32_ubyte0_e32 v1, 0
	s_load_dwordx2 s[0:1], s[0:1], 0x0
	v_mov_b32_e32 v8, s20
	v_fmac_f32_e32 v0, 0x4f800000, v1
	v_rcp_f32_e32 v0, v0
	v_cvt_f32_u32_e32 v1, s22
	s_waitcnt lgkmcnt(0)
	v_mov_b32_e32 v6, s1
	v_mov_b32_e32 v7, s0
	v_mul_f32_e32 v0, 0x5f7ffffc, v0
	v_rcp_iflag_f32_e32 v1, v1
	v_mul_f32_e32 v9, 0x2f800000, v0
	v_trunc_f32_e32 v10, v9
	v_fmac_f32_e32 v0, 0xcf800000, v10
	v_cvt_u32_f32_e32 v9, v0
	v_mul_f32_e32 v0, 0x4f7ffffe, v1
	v_cvt_u32_f32_e32 v10, v10
	v_cvt_u32_f32_e32 v11, v0
	s_mov_b32 s8, 0x3fb8aa3b
	s_mov_b32 s9, 0xc2ce8ed0
	;; [unrolled: 1-line block ×4, first 2 shown]
	v_mov_b32_e32 v12, 0x7f800000
	s_mul_hi_i32 s7, s12, s15
	s_cmp_lg_u64 s[6:7], 0
	s_mul_i32 s2, s12, s15
	s_cbranch_scc0 .LBB58_15
.LBB58_9:
	s_sub_u32 s0, 0, s22
	v_readfirstlane_b32 s3, v9
	v_readfirstlane_b32 s24, v10
	s_subb_u32 s1, 0, 0
	s_mul_hi_u32 s23, s0, s3
	s_mul_i32 s25, s0, s24
	s_mul_i32 s20, s1, s3
	s_add_i32 s23, s23, s25
	s_add_i32 s23, s23, s20
	s_mul_i32 s26, s0, s3
	s_mul_hi_u32 s20, s3, s23
	s_mul_i32 s25, s3, s23
	s_mul_hi_u32 s3, s3, s26
	s_add_u32 s3, s3, s25
	s_addc_u32 s20, 0, s20
	s_mul_hi_u32 s27, s24, s26
	s_mul_i32 s26, s24, s26
	s_add_u32 s3, s3, s26
	s_mul_hi_u32 s25, s24, s23
	s_addc_u32 s3, s20, s27
	s_addc_u32 s20, s25, 0
	s_mul_i32 s23, s24, s23
	s_add_u32 s3, s3, s23
	s_addc_u32 s20, 0, s20
	v_add_co_u32_e32 v0, vcc, s3, v9
	s_cmp_lg_u64 vcc, 0
	s_addc_u32 s3, s24, s20
	v_readfirstlane_b32 s23, v0
	s_mul_i32 s20, s0, s3
	s_mul_hi_u32 s24, s0, s23
	s_add_i32 s20, s24, s20
	s_mul_i32 s1, s1, s23
	s_add_i32 s20, s20, s1
	s_mul_i32 s0, s0, s23
	s_mul_hi_u32 s24, s3, s0
	s_mul_i32 s25, s3, s0
	s_mul_i32 s27, s23, s20
	s_mul_hi_u32 s0, s23, s0
	s_mul_hi_u32 s26, s23, s20
	s_add_u32 s0, s0, s27
	s_addc_u32 s23, 0, s26
	s_add_u32 s0, s0, s25
	s_mul_hi_u32 s1, s3, s20
	s_addc_u32 s0, s23, s24
	s_addc_u32 s1, s1, 0
	s_mul_i32 s20, s3, s20
	s_add_u32 s0, s0, s20
	s_addc_u32 s1, 0, s1
	v_add_co_u32_e32 v0, vcc, s0, v0
	s_cmp_lg_u64 vcc, 0
	s_addc_u32 s3, s3, s1
	s_ashr_i32 s0, s7, 31
	s_add_u32 s24, s2, s0
	s_mov_b32 s1, s0
	s_addc_u32 s25, s7, s0
	s_xor_b64 s[24:25], s[24:25], s[0:1]
	v_readfirstlane_b32 s20, v0
	s_mul_i32 s7, s24, s3
	s_mul_hi_u32 s23, s24, s20
	s_mul_hi_u32 s1, s24, s3
	s_add_u32 s7, s23, s7
	s_addc_u32 s1, 0, s1
	s_mul_hi_u32 s26, s25, s20
	s_mul_i32 s20, s25, s20
	s_add_u32 s7, s7, s20
	s_mul_hi_u32 s23, s25, s3
	s_addc_u32 s1, s1, s26
	s_addc_u32 s7, s23, 0
	s_mul_i32 s3, s25, s3
	s_add_u32 s1, s1, s3
	s_addc_u32 s3, 0, s7
	s_mul_i32 s3, s22, s3
	s_mul_hi_u32 s23, s22, s1
	s_add_i32 s23, s23, s3
	s_mul_i32 s3, s22, s1
	v_mov_b32_e32 v0, s3
	s_add_u32 s7, s1, 1
	s_add_u32 s20, s1, 2
	v_sub_co_u32_e32 v0, vcc, s24, v0
	s_cmp_lg_u64 vcc, 0
	s_subb_u32 s3, s25, s23
	v_subrev_co_u32_e32 v1, vcc, s22, v0
	s_cmp_lg_u64 vcc, 0
	s_subb_u32 s23, s3, 0
	v_cmp_le_u32_e32 vcc, s22, v1
	s_cmp_eq_u32 s23, 0
	v_mov_b32_e32 v13, s7
	v_cndmask_b32_e64 v1, 0, -1, vcc
	s_cselect_b64 vcc, -1, 0
	v_cndmask_b32_e32 v1, -1, v1, vcc
	v_mov_b32_e32 v14, s20
	v_cmp_ne_u32_e32 vcc, 0, v1
	s_cmp_eq_u32 s3, 0
	s_nop 0
	v_cndmask_b32_e32 v1, v13, v14, vcc
	v_cmp_le_u32_e32 vcc, s22, v0
	v_mov_b32_e32 v13, s1
	s_nop 0
	v_cndmask_b32_e64 v0, 0, -1, vcc
	s_cselect_b64 vcc, -1, 0
	v_cndmask_b32_e32 v0, -1, v0, vcc
	v_cmp_ne_u32_e32 vcc, 0, v0
	s_nop 1
	v_cndmask_b32_e32 v0, v13, v1, vcc
	v_xor_b32_e32 v0, s0, v0
	v_subrev_co_u32_e32 v0, vcc, s0, v0
	s_cbranch_execnz .LBB58_11
.LBB58_10:
	s_sub_i32 s0, 0, s22
	v_mul_lo_u32 v0, s0, v11
	v_mul_hi_u32 v0, v11, v0
	v_add_u32_e32 v0, v11, v0
	v_mul_hi_u32 v0, s2, v0
	v_mul_lo_u32 v13, v0, s22
	v_sub_u32_e32 v13, s2, v13
	v_add_u32_e32 v1, 1, v0
	v_subrev_u32_e32 v14, s22, v13
	v_cmp_le_u32_e32 vcc, s22, v13
	s_nop 1
	v_cndmask_b32_e32 v13, v13, v14, vcc
	v_cndmask_b32_e32 v0, v0, v1, vcc
	v_add_u32_e32 v1, 1, v0
	v_cmp_le_u32_e32 vcc, s22, v13
	s_nop 1
	v_cndmask_b32_e32 v0, v0, v1, vcc
.LBB58_11:
	v_cmp_ne_u32_e32 vcc, v8, v0
	s_cbranch_vccz .LBB58_14
; %bb.12:
	s_add_i32 s0, s12, s22
	s_lshl_b32 s0, s0, 5
	v_mul_hi_u32 v1, v0, s16
	s_add_i32 s0, s0, s21
	s_mov_b32 s1, s6
	v_add_u32_e32 v1, v1, v0
	s_lshl_b64 s[0:1], s[0:1], 3
	v_lshrrev_b32_e32 v1, s17, v1
	s_add_u32 s2, s10, s0
	v_mul_lo_u32 v13, v1, s18
	s_addc_u32 s3, s11, s1
	v_cmp_eq_u32_e32 vcc, v13, v0
	v_cmp_gt_u32_e64 s[0:1], s19, v1
	s_or_b64 s[0:1], s[0:1], vcc
	s_and_b64 vcc, exec, s[0:1]
	s_cbranch_vccnz .LBB58_16
; %bb.13:
	s_add_i32 s7, s12, -1
	s_mov_b64 s[0:1], 0
	s_branch .LBB58_17
.LBB58_14:
                                        ; implicit-def: $sgpr0_sgpr1
                                        ; implicit-def: $vgpr14
                                        ; implicit-def: $vgpr1
                                        ; implicit-def: $vgpr13
                                        ; implicit-def: $sgpr7
                                        ; implicit-def: $vgpr0
	s_branch .LBB58_18
.LBB58_15:
                                        ; implicit-def: $vgpr0_vgpr1
	s_branch .LBB58_10
.LBB58_16:
	s_mov_b64 s[0:1], -1
	s_mov_b32 s7, s12
	v_mov_b32_e32 v0, v8
.LBB58_17:
	s_mul_i32 s20, s12, 0xa00
	v_add_u32_e32 v14, s20, v4
	v_ashrrev_i32_e32 v15, 31, v14
	v_lshl_add_u64 v[14:15], v[14:15], 2, s[4:5]
	global_load_dword v14, v[14:15], off
	s_load_dwordx2 s[2:3], s[2:3], 0x0
	v_max_f32_e32 v1, v7, v7
	s_waitcnt lgkmcnt(0)
	v_max_f32_e64 v13, s2, s2
	v_max_f32_e32 v1, v1, v13
	v_sub_f32_e32 v13, v7, v1
	v_sub_f32_e32 v15, s2, v1
	v_mul_f32_e32 v16, 0x3fb8aa3b, v13
	v_mul_f32_e32 v17, 0x3fb8aa3b, v15
	v_fma_f32 v18, v13, s8, -v16
	v_rndne_f32_e32 v19, v16
	v_fma_f32 v20, v15, s8, -v17
	v_rndne_f32_e32 v21, v17
	v_fmac_f32_e32 v18, 0x32a5705f, v13
	v_sub_f32_e32 v16, v16, v19
	v_fmac_f32_e32 v20, 0x32a5705f, v15
	v_sub_f32_e32 v17, v17, v21
	v_add_f32_e32 v16, v16, v18
	v_cvt_i32_f32_e32 v19, v19
	v_add_f32_e32 v17, v17, v20
	v_exp_f32_e32 v16, v16
	v_cvt_i32_f32_e32 v21, v21
	v_exp_f32_e32 v17, v17
	v_cmp_ngt_f32_e32 vcc, s9, v13
	v_ldexp_f32 v16, v16, v19
	v_ldexp_f32 v17, v17, v21
	v_cndmask_b32_e32 v16, 0, v16, vcc
	v_cmp_ngt_f32_e32 vcc, s9, v15
	s_nop 1
	v_cndmask_b32_e32 v17, 0, v17, vcc
	v_cmp_nlt_f32_e32 vcc, s13, v13
	s_nop 1
	v_cndmask_b32_e32 v16, v12, v16, vcc
	v_cmp_nlt_f32_e32 vcc, s13, v15
	s_nop 1
	v_cndmask_b32_e32 v17, v12, v17, vcc
	v_cmp_le_f32_e32 vcc, s14, v13
	s_nop 1
	v_cndmask_b32_e32 v16, 0, v16, vcc
	v_cmp_le_f32_e32 vcc, s14, v15
	s_nop 1
	v_cndmask_b32_e32 v15, 0, v17, vcc
	v_mul_f32_e32 v13, s3, v15
	v_fmac_f32_e32 v13, v6, v16
	s_waitcnt vmcnt(0)
	v_mul_f32_e32 v14, v14, v15
	v_fmac_f32_e32 v14, v5, v16
	s_cbranch_execnz .LBB58_19
.LBB58_18:
	s_add_i32 s7, s12, -1
	s_mov_b64 s[0:1], 0
	v_mov_b32_e32 v0, v8
	v_mov_b32_e32 v13, v6
	;; [unrolled: 1-line block ×3, first 2 shown]
	s_waitcnt vmcnt(0)
	v_mov_b32_e32 v14, v5
.LBB58_19:
	s_andn2_b64 vcc, exec, s[0:1]
	s_cbranch_vccz .LBB58_23
; %bb.20:
	v_mov_b32_e32 v8, v0
	s_mov_b32 s12, s7
	v_mov_b32_e32 v6, v13
	v_mov_b32_e32 v7, v1
	s_waitcnt vmcnt(0)
	v_mov_b32_e32 v5, v14
	s_mul_hi_i32 s7, s12, s15
	s_cmp_lg_u64 s[6:7], 0
	s_mul_i32 s2, s12, s15
	s_cbranch_scc1 .LBB58_9
	s_branch .LBB58_15
.LBB58_21:
                                        ; implicit-def: $sgpr20_sgpr21
	s_load_dwordx4 s[16:19], s[0:1], 0x44
	s_branch .LBB58_2
.LBB58_22:
                                        ; implicit-def: $vgpr2_vgpr3
	s_branch .LBB58_5
.LBB58_23:
	v_div_scale_f32 v0, s[0:1], v13, v13, v14
	v_rcp_f32_e32 v1, v0
	v_div_scale_f32 v4, vcc, v14, v13, v14
	s_waitcnt vmcnt(0)
	v_fma_f32 v5, -v0, v1, 1.0
	v_fmac_f32_e32 v1, v5, v1
	v_mul_f32_e32 v5, v4, v1
	v_fma_f32 v6, -v0, v5, v4
	v_fmac_f32_e32 v5, v6, v1
	v_fma_f32 v0, -v0, v5, v4
	v_div_fmas_f32 v0, v0, v1, v5
	v_div_fixup_f32 v0, v0, v13, v14
	global_store_dword v[2:3], v0, off
.LBB58_24:
	s_endpgm
	.section	.rodata,"a",@progbits
	.p2align	6, 0x0
	.amdhsa_kernel _ZL33flash_attn_stream_k_fixup_generalILi80ELi32ELi1EEvPfPK15HIP_vector_typeIfLj2EEiiiiS1_IjLj3EES5_S5_S5_
		.amdhsa_group_segment_fixed_size 0
		.amdhsa_private_segment_fixed_size 0
		.amdhsa_kernarg_size 336
		.amdhsa_user_sgpr_count 2
		.amdhsa_user_sgpr_dispatch_ptr 0
		.amdhsa_user_sgpr_queue_ptr 0
		.amdhsa_user_sgpr_kernarg_segment_ptr 1
		.amdhsa_user_sgpr_dispatch_id 0
		.amdhsa_user_sgpr_kernarg_preload_length 0
		.amdhsa_user_sgpr_kernarg_preload_offset 0
		.amdhsa_user_sgpr_private_segment_size 0
		.amdhsa_uses_dynamic_stack 0
		.amdhsa_enable_private_segment 0
		.amdhsa_system_sgpr_workgroup_id_x 1
		.amdhsa_system_sgpr_workgroup_id_y 1
		.amdhsa_system_sgpr_workgroup_id_z 1
		.amdhsa_system_sgpr_workgroup_info 0
		.amdhsa_system_vgpr_workitem_id 0
		.amdhsa_next_free_vgpr 22
		.amdhsa_next_free_sgpr 32
		.amdhsa_accum_offset 24
		.amdhsa_reserve_vcc 1
		.amdhsa_float_round_mode_32 0
		.amdhsa_float_round_mode_16_64 0
		.amdhsa_float_denorm_mode_32 3
		.amdhsa_float_denorm_mode_16_64 3
		.amdhsa_dx10_clamp 1
		.amdhsa_ieee_mode 1
		.amdhsa_fp16_overflow 0
		.amdhsa_tg_split 0
		.amdhsa_exception_fp_ieee_invalid_op 0
		.amdhsa_exception_fp_denorm_src 0
		.amdhsa_exception_fp_ieee_div_zero 0
		.amdhsa_exception_fp_ieee_overflow 0
		.amdhsa_exception_fp_ieee_underflow 0
		.amdhsa_exception_fp_ieee_inexact 0
		.amdhsa_exception_int_div_zero 0
	.end_amdhsa_kernel
	.section	.text._ZL33flash_attn_stream_k_fixup_generalILi80ELi32ELi1EEvPfPK15HIP_vector_typeIfLj2EEiiiiS1_IjLj3EES5_S5_S5_,"axG",@progbits,_ZL33flash_attn_stream_k_fixup_generalILi80ELi32ELi1EEvPfPK15HIP_vector_typeIfLj2EEiiiiS1_IjLj3EES5_S5_S5_,comdat
.Lfunc_end58:
	.size	_ZL33flash_attn_stream_k_fixup_generalILi80ELi32ELi1EEvPfPK15HIP_vector_typeIfLj2EEiiiiS1_IjLj3EES5_S5_S5_, .Lfunc_end58-_ZL33flash_attn_stream_k_fixup_generalILi80ELi32ELi1EEvPfPK15HIP_vector_typeIfLj2EEiiiiS1_IjLj3EES5_S5_S5_
                                        ; -- End function
	.section	.AMDGPU.csdata,"",@progbits
; Kernel info:
; codeLenInByte = 2860
; NumSgprs: 38
; NumVgprs: 22
; NumAgprs: 0
; TotalNumVgprs: 22
; ScratchSize: 0
; MemoryBound: 0
; FloatMode: 240
; IeeeMode: 1
; LDSByteSize: 0 bytes/workgroup (compile time only)
; SGPRBlocks: 4
; VGPRBlocks: 2
; NumSGPRsForWavesPerEU: 38
; NumVGPRsForWavesPerEU: 22
; AccumOffset: 24
; Occupancy: 8
; WaveLimiterHint : 0
; COMPUTE_PGM_RSRC2:SCRATCH_EN: 0
; COMPUTE_PGM_RSRC2:USER_SGPR: 2
; COMPUTE_PGM_RSRC2:TRAP_HANDLER: 0
; COMPUTE_PGM_RSRC2:TGID_X_EN: 1
; COMPUTE_PGM_RSRC2:TGID_Y_EN: 1
; COMPUTE_PGM_RSRC2:TGID_Z_EN: 1
; COMPUTE_PGM_RSRC2:TIDIG_COMP_CNT: 0
; COMPUTE_PGM_RSRC3_GFX90A:ACCUM_OFFSET: 5
; COMPUTE_PGM_RSRC3_GFX90A:TG_SPLIT: 0
	.section	.text._ZL15flash_attn_tileILi80ELi80ELi16ELi1ELb0EEvPKcS1_S1_S1_S1_PKiPfP15HIP_vector_typeIfLj2EEffffjfiS5_IjLj3EEiiiiiiiiiiiliiliiiiil,"axG",@progbits,_ZL15flash_attn_tileILi80ELi80ELi16ELi1ELb0EEvPKcS1_S1_S1_S1_PKiPfP15HIP_vector_typeIfLj2EEffffjfiS5_IjLj3EEiiiiiiiiiiiliiliiiiil,comdat
	.globl	_ZL15flash_attn_tileILi80ELi80ELi16ELi1ELb0EEvPKcS1_S1_S1_S1_PKiPfP15HIP_vector_typeIfLj2EEffffjfiS5_IjLj3EEiiiiiiiiiiiliiliiiiil ; -- Begin function _ZL15flash_attn_tileILi80ELi80ELi16ELi1ELb0EEvPKcS1_S1_S1_S1_PKiPfP15HIP_vector_typeIfLj2EEffffjfiS5_IjLj3EEiiiiiiiiiiiliiliiiiil
	.p2align	8
	.type	_ZL15flash_attn_tileILi80ELi80ELi16ELi1ELb0EEvPKcS1_S1_S1_S1_PKiPfP15HIP_vector_typeIfLj2EEffffjfiS5_IjLj3EEiiiiiiiiiiiliiliiiiil,@function
_ZL15flash_attn_tileILi80ELi80ELi16ELi1ELb0EEvPKcS1_S1_S1_S1_PKiPfP15HIP_vector_typeIfLj2EEffffjfiS5_IjLj3EEiiiiiiiiiiiliiliiiiil: ; @_ZL15flash_attn_tileILi80ELi80ELi16ELi1ELb0EEvPKcS1_S1_S1_S1_PKiPfP15HIP_vector_typeIfLj2EEffffjfiS5_IjLj3EEiiiiiiiiiiiliiliiiiil
; %bb.0:
	s_load_dwordx4 s[28:31], s[0:1], 0x5c
	s_load_dwordx2 s[42:43], s[0:1], 0x80
	s_mov_b64 s[40:41], 0
	s_waitcnt lgkmcnt(0)
	v_cvt_f32_u32_e32 v1, s31
	s_sub_i32 s5, 0, s31
	v_rcp_iflag_f32_e32 v1, v1
	s_nop 0
	v_mul_f32_e32 v1, 0x4f7ffffe, v1
	v_cvt_u32_f32_e32 v1, v1
	s_nop 0
	v_readfirstlane_b32 s6, v1
	s_mul_i32 s5, s5, s6
	s_mul_hi_u32 s5, s6, s5
	s_add_i32 s6, s6, s5
	s_mul_hi_u32 s5, s4, s6
	s_mul_i32 s6, s5, s31
	s_sub_i32 s6, s4, s6
	s_add_i32 s7, s5, 1
	s_sub_i32 s8, s6, s31
	s_cmp_ge_u32 s6, s31
	s_cselect_b32 s5, s7, s5
	s_cselect_b32 s6, s8, s6
	s_add_i32 s7, s5, 1
	s_cmp_ge_u32 s6, s31
	s_cselect_b32 s33, s7, s5
	s_abs_i32 s5, s43
	v_cvt_f32_u32_e32 v1, s5
	s_sub_i32 s8, 0, s5
	s_abs_i32 s7, s31
	s_xor_b32 s6, s31, s43
	v_rcp_iflag_f32_e32 v1, v1
	s_ashr_i32 s6, s6, 31
	v_mul_f32_e32 v1, 0x4f7ffffe, v1
	v_cvt_u32_f32_e32 v1, v1
	s_nop 0
	v_readfirstlane_b32 s9, v1
	s_mul_i32 s8, s8, s9
	s_mul_hi_u32 s8, s9, s8
	s_add_i32 s9, s9, s8
	s_mul_hi_u32 s8, s7, s9
	s_mul_i32 s9, s8, s5
	s_sub_i32 s7, s7, s9
	s_add_i32 s10, s8, 1
	s_sub_i32 s9, s7, s5
	s_cmp_ge_u32 s7, s5
	s_cselect_b32 s8, s10, s8
	s_cselect_b32 s7, s9, s7
	s_add_i32 s9, s8, 1
	s_cmp_ge_u32 s7, s5
	s_cselect_b32 s5, s9, s8
	s_xor_b32 s5, s5, s6
	s_sub_i32 s45, s5, s6
	s_abs_i32 s44, s45
	v_cvt_f32_u32_e32 v1, s44
	s_load_dwordx16 s[12:27], s[0:1], 0x0
	s_load_dwordx2 s[10:11], s[0:1], 0xb8
	s_sub_i32 s6, 0, s44
	s_mul_i32 s5, s33, s31
	v_rcp_iflag_f32_e32 v1, v1
	s_waitcnt lgkmcnt(0)
	s_cmp_eq_u64 s[18:19], 0
	v_mul_f32_e32 v1, 0x4f7ffffe, v1
	v_cvt_u32_f32_e32 v1, v1
	s_nop 0
	v_readfirstlane_b32 s35, v1
	s_mul_i32 s6, s6, s35
	s_cbranch_scc1 .LBB59_2
; %bb.1:
	s_abs_i32 s7, s10
	v_cvt_f32_u32_e32 v1, s7
	s_sub_i32 s36, 0, s7
	s_abs_i32 s34, s33
	s_ashr_i32 s10, s33, 31
	v_rcp_iflag_f32_e32 v1, v1
	s_load_dwordx2 s[8:9], s[0:1], 0xc8
	v_mul_f32_e32 v1, 0x4f7ffffe, v1
	v_cvt_u32_f32_e32 v1, v1
	s_nop 0
	v_readfirstlane_b32 s37, v1
	s_mul_i32 s36, s36, s37
	s_mul_hi_u32 s36, s37, s36
	s_add_i32 s37, s37, s36
	s_mul_hi_u32 s36, s34, s37
	s_mul_i32 s36, s36, s7
	s_sub_i32 s34, s34, s36
	s_sub_i32 s36, s34, s7
	s_cmp_ge_u32 s34, s7
	s_cselect_b32 s34, s36, s34
	s_sub_i32 s36, s34, s7
	s_cmp_ge_u32 s34, s7
	s_cselect_b32 s7, s36, s34
	s_xor_b32 s7, s7, s10
	s_sub_i32 s7, s7, s10
	s_ashr_i32 s10, s7, 31
	s_waitcnt lgkmcnt(0)
	s_mul_i32 s9, s7, s9
	s_mul_hi_u32 s34, s7, s8
	s_add_i32 s9, s34, s9
	s_mul_i32 s10, s10, s8
	s_add_i32 s9, s9, s10
	s_mul_i32 s7, s7, s8
	s_add_u32 s40, s18, s7
	s_addc_u32 s41, s19, s9
.LBB59_2:
	s_load_dwordx4 s[36:39], s[0:1], 0x40
	s_sub_i32 s34, s4, s5
	s_load_dword s4, s[0:1], 0x50
	s_mul_hi_u32 s10, s35, s6
	v_mov_b32_e32 v59, 1.0
	s_waitcnt lgkmcnt(0)
	v_cmp_le_f32_e64 s[6:7], s37, 0
	s_and_b64 vcc, exec, s[6:7]
	s_cbranch_vccnz .LBB59_4
; %bb.3:
	s_sub_i32 s5, s34, s4
	s_lshl_b32 s5, s5, 1
	s_add_i32 s6, s34, 1
	s_or_b32 s7, s5, 1
	s_cmp_lt_u32 s34, s4
	s_cselect_b64 vcc, -1, 0
	s_and_b64 s[4:5], vcc, exec
	v_mov_b32_e32 v1, s39
	v_mov_b32_e32 v2, s38
	s_cselect_b32 s4, s6, s7
	v_cndmask_b32_e32 v18, v1, v2, vcc
	v_cvt_f32_i32_e32 v1, s4
	v_cmp_neq_f32_e32 vcc, 1.0, v18
	s_mov_b32 s4, 0x3f2aaaab
	s_movk_i32 s6, 0x204
	v_cndmask_b32_e32 v19, 1.0, v1, vcc
	v_cmp_eq_f32_e32 vcc, 0, v19
	s_mov_b32 s8, 0x42b17218
	s_mov_b32 s7, 0x7f800000
	v_cndmask_b32_e64 v20, |v18|, 1.0, vcc
	v_frexp_mant_f32_e32 v1, v20
	v_cmp_gt_f32_e64 s[4:5], s4, v1
	s_brev_b32 s18, -2
	s_nop 0
	v_cndmask_b32_e64 v2, 1.0, 2.0, s[4:5]
	v_mul_f32_e32 v1, v1, v2
	v_add_f32_e32 v2, 1.0, v1
	v_rcp_f32_e32 v10, v2
	v_add_f32_e32 v3, -1.0, v2
	v_sub_f32_e32 v5, v1, v3
	v_add_f32_e32 v3, -1.0, v1
	v_mul_f32_e32 v1, v3, v10
	v_mul_f32_e32 v4, v2, v1
	v_fma_f32 v6, v1, v2, -v4
	v_fmac_f32_e32 v6, v1, v5
	v_add_f32_e32 v2, v4, v6
	v_sub_f32_e32 v5, v3, v2
	v_pk_add_f32 v[8:9], v[2:3], v[4:5] neg_lo:[0,1] neg_hi:[0,1]
	v_mov_b32_e32 v7, v2
	v_pk_add_f32 v[2:3], v[8:9], v[6:7] neg_lo:[0,1] neg_hi:[0,1]
	v_mov_b32_e32 v6, 0x3e91f4c4
	v_add_f32_e32 v2, v2, v3
	v_add_f32_e32 v2, v5, v2
	v_mul_f32_e32 v3, v10, v2
	v_add_f32_e32 v2, v1, v3
	v_sub_f32_e32 v1, v2, v1
	v_sub_f32_e32 v1, v3, v1
	v_mul_f32_e32 v3, v2, v2
	v_fma_f32 v5, v2, v2, -v3
	v_add_f32_e32 v4, v1, v1
	v_fmac_f32_e32 v5, v2, v4
	v_add_f32_e32 v4, v3, v5
	v_fmac_f32_e32 v6, 0x3e76c4e1, v4
	v_fmaak_f32 v6, v4, v6, 0x3ecccdef
	v_sub_f32_e32 v3, v4, v3
	v_sub_f32_e32 v12, v5, v3
	v_mul_f32_e32 v3, v4, v6
	v_fma_f32 v5, v4, v6, -v3
	v_fmac_f32_e32 v5, v12, v6
	v_add_f32_e32 v6, v3, v5
	v_add_f32_e32 v7, 0x3f2aaaaa, v6
	v_sub_f32_e32 v3, v6, v3
	v_sub_f32_e32 v3, v5, v3
	v_add_f32_e32 v5, 0xbf2aaaaa, v7
	v_add_f32_e32 v3, 0x31739010, v3
	v_sub_f32_e32 v5, v6, v5
	v_pk_mul_f32 v[8:9], v[2:3], v[4:5]
	v_pk_add_f32 v[10:11], v[2:3], v[4:5]
	v_fma_f32 v6, v4, v2, -v8
	v_fmac_f32_e32 v6, v4, v1
	v_mov_b32_e32 v9, v11
	v_fmac_f32_e32 v6, v12, v2
	v_pk_add_f32 v[4:5], v[8:9], v[6:7]
	v_ldexp_f32 v1, v1, 1
	v_sub_f32_e32 v3, v4, v8
	v_sub_f32_e32 v3, v6, v3
	;; [unrolled: 1-line block ×3, first 2 shown]
	v_add_f32_e32 v9, v11, v6
	v_mov_b32_e32 v6, v5
	v_pk_mul_f32 v[6:7], v[4:5], v[6:7]
	v_cvt_f64_f32_e32 v[10:11], v20
	v_frexp_exp_i32_f64_e32 v7, v[10:11]
	v_subbrev_co_u32_e64 v7, s[4:5], 0, v7, s[4:5]
	v_cvt_f32_i32_e32 v7, v7
	v_fma_f32 v8, v4, v5, -v6
	v_fmac_f32_e32 v8, v4, v9
	s_mov_b32 s4, 0x3f317218
	v_mul_f32_e32 v4, 0x3f317218, v7
	v_fmac_f32_e32 v8, v3, v5
	v_fma_f32 v3, v7, s4, -v4
	v_fmamk_f32 v10, v7, 0xb102e308, v3
	v_ldexp_f32 v11, v2, 1
	v_add_f32_e32 v5, v6, v8
	v_pk_add_f32 v[2:3], v[4:5], v[10:11]
	v_mov_b32_e32 v12, v5
	v_mov_b32_e32 v13, v3
	;; [unrolled: 1-line block ×3, first 2 shown]
	v_pk_add_f32 v[6:7], v[12:13], v[6:7] neg_lo:[0,1] neg_hi:[0,1]
	v_mov_b32_e32 v9, v5
	v_pk_add_f32 v[6:7], v[8:9], v[6:7] neg_lo:[0,1] neg_hi:[0,1]
	v_mov_b32_e32 v11, v2
	v_add_f32_e32 v1, v1, v6
	v_add_f32_e32 v5, v1, v7
	v_pk_add_f32 v[6:7], v[2:3], v[4:5] neg_lo:[0,1] neg_hi:[0,1]
	v_pk_add_f32 v[8:9], v[2:3], v[4:5]
	v_mov_b32_e32 v12, v6
	v_mov_b32_e32 v13, v9
	v_pk_add_f32 v[12:13], v[10:11], v[12:13]
	v_pk_add_f32 v[6:7], v[10:11], v[6:7] neg_lo:[0,1] neg_hi:[0,1]
	v_mov_b32_e32 v4, v13
	v_pk_add_f32 v[14:15], v[4:5], v[2:3] neg_lo:[0,1] neg_hi:[0,1]
	v_mov_b32_e32 v12, v9
	v_mov_b32_e32 v1, v14
	;; [unrolled: 1-line block ×4, first 2 shown]
	v_pk_add_f32 v[16:17], v[8:9], v[0:1] neg_lo:[0,1] neg_hi:[0,1]
	v_pk_add_f32 v[2:3], v[12:13], v[2:3] neg_lo:[0,1] neg_hi:[0,1]
	v_mov_b32_e32 v10, v5
	v_pk_add_f32 v[2:3], v[10:11], v[2:3] neg_lo:[0,1] neg_hi:[0,1]
	v_mov_b32_e32 v16, v6
	v_pk_add_f32 v[8:9], v[16:17], v[2:3]
	v_mov_b32_e32 v7, v13
	v_mov_b32_e32 v10, v9
	v_pk_add_f32 v[10:11], v[8:9], v[10:11]
	s_nop 0
	v_pk_add_f32 v[4:5], v[4:5], v[10:11]
	v_mov_b32_e32 v3, v10
	v_mov_b32_e32 v9, v4
	v_pk_add_f32 v[12:13], v[8:9], v[6:7] neg_lo:[0,1] neg_hi:[0,1]
	s_nop 0
	v_sub_f32_e32 v1, v8, v12
	v_pk_add_f32 v[2:3], v[2:3], v[12:13] neg_lo:[0,1] neg_hi:[0,1]
	v_sub_f32_e32 v1, v6, v1
	v_add_f32_e32 v1, v2, v1
	v_add_f32_e32 v1, v1, v3
	;; [unrolled: 1-line block ×3, first 2 shown]
	v_sub_f32_e32 v3, v2, v4
	v_sub_f32_e32 v1, v1, v3
	v_mul_f32_e32 v3, v19, v2
	v_fma_f32 v2, v19, v2, -v3
	v_fmac_f32_e32 v2, v19, v1
	v_add_f32_e32 v1, v3, v2
	v_cmp_class_f32_e64 s[4:5], v3, s6
	v_sub_f32_e32 v4, v1, v3
	v_sub_f32_e32 v2, v2, v4
	v_cndmask_b32_e64 v1, v1, v3, s[4:5]
	v_mov_b32_e32 v3, 0x37000000
	v_cmp_eq_f32_e64 s[4:5], s8, v1
	s_nop 1
	v_cndmask_b32_e64 v3, 0, v3, s[4:5]
	v_sub_f32_e32 v4, v1, v3
	s_mov_b32 s4, 0x3fb8aa3b
	v_mul_f32_e32 v5, 0x3fb8aa3b, v4
	v_fma_f32 v6, v4, s4, -v5
	v_rndne_f32_e32 v7, v5
	v_fmamk_f32 v6, v4, 0x32a5705f, v6
	v_sub_f32_e32 v5, v5, v7
	v_add_f32_e32 v5, v5, v6
	v_exp_f32_e32 v5, v5
	v_cvt_i32_f32_e32 v6, v7
	v_cmp_neq_f32_e64 s[4:5], |v1|, s7
	s_nop 1
	v_cndmask_b32_e64 v1, 0, v2, s[4:5]
	s_mov_b32 s4, 0xc2ce8ed0
	v_ldexp_f32 v2, v5, v6
	v_cmp_ngt_f32_e64 s[4:5], s4, v4
	v_add_f32_e32 v1, v3, v1
	v_mov_b32_e32 v3, 0x7f800000
	v_cndmask_b32_e64 v2, 0, v2, s[4:5]
	v_cmp_nlt_f32_e64 s[4:5], s8, v4
	v_trunc_f32_e32 v4, v19
	v_mov_b32_e32 v5, 0x7fc00000
	v_cndmask_b32_e64 v2, v3, v2, s[4:5]
	v_fma_f32 v1, v2, v1, v2
	v_cmp_class_f32_e64 s[4:5], v2, s6
	v_cmp_gt_f32_e64 s[8:9], 0, v19
	s_nop 0
	v_cndmask_b32_e64 v1, v1, v2, s[4:5]
	v_cndmask_b32_e64 v2, v18, 1.0, vcc
	v_cmp_eq_f32_e32 vcc, v4, v19
	v_mul_f32_e32 v4, 0.5, v19
	v_trunc_f32_e32 v6, v4
	v_cmp_neq_f32_e64 s[4:5], v6, v4
	s_and_b64 s[4:5], vcc, s[4:5]
	s_nop 0
	v_cndmask_b32_e64 v4, 1.0, v2, s[4:5]
	v_bfi_b32 v1, s18, v1, v4
	v_cndmask_b32_e32 v4, v5, v1, vcc
	v_cmp_gt_f32_e32 vcc, 0, v2
	s_nop 1
	v_cndmask_b32_e32 v1, v1, v4, vcc
	v_cmp_eq_f32_e32 vcc, s7, v20
	v_cmp_eq_f32_e64 s[6:7], 0, v2
	s_xor_b64 s[8:9], s[8:9], s[6:7]
	v_cndmask_b32_e64 v3, v3, 0, s[8:9]
	v_cndmask_b32_e64 v4, 0, v2, s[4:5]
	v_bfi_b32 v3, s18, v3, v4
	s_or_b64 vcc, vcc, s[6:7]
	v_cndmask_b32_e32 v1, v1, v3, vcc
	v_cmp_o_f32_e32 vcc, v2, v2
	s_nop 1
	v_cndmask_b32_e32 v59, v5, v1, vcc
.LBB59_4:
	s_load_dwordx4 s[4:7], s[0:1], 0x70
	s_abs_i32 s8, s34
	s_add_i32 s35, s35, s10
	s_lshl_b32 s43, s2, 4
	v_bfe_u32 v53, v0, 10, 10
	s_waitcnt lgkmcnt(0)
	s_mul_i32 s6, s33, s6
	s_ashr_i32 s7, s6, 31
	s_mul_i32 s5, s34, s5
	s_add_u32 s6, s12, s6
	s_addc_u32 s7, s13, s7
	s_ashr_i32 s9, s5, 31
	s_add_u32 s6, s6, s5
	v_and_b32_e32 v76, 0x3ff, v0
	s_addc_u32 s7, s7, s9
	v_lshlrev_b32_e32 v78, 1, v53
	s_ashr_i32 s5, s4, 31
	v_lshlrev_b32_e32 v0, 4, v76
	v_mov_b32_e32 v1, 0
	v_cmp_gt_u32_e64 s[18:19], 20, v76
	s_lshr_b64 s[4:5], s[4:5], 2
	v_lshl_add_u64 v[0:1], s[6:7], 0, v[0:1]
	v_lshlrev_b32_e32 v55, 1, v76
	v_add_u32_e32 v79, s43, v78
	s_and_saveexec_b64 s[6:7], s[18:19]
	s_cbranch_execz .LBB59_6
; %bb.5:
	v_mul_hi_u32 v2, v79, s28
	v_add_u32_e32 v2, v79, v2
	v_lshrrev_b32_e32 v2, s29, v2
	v_mul_lo_u32 v2, v2, s30
	v_sub_u32_e32 v5, v79, v2
	v_mad_u64_u32 v[2:3], s[12:13], s4, v5, 0
	v_mov_b32_e32 v4, v3
	v_mad_u64_u32 v[4:5], s[12:13], s5, v5, v[4:5]
	v_mov_b32_e32 v3, v4
	v_lshl_add_u64 v[2:3], v[2:3], 2, v[0:1]
	global_load_dwordx4 v[2:5], v[2:3], off
	s_waitcnt vmcnt(0)
	v_pk_mul_f32 v[2:3], v[2:3], s[36:37] op_sel_hi:[1,0]
	v_pk_mul_f32 v[4:5], v[4:5], s[36:37] op_sel_hi:[1,0]
	v_cvt_f16_f32_e32 v6, v3
	v_cvt_f16_f32_e32 v3, v5
	;; [unrolled: 1-line block ×4, first 2 shown]
	v_mul_u32_u24_e32 v5, 0x50, v53
	v_add_lshl_u32 v5, v5, v55, 2
	v_pack_b32_f16 v3, v4, v3
	v_pack_b32_f16 v2, v2, v6
	ds_write_b64 v5, v[2:3] offset:3264
.LBB59_6:
	s_or_b64 exec, exec, s[6:7]
	v_or_b32_e32 v49, 1, v78
	s_mul_hi_u32 s9, s8, s35
	v_add_u32_e32 v77, s43, v49
	s_and_saveexec_b64 s[6:7], s[18:19]
	s_cbranch_execz .LBB59_8
; %bb.7:
	v_mul_hi_u32 v2, v77, s28
	v_add_u32_e32 v2, v77, v2
	v_lshrrev_b32_e32 v2, s29, v2
	v_mul_lo_u32 v2, v2, s30
	v_sub_u32_e32 v5, v77, v2
	v_mad_u64_u32 v[2:3], s[12:13], s4, v5, 0
	v_mov_b32_e32 v4, v3
	v_mad_u64_u32 v[4:5], s[4:5], s5, v5, v[4:5]
	v_mov_b32_e32 v3, v4
	v_lshl_add_u64 v[0:1], v[2:3], 2, v[0:1]
	global_load_dwordx4 v[0:3], v[0:1], off
	s_waitcnt vmcnt(0)
	v_pk_mul_f32 v[0:1], v[0:1], s[36:37] op_sel_hi:[1,0]
	v_pk_mul_f32 v[2:3], v[2:3], s[36:37] op_sel_hi:[1,0]
	v_cvt_f16_f32_e32 v4, v1
	v_cvt_f16_f32_e32 v1, v3
	;; [unrolled: 1-line block ×4, first 2 shown]
	v_mul_u32_u24_e32 v3, 40, v49
	v_add_lshl_u32 v3, v3, v55, 2
	v_pack_b32_f16 v1, v2, v1
	v_pack_b32_f16 v0, v0, v4
	ds_write_b64 v3, v[0:1] offset:3264
.LBB59_8:
	s_or_b64 exec, exec, s[6:7]
	s_ashr_i32 s35, s34, 31
	s_ashr_i32 s4, s45, 31
	s_cmp_eq_u64 s[22:23], 0
	s_waitcnt lgkmcnt(0)
	s_barrier
	s_cbranch_scc1 .LBB59_10
; %bb.9:
	s_load_dword s5, s[0:1], 0xd0
	s_mov_b32 s7, 0
	s_waitcnt lgkmcnt(0)
	s_mul_i32 s5, s5, s33
	s_add_i32 s6, s5, s2
	s_lshl_b64 s[6:7], s[6:7], 2
	s_add_u32 s6, s22, s6
	s_addc_u32 s7, s23, s7
	s_load_dword s42, s[6:7], 0x0
.LBB59_10:
	s_nop 0
	s_load_dwordx2 s[6:7], s[0:1], 0x8c
	s_load_dwordx4 s[36:39], s[0:1], 0x98
	s_ashr_i32 s5, s33, 31
	s_ashr_i32 s49, s11, 1
	s_mul_i32 s11, s9, s44
	s_waitcnt lgkmcnt(0)
	s_ashr_i32 s50, s6, 2
	s_mul_i32 s6, s33, s37
	s_mul_hi_u32 s10, s33, s36
	s_add_i32 s6, s10, s6
	s_mul_i32 s10, s5, s36
	s_ashr_i32 s2, s38, 2
	s_add_i32 s6, s6, s10
	s_mul_i32 s10, s33, s36
	s_add_u32 s10, s14, s10
	s_addc_u32 s6, s15, s6
	s_sub_i32 s8, s8, s11
	s_xor_b32 s4, s35, s4
	s_add_i32 s11, s9, 1
	s_sub_i32 s14, s8, s44
	s_cmp_ge_u32 s8, s44
	s_cselect_b32 s9, s11, s9
	s_cselect_b32 s8, s14, s8
	s_add_i32 s11, s9, 1
	s_cmp_ge_u32 s8, s44
	s_cselect_b32 s8, s11, s9
	s_load_dwordx2 s[12:13], s[0:1], 0xa8
	s_xor_b32 s8, s8, s4
	s_sub_i32 s4, s8, s4
	s_mul_i32 s7, s4, s7
	s_ashr_i32 s8, s7, 31
	s_add_u32 s51, s10, s7
	s_addc_u32 s52, s6, s8
	s_waitcnt lgkmcnt(0)
	s_mul_i32 s6, s33, s13
	s_mul_hi_u32 s7, s33, s12
	s_add_i32 s6, s7, s6
	s_mul_i32 s5, s5, s12
	s_add_i32 s6, s6, s5
	s_mul_i32 s5, s33, s12
	s_add_u32 s5, s16, s5
	s_mul_i32 s4, s4, s39
	s_addc_u32 s6, s17, s6
	s_ashr_i32 s7, s4, 31
	s_add_u32 s46, s5, s4
	v_lshlrev_b32_e32 v48, 2, v76
	s_addc_u32 s47, s6, s7
	s_lshl_b32 s48, s3, 5
	s_sub_i32 s53, s42, 32
	s_mov_b32 s4, 0xfeffffff
	s_cmp_ge_i32 s48, s53
	v_mov_b32_e32 v51, 0
	v_mov_b32_e32 v83, 0
	v_lshl_add_u32 v89, v53, 5, v76
	v_lshrrev_b32_e32 v88, 2, v76
	v_and_b32_e32 v58, 12, v48
	v_lshrrev_b32_e32 v86, 1, v76
	v_lshrrev_b32_e32 v85, 3, v76
	v_lshlrev_b32_e32 v80, 2, v55
	v_and_b32_e32 v54, 4, v48
	v_and_b32_e32 v52, 28, v48
	v_mbcnt_lo_u32_b32 v87, -1, 0
	s_cbranch_scc1 .LBB59_34
; %bb.11:
	v_lshl_add_u32 v0, v53, 3, v88
	s_movk_i32 s8, 0x60
	v_lshlrev_b32_e32 v1, 2, v58
	v_cmp_gt_u32_e64 s[6:7], 32, v0
	v_mad_u32_u24 v93, v0, s8, v1
	v_mul_lo_u32 v64, s50, v0
	v_mul_hi_u32 v0, s28, v79
	v_add_u32_e32 v0, v79, v0
	v_lshrrev_b32_e32 v0, s29, v0
	v_mul_lo_u32 v0, v0, s30
	v_sub_u32_e32 v0, v79, v0
	v_mul_lo_u32 v94, v0, s49
	v_or_b32_e32 v0, 1, v79
	v_mul_hi_u32 v1, s28, v0
	v_add_u32_e32 v1, v0, v1
	v_lshrrev_b32_e32 v1, s29, v1
	v_mul_lo_u32 v1, v1, s30
	v_sub_u32_e32 v0, v0, v1
	v_mul_lo_u32 v95, v0, s49
	v_mov_b32_e32 v0, 0x16c0
	v_lshl_add_u32 v96, v53, 7, v0
	v_lshl_add_u32 v0, v53, 4, v86
	v_mad_u32_u24 v92, v89, s8, 64
	s_cmp_lg_u64 s[40:41], 0
	v_cmp_gt_u32_e64 s[8:9], 16, v0
	v_lshl_add_u32 v1, v53, 2, v85
	s_movk_i32 s12, 0xa0
	v_mul_u32_u24_e32 v2, 0xa0, v0
	v_mul_lo_u32 v66, s2, v0
	v_lshlrev_b32_e32 v0, 2, v52
	v_mul_lo_u32 v60, s50, v89
	v_mov_b32_e32 v63, 0
	s_cselect_b64 s[22:23], -1, 0
	v_lshl_or_b32 v2, v54, 2, v2
	v_mad_u32_u24 v99, v1, s12, v0
	v_mul_lo_u32 v68, s2, v1
	s_add_u32 s36, s0, 0xd0
	v_mov_b32_e32 v0, 0xfeffffff
	v_cmp_gt_u32_e64 s[4:5], 32, v89
	v_mul_u32_u24_e32 v90, 0x60, v76
	v_mul_u32_u24_e32 v91, 0x140, v53
	v_ashrrev_i32_e32 v61, 31, v60
	v_ashrrev_i32_e32 v65, 31, v64
	v_lshl_add_u32 v97, v55, 1, v96
	v_cmp_gt_u32_e64 s[10:11], 16, v1
	v_add_u32_e32 v98, 0x80, v2
	v_ashrrev_i32_e32 v67, 31, v66
	v_ashrrev_i32_e32 v69, 31, v68
	s_addc_u32 s37, s1, 0
	v_mbcnt_hi_u32_b32 v100, -1, v87
	s_mov_b32 s54, 0x3fb8aa3b
	s_mov_b32 s55, 0xc2ce8ed0
	;; [unrolled: 1-line block ×3, first 2 shown]
	v_mov_b32_e32 v101, 0x7f800000
	v_mov_b32_e32 v82, 0
	v_mov_b32_e32 v81, 0
	v_mov_b32_e32 v84, 0
	v_mov_b32_e32 v83, 0
	v_mov_b32_e32 v1, v0
	v_mov_b32_e32 v50, v63
	v_mov_b32_e32 v51, v63
.LBB59_12:                              ; =>This Inner Loop Header: Depth=1
	s_mul_hi_i32 s13, s48, s50
	s_mul_i32 s12, s48, s50
	s_lshl_b64 s[12:13], s[12:13], 2
	s_add_u32 s12, s51, s12
	s_addc_u32 s13, s52, s13
	v_lshl_add_u64 v[4:5], v[60:61], 2, s[12:13]
	s_and_saveexec_b64 s[14:15], s[4:5]
	s_cbranch_execz .LBB59_14
; %bb.13:                               ;   in Loop: Header=BB59_12 Depth=1
	global_load_dwordx4 v[6:9], v[4:5], off offset:64
	s_waitcnt vmcnt(0)
	ds_write_b128 v92, v[6:9]
.LBB59_14:                              ;   in Loop: Header=BB59_12 Depth=1
	s_or_b64 exec, exec, s[14:15]
	v_lshl_add_u64 v[2:3], v[64:65], 2, s[12:13]
	v_lshlrev_b32_e32 v62, 2, v58
	s_and_saveexec_b64 s[12:13], s[6:7]
	s_cbranch_execz .LBB59_16
; %bb.15:                               ;   in Loop: Header=BB59_12 Depth=1
	v_lshl_add_u64 v[6:7], v[2:3], 0, v[62:63]
	global_load_dwordx4 v[6:9], v[6:7], off
	s_waitcnt vmcnt(0)
	ds_write_b128 v93, v[6:9]
.LBB59_16:                              ;   in Loop: Header=BB59_12 Depth=1
	s_or_b64 exec, exec, s[12:13]
	s_waitcnt lgkmcnt(0)
	s_barrier
	ds_read_b128 v[8:11], v90
	ds_read_b128 v[12:15], v91 offset:3264
	ds_read_b128 v[16:19], v91 offset:3424
	v_mov_b32_e32 v7, 0
	s_waitcnt lgkmcnt(1)
	;;#ASMSTART
	v_dot2_f32_f16 v7, v8, v12, v7
	;;#ASMEND
	s_nop 0
	;;#ASMSTART
	v_dot2_f32_f16 v7, v9, v13, v7
	;;#ASMEND
	v_mov_b32_e32 v6, 0
	;;#ASMSTART
	v_dot2_f32_f16 v7, v10, v14, v7
	;;#ASMEND
	s_nop 0
	;;#ASMSTART
	v_dot2_f32_f16 v7, v11, v15, v7
	;;#ASMEND
	s_waitcnt lgkmcnt(0)
	;;#ASMSTART
	v_dot2_f32_f16 v6, v8, v16, v6
	;;#ASMEND
	s_nop 0
	;;#ASMSTART
	v_dot2_f32_f16 v6, v9, v17, v6
	;;#ASMEND
	s_nop 0
	;;#ASMSTART
	v_dot2_f32_f16 v6, v10, v18, v6
	;;#ASMEND
	s_nop 0
	;;#ASMSTART
	v_dot2_f32_f16 v6, v11, v19, v6
	;;#ASMEND
	ds_read_b128 v[8:11], v90 offset:16
	ds_read_b128 v[12:15], v91 offset:3280
	ds_read_b128 v[16:19], v91 offset:3440
	s_waitcnt lgkmcnt(1)
	;;#ASMSTART
	v_dot2_f32_f16 v7, v8, v12, v7
	;;#ASMEND
	s_nop 0
	;;#ASMSTART
	v_dot2_f32_f16 v7, v9, v13, v7
	;;#ASMEND
	s_nop 0
	;;#ASMSTART
	v_dot2_f32_f16 v7, v10, v14, v7
	;;#ASMEND
	s_nop 0
	;;#ASMSTART
	v_dot2_f32_f16 v7, v11, v15, v7
	;;#ASMEND
	s_waitcnt lgkmcnt(0)
	;;#ASMSTART
	v_dot2_f32_f16 v6, v8, v16, v6
	;;#ASMEND
	s_nop 0
	;;#ASMSTART
	v_dot2_f32_f16 v6, v9, v17, v6
	;;#ASMEND
	s_nop 0
	;;#ASMSTART
	v_dot2_f32_f16 v6, v10, v18, v6
	;;#ASMEND
	s_nop 0
	;;#ASMSTART
	v_dot2_f32_f16 v6, v11, v19, v6
	;;#ASMEND
	ds_read_b128 v[8:11], v90 offset:32
	ds_read_b128 v[12:15], v91 offset:3296
	ds_read_b128 v[16:19], v91 offset:3456
	s_waitcnt lgkmcnt(1)
	;;#ASMSTART
	v_dot2_f32_f16 v7, v8, v12, v7
	;;#ASMEND
	s_nop 0
	;;#ASMSTART
	v_dot2_f32_f16 v7, v9, v13, v7
	;;#ASMEND
	s_nop 0
	;; [unrolled: 35-line block ×4, first 2 shown]
	;;#ASMSTART
	v_dot2_f32_f16 v7, v10, v14, v7
	;;#ASMEND
	s_nop 0
	;;#ASMSTART
	v_dot2_f32_f16 v7, v11, v15, v7
	;;#ASMEND
	s_waitcnt lgkmcnt(0)
	;;#ASMSTART
	v_dot2_f32_f16 v6, v8, v16, v6
	;;#ASMEND
	s_nop 0
	;;#ASMSTART
	v_dot2_f32_f16 v6, v9, v17, v6
	;;#ASMEND
	s_nop 0
	;; [unrolled: 4-line block ×3, first 2 shown]
	;;#ASMSTART
	v_dot2_f32_f16 v6, v11, v19, v6
	;;#ASMEND
	s_barrier
	s_and_saveexec_b64 s[12:13], s[4:5]
	s_cbranch_execz .LBB59_18
; %bb.17:                               ;   in Loop: Header=BB59_12 Depth=1
	global_load_dwordx4 v[8:11], v[4:5], off offset:144
	s_waitcnt vmcnt(0)
	ds_write_b128 v92, v[8:11]
.LBB59_18:                              ;   in Loop: Header=BB59_12 Depth=1
	s_or_b64 exec, exec, s[12:13]
	s_and_saveexec_b64 s[12:13], s[6:7]
	s_cbranch_execz .LBB59_20
; %bb.19:                               ;   in Loop: Header=BB59_12 Depth=1
	v_lshl_add_u64 v[2:3], v[2:3], 0, v[62:63]
	global_load_dwordx4 v[2:5], v[2:3], off offset:80
	s_waitcnt vmcnt(0)
	ds_write_b128 v93, v[2:5]
.LBB59_20:                              ;   in Loop: Header=BB59_12 Depth=1
	s_or_b64 exec, exec, s[12:13]
	s_waitcnt lgkmcnt(0)
	s_barrier
	ds_read_b128 v[2:5], v90
	ds_read_b128 v[8:11], v91 offset:3344
	ds_read_b128 v[12:15], v91 offset:3504
	s_waitcnt lgkmcnt(1)
	;;#ASMSTART
	v_dot2_f32_f16 v7, v2, v8, v7
	;;#ASMEND
	s_nop 0
	;;#ASMSTART
	v_dot2_f32_f16 v7, v3, v9, v7
	;;#ASMEND
	s_andn2_b64 vcc, exec, s[22:23]
	;;#ASMSTART
	v_dot2_f32_f16 v7, v4, v10, v7
	;;#ASMEND
	s_nop 0
	;;#ASMSTART
	v_dot2_f32_f16 v7, v5, v11, v7
	;;#ASMEND
	s_waitcnt lgkmcnt(0)
	;;#ASMSTART
	v_dot2_f32_f16 v6, v2, v12, v6
	;;#ASMEND
	s_nop 0
	;;#ASMSTART
	v_dot2_f32_f16 v6, v3, v13, v6
	;;#ASMEND
	s_nop 0
	;;#ASMSTART
	v_dot2_f32_f16 v6, v4, v14, v6
	;;#ASMEND
	s_nop 0
	;;#ASMSTART
	v_dot2_f32_f16 v6, v5, v15, v6
	;;#ASMEND
	ds_read_b128 v[2:5], v90 offset:16
	ds_read_b128 v[8:11], v91 offset:3360
	ds_read_b128 v[12:15], v91 offset:3520
	s_waitcnt lgkmcnt(1)
	;;#ASMSTART
	v_dot2_f32_f16 v7, v2, v8, v7
	;;#ASMEND
	s_nop 0
	;;#ASMSTART
	v_dot2_f32_f16 v7, v3, v9, v7
	;;#ASMEND
	s_nop 0
	;;#ASMSTART
	v_dot2_f32_f16 v7, v4, v10, v7
	;;#ASMEND
	s_nop 0
	;;#ASMSTART
	v_dot2_f32_f16 v7, v5, v11, v7
	;;#ASMEND
	s_waitcnt lgkmcnt(0)
	;;#ASMSTART
	v_dot2_f32_f16 v6, v2, v12, v6
	;;#ASMEND
	s_nop 0
	;;#ASMSTART
	v_dot2_f32_f16 v6, v3, v13, v6
	;;#ASMEND
	s_nop 0
	;;#ASMSTART
	v_dot2_f32_f16 v6, v4, v14, v6
	;;#ASMEND
	s_nop 0
	;;#ASMSTART
	v_dot2_f32_f16 v6, v5, v15, v6
	;;#ASMEND
	ds_read_b128 v[2:5], v90 offset:32
	ds_read_b128 v[8:11], v91 offset:3376
	ds_read_b128 v[12:15], v91 offset:3536
	s_waitcnt lgkmcnt(1)
	;;#ASMSTART
	v_dot2_f32_f16 v7, v2, v8, v7
	;;#ASMEND
	s_nop 0
	;;#ASMSTART
	v_dot2_f32_f16 v7, v3, v9, v7
	;;#ASMEND
	s_nop 0
	;; [unrolled: 35-line block ×4, first 2 shown]
	;;#ASMSTART
	v_dot2_f32_f16 v7, v4, v10, v7
	;;#ASMEND
	s_nop 0
	;;#ASMSTART
	v_dot2_f32_f16 v7, v5, v11, v7
	;;#ASMEND
	s_waitcnt lgkmcnt(0)
	;;#ASMSTART
	v_dot2_f32_f16 v6, v2, v12, v6
	;;#ASMEND
	v_cndmask_b32_e64 v2, 0, 1, s[22:23]
	;;#ASMSTART
	v_dot2_f32_f16 v6, v3, v13, v6
	;;#ASMEND
	v_cmp_ne_u32_e64 s[12:13], 1, v2
	;;#ASMSTART
	v_dot2_f32_f16 v6, v4, v14, v6
	;;#ASMEND
	v_add_u32_e32 v4, s48, v76
	v_mov_b32_e32 v3, 0
	v_mov_b32_e32 v2, 0
	;;#ASMSTART
	v_dot2_f32_f16 v6, v5, v15, v6
	;;#ASMEND
	s_cbranch_vccnz .LBB59_22
; %bb.21:                               ;   in Loop: Header=BB59_12 Depth=1
	v_add_u32_e32 v8, v4, v94
	v_ashrrev_i32_e32 v9, 31, v8
	v_lshl_add_u64 v[8:9], v[8:9], 1, s[40:41]
	flat_load_ushort v2, v[8:9]
	s_waitcnt vmcnt(0) lgkmcnt(0)
	v_cvt_f32_f16_e32 v2, v2
	v_mul_f32_e32 v2, v59, v2
.LBB59_22:                              ;   in Loop: Header=BB59_12 Depth=1
	v_and_b32_e32 v5, 0x60, v100
	v_add_u32_e32 v10, 32, v5
	v_xor_b32_e32 v5, 16, v100
	v_cmp_lt_i32_e32 vcc, v5, v10
	v_add_f32_e32 v2, v7, v2
	v_add_f32_e32 v7, 0x40051340, v2
	v_cndmask_b32_e32 v5, v100, v5, vcc
	v_max_f32_e32 v8, v0, v0
	v_lshlrev_b32_e32 v5, 2, v5
	v_max_f32_e32 v8, v8, v7
	ds_bpermute_b32 v9, v5, v8
	v_xor_b32_e32 v7, 8, v100
	v_cmp_lt_i32_e32 vcc, v7, v10
	v_xor_b32_e32 v13, 1, v100
	s_waitcnt lgkmcnt(0)
	v_max_f32_e32 v9, v9, v9
	v_cndmask_b32_e32 v7, v100, v7, vcc
	v_lshlrev_b32_e32 v7, 2, v7
	v_max_f32_e32 v9, v8, v9
	ds_bpermute_b32 v11, v7, v9
	v_xor_b32_e32 v8, 4, v100
	v_cmp_lt_i32_e32 vcc, v8, v10
	s_waitcnt lgkmcnt(0)
	v_max_f32_e32 v11, v11, v11
	v_cndmask_b32_e32 v8, v100, v8, vcc
	v_lshlrev_b32_e32 v8, 2, v8
	v_max_f32_e32 v11, v9, v11
	ds_bpermute_b32 v12, v8, v11
	v_xor_b32_e32 v9, 2, v100
	v_cmp_lt_i32_e32 vcc, v9, v10
	s_waitcnt lgkmcnt(0)
	v_max_f32_e32 v12, v12, v12
	v_cndmask_b32_e32 v9, v100, v9, vcc
	v_lshlrev_b32_e32 v9, 2, v9
	v_max_f32_e32 v11, v11, v12
	ds_bpermute_b32 v12, v9, v11
	v_cmp_lt_i32_e32 vcc, v13, v10
	s_waitcnt lgkmcnt(0)
	v_max_f32_e32 v12, v12, v12
	v_cndmask_b32_e32 v10, v100, v13, vcc
	v_lshlrev_b32_e32 v10, 2, v10
	v_max_f32_e32 v11, v11, v12
	ds_bpermute_b32 v12, v10, v11
	s_and_b64 vcc, exec, s[12:13]
	s_cbranch_vccnz .LBB59_24
; %bb.23:                               ;   in Loop: Header=BB59_12 Depth=1
	v_add_u32_e32 v14, v4, v95
	v_ashrrev_i32_e32 v15, 31, v14
	v_lshl_add_u64 v[14:15], v[14:15], 1, s[40:41]
	flat_load_ushort v3, v[14:15]
	s_waitcnt vmcnt(0) lgkmcnt(0)
	v_cvt_f32_f16_e32 v3, v3
	v_mul_f32_e32 v3, v59, v3
.LBB59_24:                              ;   in Loop: Header=BB59_12 Depth=1
	v_add_f32_e32 v3, v6, v3
	v_add_f32_e32 v4, 0x40051340, v3
	v_max_f32_e32 v6, v1, v1
	v_max_f32_e32 v4, v6, v4
	ds_bpermute_b32 v5, v5, v4
	s_waitcnt lgkmcnt(1)
	v_max_f32_e32 v6, v12, v12
	s_mul_hi_i32 s13, s48, s2
	s_mul_i32 s12, s48, s2
	s_lshl_b64 s[12:13], s[12:13], 2
	s_waitcnt lgkmcnt(0)
	v_max_f32_e32 v5, v5, v5
	v_max_f32_e32 v4, v4, v5
	ds_bpermute_b32 v5, v7, v4
	v_max_f32_e32 v7, v11, v11
	v_max_f32_e32 v56, v7, v6
	s_add_u32 s12, s46, s12
	s_addc_u32 s13, s47, s13
	s_waitcnt lgkmcnt(0)
	v_max_f32_e32 v5, v5, v5
	v_max_f32_e32 v4, v4, v5
	ds_bpermute_b32 v5, v8, v4
	v_lshlrev_b32_e32 v62, 2, v54
	s_waitcnt lgkmcnt(0)
	s_barrier
	v_max_f32_e32 v5, v5, v5
	v_max_f32_e32 v4, v4, v5
	ds_bpermute_b32 v5, v9, v4
	s_waitcnt lgkmcnt(0)
	v_max_f32_e32 v5, v5, v5
	v_max_f32_e32 v4, v4, v5
	ds_bpermute_b32 v5, v10, v4
	s_waitcnt lgkmcnt(0)
	v_max_f32_e32 v5, v5, v5
	v_max_f32_e32 v57, v4, v5
	v_pk_add_f32 v[2:3], v[2:3], v[56:57] neg_lo:[0,1] neg_hi:[0,1]
	s_nop 0
	v_mul_f32_e32 v4, 0x3fb8aa3b, v3
	v_mul_f32_e32 v5, 0x3fb8aa3b, v2
	v_fma_f32 v6, v3, s54, -v4
	v_rndne_f32_e32 v7, v4
	v_fma_f32 v8, v2, s54, -v5
	v_rndne_f32_e32 v9, v5
	v_fmac_f32_e32 v6, 0x32a5705f, v3
	v_sub_f32_e32 v4, v4, v7
	v_fmac_f32_e32 v8, 0x32a5705f, v2
	v_sub_f32_e32 v5, v5, v9
	v_add_f32_e32 v4, v4, v6
	v_cvt_i32_f32_e32 v7, v7
	v_add_f32_e32 v5, v5, v8
	v_exp_f32_e32 v4, v4
	v_cvt_i32_f32_e32 v9, v9
	v_exp_f32_e32 v5, v5
	v_cmp_ngt_f32_e32 vcc, s55, v3
	v_ldexp_f32 v4, v4, v7
	v_ldexp_f32 v5, v5, v9
	v_cndmask_b32_e32 v4, 0, v4, vcc
	v_cmp_ngt_f32_e32 vcc, s55, v2
	s_nop 1
	v_cndmask_b32_e32 v5, 0, v5, vcc
	v_cmp_nlt_f32_e32 vcc, s56, v3
	s_nop 1
	v_cndmask_b32_e32 v71, v101, v4, vcc
	v_cmp_nlt_f32_e32 vcc, s56, v2
	v_cvt_f16_f32_e32 v3, v71
	s_nop 0
	v_cndmask_b32_e32 v70, v101, v5, vcc
	v_cvt_f16_f32_e32 v2, v70
	v_pack_b32_f16 v2, v2, v3
	ds_write_b32 v97, v2
	s_and_saveexec_b64 s[14:15], s[8:9]
	s_cbranch_execz .LBB59_26
; %bb.25:                               ;   in Loop: Header=BB59_12 Depth=1
	v_lshl_add_u64 v[2:3], v[66:67], 2, s[12:13]
	v_lshl_add_u64 v[2:3], v[2:3], 0, v[62:63]
	global_load_dwordx4 v[2:5], v[2:3], off offset:128
	s_waitcnt vmcnt(0)
	ds_write_b128 v98, v[2:5]
.LBB59_26:                              ;   in Loop: Header=BB59_12 Depth=1
	s_or_b64 exec, exec, s[14:15]
	v_lshlrev_b32_e32 v72, 2, v52
	s_and_saveexec_b64 s[14:15], s[10:11]
	s_cbranch_execz .LBB59_28
; %bb.27:                               ;   in Loop: Header=BB59_12 Depth=1
	v_lshl_add_u64 v[2:3], v[68:69], 2, s[12:13]
	v_mov_b32_e32 v73, v63
	v_lshl_add_u64 v[2:3], v[2:3], 0, v[72:73]
	global_load_dwordx4 v[2:5], v[2:3], off
	s_waitcnt vmcnt(0)
	ds_write_b128 v99, v[2:5]
.LBB59_28:                              ;   in Loop: Header=BB59_12 Depth=1
	s_or_b64 exec, exec, s[14:15]
	v_pk_add_f32 v[74:75], v[0:1], v[56:57] neg_lo:[0,1] neg_hi:[0,1]
	s_waitcnt lgkmcnt(0)
	s_barrier
	ds_read2_b64 v[44:47], v80 offset1:20
	ds_read_b128 v[36:39], v96
	ds_read_b128 v[20:23], v96 offset:16
	ds_read_b128 v[4:7], v96 offset:32
	;; [unrolled: 1-line block ×3, first 2 shown]
	ds_read2_b64 v[40:43], v80 offset0:40 offset1:60
	ds_read2_b64 v[32:35], v80 offset0:80 offset1:100
	;; [unrolled: 1-line block ×5, first 2 shown]
	v_add_u32_e32 v103, 0x400, v80
	v_add_u32_e32 v102, 0x800, v80
	ds_read2_b64 v[12:15], v103 offset0:112 offset1:132
	ds_read2_b64 v[8:11], v102 offset0:24 offset1:44
	s_or_b32 s38, s48, 16
	s_mul_hi_i32 s39, s38, s2
	s_mul_i32 s38, s38, s2
	s_lshl_b64 s[38:39], s[38:39], 2
	s_add_u32 s38, s46, s38
	v_cmp_ngt_f32_e64 s[14:15], s55, v75
	v_cmp_nlt_f32_e64 s[16:17], s56, v75
	v_cmp_ngt_f32_e32 vcc, s55, v74
	v_cmp_nlt_f32_e64 s[12:13], s56, v74
	s_addc_u32 s39, s47, s39
	s_waitcnt lgkmcnt(0)
	s_barrier
	s_and_saveexec_b64 s[44:45], s[8:9]
	s_cbranch_execz .LBB59_30
; %bb.29:                               ;   in Loop: Header=BB59_12 Depth=1
	v_lshl_add_u64 v[104:105], v[66:67], 2, s[38:39]
	v_lshl_add_u64 v[104:105], v[104:105], 0, v[62:63]
	global_load_dwordx4 v[104:107], v[104:105], off offset:128
	s_waitcnt vmcnt(0)
	ds_write_b128 v98, v[104:107]
.LBB59_30:                              ;   in Loop: Header=BB59_12 Depth=1
	s_or_b64 exec, exec, s[44:45]
	v_mul_f32_e32 v62, 0x3fb8aa3b, v75
	v_fma_f32 v73, v75, s54, -v62
	v_fmac_f32_e32 v73, 0x32a5705f, v75
	v_rndne_f32_e32 v75, v62
	v_sub_f32_e32 v62, v62, v75
	v_add_f32_e32 v62, v62, v73
	v_cvt_i32_f32_e32 v73, v75
	v_mul_f32_e32 v75, 0x3fb8aa3b, v74
	v_fma_f32 v104, v74, s54, -v75
	v_fmac_f32_e32 v104, 0x32a5705f, v74
	v_rndne_f32_e32 v74, v75
	v_exp_f32_e32 v62, v62
	v_sub_f32_e32 v75, v75, v74
	v_add_f32_e32 v75, v75, v104
	v_exp_f32_e32 v104, v75
	v_cvt_i32_f32_e32 v74, v74
	v_ldexp_f32 v62, v62, v73
	v_cndmask_b32_e64 v62, 0, v62, s[14:15]
	v_cndmask_b32_e64 v75, v101, v62, s[16:17]
	v_ldexp_f32 v62, v104, v74
	v_cndmask_b32_e32 v62, 0, v62, vcc
	v_cndmask_b32_e64 v74, v101, v62, s[12:13]
	s_and_saveexec_b64 s[12:13], s[10:11]
	s_cbranch_execz .LBB59_32
; %bb.31:                               ;   in Loop: Header=BB59_12 Depth=1
	v_lshl_add_u64 v[104:105], v[68:69], 2, s[38:39]
	v_mov_b32_e32 v73, v63
	v_lshl_add_u64 v[72:73], v[104:105], 0, v[72:73]
	global_load_dwordx4 v[104:107], v[72:73], off
	s_waitcnt vmcnt(0)
	ds_write_b128 v99, v[104:107]
.LBB59_32:                              ;   in Loop: Header=BB59_12 Depth=1
	s_or_b64 exec, exec, s[12:13]
	v_cvt_f16_f32_e32 v62, v75
	v_cvt_f16_f32_e32 v72, v74
	v_pk_mul_f16 v73, v44, v36 op_sel_hi:[1,0]
	v_pk_mul_f16 v44, v44, v36 op_sel:[0,1]
	v_pk_mul_f16 v82, v62, v82 op_sel_hi:[0,1]
	v_pk_fma_f16 v44, v62, v81, v44 op_sel_hi:[0,1,1]
	v_pk_mul_f16 v62, v45, v36 op_sel_hi:[1,0]
	v_pk_fma_f16 v73, v72, v83, v73 op_sel_hi:[0,1,1]
	v_pk_fma_f16 v62, v72, v84, v62 op_sel_hi:[0,1,1]
	v_pk_fma_f16 v36, v45, v36, v82 op_sel:[0,1,0]
	v_pk_fma_f16 v45, v46, v37, v73 op_sel_hi:[1,0,1]
	v_pk_fma_f16 v44, v46, v37, v44 op_sel:[0,1,0]
	;; [unrolled: 2-line block ×31, first 2 shown]
	s_waitcnt lgkmcnt(0)
	s_barrier
	ds_read2_b64 v[0:3], v80 offset1:20
	ds_read_b128 v[4:7], v96 offset:64
	ds_read_b128 v[8:11], v96 offset:80
	;; [unrolled: 1-line block ×4, first 2 shown]
	v_pk_fma_f32 v[50:51], v[50:51], v[74:75], v[70:71]
	s_waitcnt lgkmcnt(3)
	v_pk_fma_f16 v24, v0, v4, v20 op_sel_hi:[1,0,1]
	v_pk_fma_f16 v0, v0, v4, v21 op_sel:[0,1,0]
	v_pk_fma_f16 v25, v1, v4, v22 op_sel_hi:[1,0,1]
	v_pk_fma_f16 v1, v1, v4, v23 op_sel:[0,1,0]
	ds_read2_b64 v[20:23], v80 offset0:40 offset1:60
	v_pk_fma_f16 v4, v2, v5, v24 op_sel_hi:[1,0,1]
	v_pk_fma_f16 v0, v2, v5, v0 op_sel:[0,1,0]
	v_pk_fma_f16 v2, v3, v5, v25 op_sel_hi:[1,0,1]
	v_pk_fma_f16 v1, v3, v5, v1 op_sel:[0,1,0]
	s_waitcnt lgkmcnt(0)
	v_pk_fma_f16 v4, v20, v6, v4 op_sel_hi:[1,0,1]
	v_pk_fma_f16 v5, v20, v6, v0 op_sel:[0,1,0]
	v_pk_fma_f16 v20, v21, v6, v2 op_sel_hi:[1,0,1]
	v_pk_fma_f16 v6, v21, v6, v1 op_sel:[0,1,0]
	ds_read2_b64 v[0:3], v80 offset0:80 offset1:100
	v_pk_fma_f16 v4, v22, v7, v4 op_sel_hi:[1,0,1]
	v_pk_fma_f16 v5, v22, v7, v5 op_sel:[0,1,0]
	v_pk_fma_f16 v20, v23, v7, v20 op_sel_hi:[1,0,1]
	v_pk_fma_f16 v6, v23, v7, v6 op_sel:[0,1,0]
	;; [unrolled: 10-line block ×6, first 2 shown]
	s_waitcnt lgkmcnt(0)
	v_pk_fma_f16 v8, v0, v16, v8 op_sel_hi:[1,0,1]
	v_pk_fma_f16 v0, v0, v16, v4 op_sel:[0,1,0]
	v_pk_fma_f16 v9, v1, v16, v6 op_sel_hi:[1,0,1]
	v_pk_fma_f16 v1, v1, v16, v5 op_sel:[0,1,0]
	ds_read2_b64 v[4:7], v102 offset0:24 offset1:44
	s_waitcnt lgkmcnt(0)
	s_barrier
	s_load_dword s12, s[36:37], 0x4
	v_pk_fma_f16 v8, v2, v17, v8 op_sel_hi:[1,0,1]
	v_pk_fma_f16 v0, v2, v17, v0 op_sel:[0,1,0]
	v_pk_fma_f16 v2, v3, v17, v9 op_sel_hi:[1,0,1]
	v_pk_fma_f16 v1, v3, v17, v1 op_sel:[0,1,0]
	s_waitcnt lgkmcnt(0)
	s_lshl_b32 s12, s12, 5
	v_pk_fma_f16 v3, v4, v18, v8 op_sel_hi:[1,0,1]
	v_pk_fma_f16 v0, v4, v18, v0 op_sel:[0,1,0]
	v_pk_fma_f16 v2, v5, v18, v2 op_sel_hi:[1,0,1]
	v_pk_fma_f16 v1, v5, v18, v1 op_sel:[0,1,0]
	s_add_i32 s48, s12, s48
	v_pk_fma_f16 v83, v6, v19, v3 op_sel_hi:[1,0,1]
	v_pk_fma_f16 v81, v6, v19, v0 op_sel:[0,1,0]
	v_pk_fma_f16 v84, v7, v19, v2 op_sel_hi:[1,0,1]
	s_cmp_lt_i32 s48, s53
	v_pk_fma_f16 v82, v7, v19, v1 op_sel:[0,1,0]
	s_cbranch_scc0 .LBB59_35
; %bb.33:                               ;   in Loop: Header=BB59_12 Depth=1
	v_mov_b32_e32 v0, v56
	v_mov_b32_e32 v1, v57
	s_branch .LBB59_12
.LBB59_34:
	s_mov_b32 s5, s4
	v_mov_b64_e32 v[56:57], s[4:5]
	v_mov_b32_e32 v50, v51
	v_mov_b32_e32 v84, 0
	;; [unrolled: 1-line block ×4, first 2 shown]
.LBB59_35:
	s_cmp_gt_i32 s42, s48
	s_cbranch_scc1 .LBB59_37
; %bb.36:
	v_mbcnt_hi_u32_b32 v66, -1, v87
	v_and_b32_e32 v0, 0x60, v66
	v_add_u32_e32 v67, 32, v0
	v_xor_b32_e32 v68, 16, v66
	v_xor_b32_e32 v69, 8, v66
	;; [unrolled: 1-line block ×5, first 2 shown]
	v_mov_b64_e32 v[60:61], v[50:51]
	s_cbranch_execz .LBB59_38
	s_branch .LBB59_65
.LBB59_37:
                                        ; implicit-def: $vgpr66
                                        ; implicit-def: $vgpr67
                                        ; implicit-def: $vgpr68
                                        ; implicit-def: $vgpr69
                                        ; implicit-def: $vgpr70
                                        ; implicit-def: $vgpr71
                                        ; implicit-def: $vgpr72
                                        ; implicit-def: $vgpr60_vgpr61
.LBB59_38:
	s_mul_hi_i32 s5, s48, s50
	s_mul_i32 s4, s48, s50
	s_sub_i32 s14, s42, s48
	s_lshl_b64 s[4:5], s[4:5], 2
	s_add_u32 s12, s51, s4
	s_mov_b64 s[10:11], src_private_base
	v_mul_lo_u32 v0, s50, v89
	s_addc_u32 s13, s52, s5
	s_movk_i32 s10, 0x60
	v_ashrrev_i32_e32 v1, 31, v0
	v_cmp_gt_u32_e64 s[6:7], 32, v89
	v_mad_u32_u24 v10, v89, s10, 64
	v_cmp_gt_i32_e32 vcc, s14, v89
	v_lshl_add_u64 v[4:5], v[0:1], 2, s[12:13]
	s_and_saveexec_b64 s[4:5], s[6:7]
	s_cbranch_execz .LBB59_40
; %bb.39:
	v_mov_b32_e32 v0, 0
	v_mov_b32_e32 v1, v0
	;; [unrolled: 1-line block ×3, first 2 shown]
	scratch_store_dword off, v0, off
	scratch_store_dwordx3 off, v[0:2], off offset:4
	s_nop 1
	v_lshl_add_u64 v[0:1], v[4:5], 0, 64
	v_mov_b32_e32 v2, s11
	v_cndmask_b32_e32 v1, v2, v1, vcc
	v_mov_b32_e32 v2, 0
	v_cndmask_b32_e32 v0, v2, v0, vcc
	flat_load_dwordx4 v[0:3], v[0:1]
	s_waitcnt vmcnt(0) lgkmcnt(0)
	ds_write_b128 v10, v[0:3]
.LBB59_40:
	s_or_b64 exec, exec, s[4:5]
	v_lshl_add_u32 v0, v53, 3, v88
	v_mul_lo_u32 v2, s50, v0
	v_lshlrev_b32_e32 v6, 2, v58
	v_ashrrev_i32_e32 v3, 31, v2
	v_cmp_gt_u32_e64 s[8:9], 32, v0
	v_mov_b32_e32 v1, 0
	v_mad_u32_u24 v11, v0, s10, v6
	v_cmp_gt_i32_e64 s[4:5], s14, v0
	v_lshl_add_u64 v[8:9], v[2:3], 2, s[12:13]
	s_and_saveexec_b64 s[12:13], s[8:9]
	s_cbranch_execz .LBB59_42
; %bb.41:
	v_mov_b32_e32 v0, v1
	v_mov_b32_e32 v2, v1
	;; [unrolled: 1-line block ×3, first 2 shown]
	scratch_store_dwordx3 off, v[0:2], off offset:4
	scratch_store_dword off, v1, off
	s_nop 0
	v_lshl_add_u64 v[2:3], v[8:9], 0, v[6:7]
	v_mov_b32_e32 v0, s11
	v_cndmask_b32_e64 v3, v0, v3, s[4:5]
	v_mov_b32_e32 v0, 0
	v_cndmask_b32_e64 v2, v0, v2, s[4:5]
	flat_load_dwordx4 v[12:15], v[2:3]
	s_waitcnt vmcnt(0) lgkmcnt(0)
	ds_write_b128 v11, v[12:15]
.LBB59_42:
	s_or_b64 exec, exec, s[12:13]
	v_mul_u32_u24_e32 v3, 0x60, v76
	v_mul_u32_u24_e32 v2, 0x140, v53
	s_waitcnt lgkmcnt(0)
	s_barrier
	ds_read_b128 v[12:15], v3
	ds_read_b128 v[16:19], v2 offset:3264
	ds_read_b128 v[20:23], v2 offset:3424
	v_mov_b32_e32 v0, 0
	s_waitcnt lgkmcnt(1)
	;;#ASMSTART
	v_dot2_f32_f16 v0, v12, v16, v0
	;;#ASMEND
	s_nop 0
	;;#ASMSTART
	v_dot2_f32_f16 v0, v13, v17, v0
	;;#ASMEND
	s_nop 0
	;;#ASMSTART
	v_dot2_f32_f16 v0, v14, v18, v0
	;;#ASMEND
	s_nop 0
	;;#ASMSTART
	v_dot2_f32_f16 v0, v15, v19, v0
	;;#ASMEND
	s_waitcnt lgkmcnt(0)
	;;#ASMSTART
	v_dot2_f32_f16 v1, v12, v20, v1
	;;#ASMEND
	s_nop 0
	;;#ASMSTART
	v_dot2_f32_f16 v1, v13, v21, v1
	;;#ASMEND
	s_nop 0
	;;#ASMSTART
	v_dot2_f32_f16 v1, v14, v22, v1
	;;#ASMEND
	s_nop 0
	;;#ASMSTART
	v_dot2_f32_f16 v1, v15, v23, v1
	;;#ASMEND
	ds_read_b128 v[12:15], v3 offset:16
	ds_read_b128 v[16:19], v2 offset:3280
	ds_read_b128 v[20:23], v2 offset:3440
	s_waitcnt lgkmcnt(1)
	;;#ASMSTART
	v_dot2_f32_f16 v0, v12, v16, v0
	;;#ASMEND
	s_nop 0
	;;#ASMSTART
	v_dot2_f32_f16 v0, v13, v17, v0
	;;#ASMEND
	s_nop 0
	;;#ASMSTART
	v_dot2_f32_f16 v0, v14, v18, v0
	;;#ASMEND
	s_nop 0
	;;#ASMSTART
	v_dot2_f32_f16 v0, v15, v19, v0
	;;#ASMEND
	s_waitcnt lgkmcnt(0)
	;;#ASMSTART
	v_dot2_f32_f16 v1, v12, v20, v1
	;;#ASMEND
	s_nop 0
	;;#ASMSTART
	v_dot2_f32_f16 v1, v13, v21, v1
	;;#ASMEND
	s_nop 0
	;;#ASMSTART
	v_dot2_f32_f16 v1, v14, v22, v1
	;;#ASMEND
	s_nop 0
	;;#ASMSTART
	v_dot2_f32_f16 v1, v15, v23, v1
	;;#ASMEND
	ds_read_b128 v[12:15], v3 offset:32
	ds_read_b128 v[16:19], v2 offset:3296
	ds_read_b128 v[20:23], v2 offset:3456
	;; [unrolled: 35-line block ×4, first 2 shown]
	s_waitcnt lgkmcnt(1)
	;;#ASMSTART
	v_dot2_f32_f16 v0, v12, v16, v0
	;;#ASMEND
	s_nop 0
	;;#ASMSTART
	v_dot2_f32_f16 v0, v13, v17, v0
	;;#ASMEND
	s_nop 0
	;; [unrolled: 4-line block ×3, first 2 shown]
	;;#ASMSTART
	v_dot2_f32_f16 v0, v15, v19, v0
	;;#ASMEND
	s_waitcnt lgkmcnt(0)
	;;#ASMSTART
	v_dot2_f32_f16 v1, v12, v20, v1
	;;#ASMEND
	s_nop 0
	;;#ASMSTART
	v_dot2_f32_f16 v1, v13, v21, v1
	;;#ASMEND
	s_nop 0
	;; [unrolled: 4-line block ×3, first 2 shown]
	;;#ASMSTART
	v_dot2_f32_f16 v1, v15, v23, v1
	;;#ASMEND
	s_barrier
	s_and_saveexec_b64 s[12:13], s[6:7]
	s_cbranch_execz .LBB59_44
; %bb.43:
	s_mov_b64 s[6:7], 0x90
	v_mov_b32_e32 v12, 0
	v_lshl_add_u64 v[4:5], v[4:5], 0, s[6:7]
	v_mov_b32_e32 v7, s11
	v_mov_b32_e32 v13, v12
	;; [unrolled: 1-line block ×3, first 2 shown]
	v_cndmask_b32_e32 v5, v7, v5, vcc
	v_mov_b32_e32 v7, 0
	scratch_store_dword off, v12, off
	scratch_store_dwordx3 off, v[12:14], off offset:4
	v_cndmask_b32_e32 v4, v7, v4, vcc
	flat_load_dwordx4 v[12:15], v[4:5]
	s_waitcnt vmcnt(0) lgkmcnt(0)
	ds_write_b128 v10, v[12:15]
.LBB59_44:
	s_or_b64 exec, exec, s[12:13]
	s_and_saveexec_b64 s[6:7], s[8:9]
	s_cbranch_execz .LBB59_46
; %bb.45:
	v_mov_b32_e32 v12, 0
	v_mov_b32_e32 v7, v12
	v_lshl_add_u64 v[4:5], v[8:9], 0, v[6:7]
	s_mov_b64 s[8:9], 0x50
	v_lshl_add_u64 v[4:5], v[4:5], 0, s[8:9]
	v_mov_b32_e32 v6, s11
	v_mov_b32_e32 v13, v12
	;; [unrolled: 1-line block ×3, first 2 shown]
	v_cndmask_b32_e64 v5, v6, v5, s[4:5]
	v_mov_b32_e32 v6, 0
	scratch_store_dword off, v12, off
	scratch_store_dwordx3 off, v[12:14], off offset:4
	v_cndmask_b32_e64 v4, v6, v4, s[4:5]
	flat_load_dwordx4 v[4:7], v[4:5]
	s_waitcnt vmcnt(0) lgkmcnt(0)
	ds_write_b128 v11, v[4:7]
.LBB59_46:
	s_or_b64 exec, exec, s[6:7]
	s_waitcnt lgkmcnt(0)
	s_barrier
	ds_read_b128 v[4:7], v3
	ds_read_b128 v[8:11], v2 offset:3344
	ds_read_b128 v[12:15], v2 offset:3504
	s_waitcnt lgkmcnt(1)
	;;#ASMSTART
	v_dot2_f32_f16 v0, v4, v8, v0
	;;#ASMEND
	s_nop 0
	;;#ASMSTART
	v_dot2_f32_f16 v0, v5, v9, v0
	;;#ASMEND
	s_cmp_lg_u64 s[40:41], 0
	;;#ASMSTART
	v_dot2_f32_f16 v0, v6, v10, v0
	;;#ASMEND
	s_cselect_b64 s[6:7], -1, 0
	;;#ASMSTART
	v_dot2_f32_f16 v0, v7, v11, v0
	;;#ASMEND
	s_waitcnt lgkmcnt(0)
	;;#ASMSTART
	v_dot2_f32_f16 v1, v4, v12, v1
	;;#ASMEND
	v_cmp_gt_i32_e64 s[4:5], s14, v76
	;;#ASMSTART
	v_dot2_f32_f16 v1, v5, v13, v1
	;;#ASMEND
	s_nop 0
	;;#ASMSTART
	v_dot2_f32_f16 v1, v6, v14, v1
	;;#ASMEND
	s_nop 0
	;;#ASMSTART
	v_dot2_f32_f16 v1, v7, v15, v1
	;;#ASMEND
	ds_read_b128 v[4:7], v3 offset:16
	ds_read_b128 v[8:11], v2 offset:3360
	ds_read_b128 v[12:15], v2 offset:3520
	s_waitcnt lgkmcnt(1)
	;;#ASMSTART
	v_dot2_f32_f16 v0, v4, v8, v0
	;;#ASMEND
	s_nop 0
	;;#ASMSTART
	v_dot2_f32_f16 v0, v5, v9, v0
	;;#ASMEND
	s_nop 0
	;;#ASMSTART
	v_dot2_f32_f16 v0, v6, v10, v0
	;;#ASMEND
	s_nop 0
	;;#ASMSTART
	v_dot2_f32_f16 v0, v7, v11, v0
	;;#ASMEND
	s_waitcnt lgkmcnt(0)
	;;#ASMSTART
	v_dot2_f32_f16 v1, v4, v12, v1
	;;#ASMEND
	s_nop 0
	;;#ASMSTART
	v_dot2_f32_f16 v1, v5, v13, v1
	;;#ASMEND
	s_nop 0
	;;#ASMSTART
	v_dot2_f32_f16 v1, v6, v14, v1
	;;#ASMEND
	s_nop 0
	;;#ASMSTART
	v_dot2_f32_f16 v1, v7, v15, v1
	;;#ASMEND
	ds_read_b128 v[4:7], v3 offset:32
	ds_read_b128 v[8:11], v2 offset:3376
	ds_read_b128 v[12:15], v2 offset:3536
	s_waitcnt lgkmcnt(1)
	;;#ASMSTART
	v_dot2_f32_f16 v0, v4, v8, v0
	;;#ASMEND
	s_nop 0
	;;#ASMSTART
	v_dot2_f32_f16 v0, v5, v9, v0
	;;#ASMEND
	s_nop 0
	;;#ASMSTART
	v_dot2_f32_f16 v0, v6, v10, v0
	;;#ASMEND
	s_nop 0
	;;#ASMSTART
	v_dot2_f32_f16 v0, v7, v11, v0
	;;#ASMEND
	s_waitcnt lgkmcnt(0)
	;;#ASMSTART
	v_dot2_f32_f16 v1, v4, v12, v1
	;;#ASMEND
	s_nop 0
	;; [unrolled: 35-line block ×3, first 2 shown]
	;;#ASMSTART
	v_dot2_f32_f16 v1, v5, v13, v1
	;;#ASMEND
	s_nop 0
	;;#ASMSTART
	v_dot2_f32_f16 v1, v6, v14, v1
	;;#ASMEND
	s_nop 0
	;;#ASMSTART
	v_dot2_f32_f16 v1, v7, v15, v1
	;;#ASMEND
	ds_read_b128 v[4:7], v3 offset:64
	ds_read_b128 v[8:11], v2 offset:3408
	;; [unrolled: 1-line block ×3, first 2 shown]
	s_waitcnt lgkmcnt(1)
	;;#ASMSTART
	v_dot2_f32_f16 v0, v4, v8, v0
	;;#ASMEND
	s_nop 0
	;;#ASMSTART
	v_dot2_f32_f16 v0, v5, v9, v0
	;;#ASMEND
	v_cndmask_b32_e64 v3, 0, 1, s[6:7]
	;;#ASMSTART
	v_dot2_f32_f16 v0, v6, v10, v0
	;;#ASMEND
	v_add_u32_e32 v2, s48, v76
	;;#ASMSTART
	v_dot2_f32_f16 v0, v7, v11, v0
	;;#ASMEND
	s_waitcnt lgkmcnt(0)
	;;#ASMSTART
	v_dot2_f32_f16 v1, v4, v12, v1
	;;#ASMEND
	v_cmp_ne_u32_e64 s[6:7], 1, v3
	;;#ASMSTART
	v_dot2_f32_f16 v1, v5, v13, v1
	;;#ASMEND
	v_mov_b32_e32 v3, v56
	;;#ASMSTART
	v_dot2_f32_f16 v1, v6, v14, v1
	;;#ASMEND
	s_nop 0
	;;#ASMSTART
	v_dot2_f32_f16 v1, v7, v15, v1
	;;#ASMEND
	s_and_saveexec_b64 s[8:9], s[4:5]
	s_cbranch_execz .LBB59_51
; %bb.47:
	s_and_b64 vcc, exec, s[6:7]
	s_cbranch_vccnz .LBB59_49
; %bb.48:
	v_mul_hi_u32 v3, s28, v79
	v_add_u32_e32 v3, v79, v3
	v_lshrrev_b32_e32 v3, s29, v3
	v_mul_lo_u32 v3, v3, s30
	v_sub_u32_e32 v3, v79, v3
	v_mad_u64_u32 v[4:5], s[10:11], v3, s49, v[2:3]
	v_ashrrev_i32_e32 v5, 31, v4
	v_lshl_add_u64 v[4:5], v[4:5], 1, s[40:41]
	flat_load_ushort v3, v[4:5]
	s_waitcnt vmcnt(0) lgkmcnt(0)
	v_cvt_f32_f16_e32 v3, v3
	v_mul_f32_e32 v3, v59, v3
	s_branch .LBB59_50
.LBB59_49:
	v_mov_b32_e32 v3, 0
.LBB59_50:
	v_add_f32_e32 v0, v0, v3
	v_add_f32_e32 v3, 0x40051340, v0
	v_max_f32_e32 v4, v56, v56
	v_max_f32_e32 v3, v4, v3
.LBB59_51:
	s_or_b64 exec, exec, s[8:9]
	v_mbcnt_hi_u32_b32 v66, -1, v87
	v_and_b32_e32 v4, 0x60, v66
	v_add_u32_e32 v67, 32, v4
	v_xor_b32_e32 v68, 16, v66
	v_cmp_lt_i32_e32 vcc, v68, v67
	v_xor_b32_e32 v69, 8, v66
	v_xor_b32_e32 v70, 4, v66
	v_cndmask_b32_e32 v4, v66, v68, vcc
	v_lshlrev_b32_e32 v7, 2, v4
	ds_bpermute_b32 v4, v7, v3
	v_cmp_lt_i32_e32 vcc, v69, v67
	v_max_f32_e32 v3, v3, v3
	v_xor_b32_e32 v71, 2, v66
	v_cndmask_b32_e32 v5, v66, v69, vcc
	s_waitcnt lgkmcnt(0)
	v_max_f32_e32 v4, v4, v4
	v_lshlrev_b32_e32 v8, 2, v5
	v_max_f32_e32 v3, v3, v4
	ds_bpermute_b32 v5, v8, v3
	v_cmp_lt_i32_e32 vcc, v70, v67
	v_xor_b32_e32 v72, 1, v66
	s_waitcnt lgkmcnt(0)
	v_max_f32_e32 v5, v5, v5
	v_cndmask_b32_e32 v4, v66, v70, vcc
	v_lshlrev_b32_e32 v4, 2, v4
	v_max_f32_e32 v3, v3, v5
	ds_bpermute_b32 v6, v4, v3
	v_cmp_lt_i32_e32 vcc, v71, v67
	s_waitcnt lgkmcnt(0)
	v_max_f32_e32 v6, v6, v6
	v_cndmask_b32_e32 v5, v66, v71, vcc
	v_lshlrev_b32_e32 v5, 2, v5
	v_max_f32_e32 v3, v3, v6
	ds_bpermute_b32 v9, v5, v3
	v_cmp_lt_i32_e32 vcc, v72, v67
	s_waitcnt lgkmcnt(0)
	v_max_f32_e32 v9, v9, v9
	v_cndmask_b32_e32 v6, v66, v72, vcc
	v_lshlrev_b32_e32 v6, 2, v6
	v_max_f32_e32 v3, v3, v9
	ds_bpermute_b32 v9, v6, v3
	s_waitcnt lgkmcnt(0)
	v_max_f32_e32 v9, v9, v9
	v_max_f32_e32 v58, v3, v9
	v_mov_b32_e32 v3, v57
	s_and_saveexec_b64 s[8:9], s[4:5]
	s_cbranch_execz .LBB59_56
; %bb.52:
	s_and_b64 vcc, exec, s[6:7]
	s_cbranch_vccnz .LBB59_54
; %bb.53:
	v_or_b32_e32 v3, 1, v79
	v_mul_hi_u32 v9, s28, v3
	v_add_u32_e32 v9, v3, v9
	v_lshrrev_b32_e32 v9, s29, v9
	v_mul_lo_u32 v9, v9, s30
	v_sub_u32_e32 v3, v3, v9
	v_mad_u64_u32 v[2:3], s[4:5], v3, s49, v[2:3]
	v_ashrrev_i32_e32 v3, 31, v2
	v_lshl_add_u64 v[2:3], v[2:3], 1, s[40:41]
	flat_load_ushort v2, v[2:3]
	s_waitcnt vmcnt(0) lgkmcnt(0)
	v_cvt_f32_f16_e32 v2, v2
	v_mul_f32_e32 v2, v59, v2
	s_branch .LBB59_55
.LBB59_54:
	v_mov_b32_e32 v2, 0
.LBB59_55:
	v_add_f32_e32 v1, v1, v2
	v_add_f32_e32 v2, 0x40051340, v1
	v_max_f32_e32 v3, v57, v57
	v_max_f32_e32 v3, v3, v2
.LBB59_56:
	s_or_b64 exec, exec, s[8:9]
	ds_bpermute_b32 v2, v7, v3
	v_max_f32_e32 v3, v3, v3
	v_sub_f32_e32 v0, v0, v58
	s_mov_b32 s4, 0x3fb8aa3b
	s_mov_b32 s5, 0xc2ce8ed0
	s_waitcnt lgkmcnt(0)
	v_max_f32_e32 v2, v2, v2
	v_max_f32_e32 v2, v3, v2
	ds_bpermute_b32 v3, v8, v2
	s_mov_b32 s6, 0x42b17218
	v_cmp_ngt_f32_e32 vcc, s5, v0
	v_lshl_add_u32 v74, v53, 4, v86
	s_waitcnt lgkmcnt(0)
	v_max_f32_e32 v3, v3, v3
	v_max_f32_e32 v2, v2, v3
	ds_bpermute_b32 v3, v4, v2
	v_mul_f32_e32 v4, 0x3fb8aa3b, v0
	v_fma_f32 v7, v0, s4, -v4
	v_rndne_f32_e32 v8, v4
	v_fmac_f32_e32 v7, 0x32a5705f, v0
	s_waitcnt lgkmcnt(0)
	v_max_f32_e32 v3, v3, v3
	v_max_f32_e32 v2, v2, v3
	ds_bpermute_b32 v3, v5, v2
	v_sub_f32_e32 v4, v4, v8
	v_add_f32_e32 v4, v4, v7
	v_cvt_i32_f32_e32 v5, v8
	v_exp_f32_e32 v4, v4
	s_waitcnt lgkmcnt(0)
	v_max_f32_e32 v3, v3, v3
	v_max_f32_e32 v2, v2, v3
	ds_bpermute_b32 v3, v6, v2
	v_ldexp_f32 v4, v4, v5
	v_mov_b32_e32 v6, 0x7f800000
	v_cndmask_b32_e32 v4, 0, v4, vcc
	v_cmp_nlt_f32_e32 vcc, s6, v0
	s_waitcnt lgkmcnt(0)
	v_max_f32_e32 v3, v3, v3
	v_max_f32_e32 v59, v2, v3
	v_sub_f32_e32 v1, v1, v59
	v_mul_f32_e32 v2, 0x3fb8aa3b, v1
	v_cndmask_b32_e32 v0, v6, v4, vcc
	v_fma_f32 v3, v1, s4, -v2
	v_rndne_f32_e32 v4, v2
	v_fmac_f32_e32 v3, 0x32a5705f, v1
	v_sub_f32_e32 v2, v2, v4
	v_add_f32_e32 v2, v2, v3
	v_exp_f32_e32 v2, v2
	v_cvt_i32_f32_e32 v3, v4
	v_cmp_ngt_f32_e64 s[4:5], s5, v1
	v_cmp_gt_u32_e32 vcc, s14, v76
	s_barrier
	v_ldexp_f32 v2, v2, v3
	v_cndmask_b32_e64 v2, 0, v2, s[4:5]
	v_cmp_nlt_f32_e64 s[4:5], s6, v1
	v_cndmask_b32_e32 v60, 0, v0, vcc
	v_cvt_f16_f32_e32 v0, v60
	v_cndmask_b32_e64 v1, v6, v2, s[4:5]
	v_cndmask_b32_e32 v61, 0, v1, vcc
	v_cvt_f16_f32_e32 v1, v61
	v_mov_b32_e32 v2, 0x16c0
	v_lshl_add_u32 v73, v53, 7, v2
	v_lshl_add_u32 v2, v55, 1, v73
	v_pack_b32_f16 v0, v0, v1
	s_mul_hi_i32 s5, s48, s2
	s_mul_i32 s4, s48, s2
	ds_write_b32 v2, v0
	v_mul_u32_u24_e32 v0, 0xa0, v74
	s_lshl_b64 s[4:5], s[4:5], 2
	s_mov_b64 s[10:11], src_private_base
	v_lshl_or_b32 v0, v54, 2, v0
	v_mul_lo_u32 v62, s2, v74
	s_add_u32 s6, s46, s4
	v_cmp_gt_u32_e32 vcc, 16, v74
	s_movk_i32 s10, 0xa0
	v_add_u32_e32 v75, 0x80, v0
	v_ashrrev_i32_e32 v63, 31, v62
	s_addc_u32 s7, s47, s5
	v_lshlrev_b32_e32 v54, 2, v54
	s_and_saveexec_b64 s[8:9], vcc
	s_cbranch_execz .LBB59_58
; %bb.57:
	v_mov_b32_e32 v0, 0
	v_mov_b32_e32 v1, v0
	;; [unrolled: 1-line block ×3, first 2 shown]
	scratch_store_dwordx3 off, v[0:2], off offset:4
	v_mov_b32_e32 v55, v0
	scratch_store_dword off, v0, off
	v_lshl_add_u64 v[2:3], v[62:63], 2, s[6:7]
	v_lshl_add_u64 v[0:1], v[2:3], 0, v[54:55]
	s_mov_b64 s[4:5], 0x80
	v_lshl_add_u64 v[0:1], v[0:1], 0, s[4:5]
	v_mov_b32_e32 v2, s11
	v_cmp_gt_i32_e64 s[4:5], s14, v74
	s_nop 1
	v_cndmask_b32_e64 v1, v2, v1, s[4:5]
	v_mov_b32_e32 v2, 0
	v_cndmask_b32_e64 v0, v2, v0, s[4:5]
	flat_load_dwordx4 v[0:3], v[0:1]
	s_waitcnt vmcnt(0) lgkmcnt(0)
	ds_write_b128 v75, v[0:3]
.LBB59_58:
	s_or_b64 exec, exec, s[8:9]
	v_lshl_add_u32 v86, v53, 2, v85
	v_lshlrev_b32_e32 v52, 2, v52
	v_mul_lo_u32 v64, s2, v86
	v_cmp_gt_u32_e64 s[4:5], 16, v86
	v_mov_b32_e32 v0, 0
	v_mad_u32_u24 v85, v86, s10, v52
	v_ashrrev_i32_e32 v65, 31, v64
	s_and_saveexec_b64 s[8:9], s[4:5]
	s_cbranch_execz .LBB59_60
; %bb.59:
	v_mov_b32_e32 v1, v0
	v_mov_b32_e32 v2, v0
	scratch_store_dwordx3 off, v[0:2], off offset:4
	v_mov_b32_e32 v53, v0
	scratch_store_dword off, v0, off
	v_lshl_add_u64 v[2:3], v[64:65], 2, s[6:7]
	v_lshl_add_u64 v[0:1], v[2:3], 0, v[52:53]
	v_mov_b32_e32 v2, s11
	v_cmp_gt_i32_e64 s[6:7], s14, v86
	s_nop 1
	v_cndmask_b32_e64 v1, v2, v1, s[6:7]
	v_mov_b32_e32 v2, 0
	v_cndmask_b32_e64 v0, v2, v0, s[6:7]
	flat_load_dwordx4 v[0:3], v[0:1]
	s_waitcnt vmcnt(0) lgkmcnt(0)
	ds_write_b128 v85, v[0:3]
.LBB59_60:
	s_or_b64 exec, exec, s[8:9]
	v_sub_f32_e32 v0, v56, v58
	s_mov_b32 s8, 0x3fb8aa3b
	v_mul_f32_e32 v1, 0x3fb8aa3b, v0
	v_fma_f32 v2, v0, s8, -v1
	v_rndne_f32_e32 v3, v1
	v_fmac_f32_e32 v2, 0x32a5705f, v0
	v_sub_f32_e32 v1, v1, v3
	v_add_f32_e32 v1, v1, v2
	v_exp_f32_e32 v1, v1
	v_cvt_i32_f32_e32 v2, v3
	s_mov_b32 s9, 0xc2ce8ed0
	v_cmp_ngt_f32_e64 s[6:7], s9, v0
	s_mov_b32 s10, 0x42b17218
	v_ldexp_f32 v1, v1, v2
	v_cndmask_b32_e64 v53, 0, v1, s[6:7]
	v_sub_f32_e32 v1, v57, v59
	v_mul_f32_e32 v2, 0x3fb8aa3b, v1
	v_fma_f32 v3, v1, s8, -v2
	v_rndne_f32_e32 v4, v2
	v_fmac_f32_e32 v3, 0x32a5705f, v1
	v_sub_f32_e32 v2, v2, v4
	v_add_f32_e32 v2, v2, v3
	v_exp_f32_e32 v2, v2
	v_cvt_i32_f32_e32 v3, v4
	v_cmp_nlt_f32_e64 s[6:7], s10, v0
	v_cmp_ngt_f32_e64 s[8:9], s9, v1
	s_waitcnt lgkmcnt(0)
	v_ldexp_f32 v0, v2, v3
	v_cndmask_b32_e64 v57, 0, v0, s[8:9]
	v_cmp_nlt_f32_e64 s[8:9], s10, v1
	s_barrier
	ds_read2_b64 v[44:47], v80 offset1:20
	ds_read_b128 v[36:39], v73
	ds_read_b128 v[20:23], v73 offset:16
	ds_read_b128 v[4:7], v73 offset:32
	;; [unrolled: 1-line block ×3, first 2 shown]
	ds_read2_b64 v[40:43], v80 offset0:40 offset1:60
	ds_read2_b64 v[32:35], v80 offset0:80 offset1:100
	;; [unrolled: 1-line block ×5, first 2 shown]
	v_add_u32_e32 v8, 0x400, v80
	ds_read2_b64 v[12:15], v8 offset0:112 offset1:132
	v_add_u32_e32 v8, 0x800, v80
	ds_read2_b64 v[8:11], v8 offset0:24 offset1:44
	s_or_b32 s10, s48, 16
	s_mul_hi_i32 s13, s10, s2
	s_mul_i32 s12, s10, s2
	s_lshl_b64 s[12:13], s[12:13], 2
	s_add_u32 s12, s46, s12
	v_mov_b32_e32 v56, 0x7f800000
	s_addc_u32 s13, s47, s13
	s_add_i32 s2, s14, -16
	s_waitcnt lgkmcnt(0)
	s_barrier
	s_and_saveexec_b64 s[14:15], vcc
	s_cbranch_execz .LBB59_62
; %bb.61:
	v_mov_b32_e32 v88, 0
	v_lshl_add_u64 v[62:63], v[62:63], 2, s[12:13]
	v_mov_b32_e32 v55, v88
	v_lshl_add_u64 v[54:55], v[62:63], 0, v[54:55]
	s_mov_b64 s[16:17], 0x80
	v_lshl_add_u64 v[54:55], v[54:55], 0, s[16:17]
	v_mov_b32_e32 v62, s11
	v_cmp_gt_i32_e32 vcc, s2, v74
	v_mov_b32_e32 v89, v88
	v_mov_b32_e32 v90, v88
	v_cndmask_b32_e32 v55, v62, v55, vcc
	v_mov_b32_e32 v62, 0
	scratch_store_dword off, v88, off
	scratch_store_dwordx3 off, v[88:90], off offset:4
	v_cndmask_b32_e32 v54, v62, v54, vcc
	flat_load_dwordx4 v[88:91], v[54:55]
	s_waitcnt vmcnt(0) lgkmcnt(0)
	ds_write_b128 v75, v[88:91]
.LBB59_62:
	s_or_b64 exec, exec, s[14:15]
	v_cndmask_b32_e64 v55, v56, v53, s[6:7]
	v_cndmask_b32_e64 v54, v56, v57, s[8:9]
	s_and_saveexec_b64 s[6:7], s[4:5]
	s_cbranch_execz .LBB59_64
; %bb.63:
	v_mov_b32_e32 v88, 0
	v_lshl_add_u64 v[56:57], v[64:65], 2, s[12:13]
	v_mov_b32_e32 v53, v88
	v_lshl_add_u64 v[52:53], v[56:57], 0, v[52:53]
	v_mov_b32_e32 v56, s11
	v_cmp_gt_i32_e32 vcc, s2, v86
	v_mov_b32_e32 v89, v88
	v_mov_b32_e32 v90, v88
	v_cndmask_b32_e32 v53, v56, v53, vcc
	v_mov_b32_e32 v56, 0
	scratch_store_dword off, v88, off
	scratch_store_dwordx3 off, v[88:90], off offset:4
	v_cndmask_b32_e32 v52, v56, v52, vcc
	flat_load_dwordx4 v[62:65], v[52:53]
	s_waitcnt vmcnt(0) lgkmcnt(0)
	ds_write_b128 v85, v[62:65]
.LBB59_64:
	s_or_b64 exec, exec, s[6:7]
	v_cvt_f16_f32_e32 v52, v54
	v_cvt_f16_f32_e32 v53, v55
	v_pk_mul_f16 v56, v44, v36 op_sel_hi:[1,0]
	v_pk_mul_f16 v44, v44, v36 op_sel:[0,1]
	v_pk_mul_f16 v57, v52, v82 op_sel_hi:[0,1]
	v_pk_fma_f16 v44, v52, v81, v44 op_sel_hi:[0,1,1]
	v_pk_mul_f16 v52, v45, v36 op_sel_hi:[1,0]
	v_pk_fma_f16 v56, v53, v83, v56 op_sel_hi:[0,1,1]
	v_pk_fma_f16 v52, v53, v84, v52 op_sel_hi:[0,1,1]
	v_pk_fma_f16 v36, v45, v36, v57 op_sel:[0,1,0]
	v_pk_fma_f16 v45, v46, v37, v56 op_sel_hi:[1,0,1]
	v_pk_fma_f16 v44, v46, v37, v44 op_sel:[0,1,0]
	;; [unrolled: 2-line block ×31, first 2 shown]
	s_waitcnt lgkmcnt(0)
	s_barrier
	ds_read2_b64 v[0:3], v80 offset1:20
	ds_read_b128 v[4:7], v73 offset:64
	ds_read_b128 v[8:11], v73 offset:80
	;; [unrolled: 1-line block ×4, first 2 shown]
	v_fmac_f32_e32 v60, v50, v55
	v_fmac_f32_e32 v61, v51, v54
	v_mov_b64_e32 v[56:57], v[58:59]
	s_waitcnt lgkmcnt(3)
	v_pk_fma_f16 v24, v0, v4, v20 op_sel_hi:[1,0,1]
	v_pk_fma_f16 v0, v0, v4, v21 op_sel:[0,1,0]
	v_pk_fma_f16 v25, v1, v4, v22 op_sel_hi:[1,0,1]
	v_pk_fma_f16 v1, v1, v4, v23 op_sel:[0,1,0]
	ds_read2_b64 v[20:23], v80 offset0:40 offset1:60
	v_pk_fma_f16 v4, v2, v5, v24 op_sel_hi:[1,0,1]
	v_pk_fma_f16 v0, v2, v5, v0 op_sel:[0,1,0]
	v_pk_fma_f16 v2, v3, v5, v25 op_sel_hi:[1,0,1]
	v_pk_fma_f16 v1, v3, v5, v1 op_sel:[0,1,0]
	s_waitcnt lgkmcnt(0)
	v_pk_fma_f16 v4, v20, v6, v4 op_sel_hi:[1,0,1]
	v_pk_fma_f16 v5, v20, v6, v0 op_sel:[0,1,0]
	v_pk_fma_f16 v20, v21, v6, v2 op_sel_hi:[1,0,1]
	v_pk_fma_f16 v6, v21, v6, v1 op_sel:[0,1,0]
	ds_read2_b64 v[0:3], v80 offset0:80 offset1:100
	v_pk_fma_f16 v4, v22, v7, v4 op_sel_hi:[1,0,1]
	v_pk_fma_f16 v5, v22, v7, v5 op_sel:[0,1,0]
	v_pk_fma_f16 v20, v23, v7, v20 op_sel_hi:[1,0,1]
	v_pk_fma_f16 v6, v23, v7, v6 op_sel:[0,1,0]
	;; [unrolled: 10-line block ×5, first 2 shown]
	s_waitcnt lgkmcnt(0)
	v_pk_fma_f16 v8, v4, v14, v8 op_sel_hi:[1,0,1]
	v_pk_fma_f16 v4, v4, v14, v0 op_sel:[0,1,0]
	v_add_u32_e32 v0, 0x400, v80
	v_pk_fma_f16 v9, v5, v14, v2 op_sel_hi:[1,0,1]
	v_pk_fma_f16 v5, v5, v14, v1 op_sel:[0,1,0]
	ds_read2_b64 v[0:3], v0 offset0:112 offset1:132
	v_pk_fma_f16 v8, v6, v15, v8 op_sel_hi:[1,0,1]
	v_pk_fma_f16 v4, v6, v15, v4 op_sel:[0,1,0]
	v_pk_fma_f16 v6, v7, v15, v9 op_sel_hi:[1,0,1]
	v_pk_fma_f16 v5, v7, v15, v5 op_sel:[0,1,0]
	s_waitcnt lgkmcnt(0)
	v_pk_fma_f16 v8, v0, v16, v8 op_sel_hi:[1,0,1]
	v_pk_fma_f16 v0, v0, v16, v4 op_sel:[0,1,0]
	v_add_u32_e32 v4, 0x800, v80
	v_pk_fma_f16 v9, v1, v16, v6 op_sel_hi:[1,0,1]
	v_pk_fma_f16 v1, v1, v16, v5 op_sel:[0,1,0]
	ds_read2_b64 v[4:7], v4 offset0:24 offset1:44
	v_pk_fma_f16 v8, v2, v17, v8 op_sel_hi:[1,0,1]
	v_pk_fma_f16 v0, v2, v17, v0 op_sel:[0,1,0]
	v_pk_fma_f16 v2, v3, v17, v9 op_sel_hi:[1,0,1]
	v_pk_fma_f16 v1, v3, v17, v1 op_sel:[0,1,0]
	s_waitcnt lgkmcnt(0)
	v_pk_fma_f16 v3, v4, v18, v8 op_sel_hi:[1,0,1]
	v_pk_fma_f16 v0, v4, v18, v0 op_sel:[0,1,0]
	v_pk_fma_f16 v2, v5, v18, v2 op_sel_hi:[1,0,1]
	v_pk_fma_f16 v1, v5, v18, v1 op_sel:[0,1,0]
	;; [unrolled: 2-line block ×4, first 2 shown]
	s_barrier
.LBB59_65:
	v_cmp_lt_i32_e32 vcc, v68, v67
	s_cmp_eq_u64 s[20:21], 0
	s_cselect_b64 s[4:5], -1, 0
	v_cndmask_b32_e32 v0, v66, v68, vcc
	v_lshlrev_b32_e32 v1, 2, v0
	ds_bpermute_b32 v0, v1, v60
	ds_bpermute_b32 v1, v1, v61
	v_cmp_lt_i32_e32 vcc, v69, v67
	s_cmp_lg_u32 s3, 0
	s_cselect_b64 s[6:7], -1, 0
	v_cndmask_b32_e32 v2, v66, v69, vcc
	v_lshlrev_b32_e32 v3, 2, v2
	s_waitcnt lgkmcnt(0)
	v_pk_add_f32 v[0:1], v[60:61], v[0:1]
	ds_bpermute_b32 v2, v3, v0
	ds_bpermute_b32 v3, v3, v1
	v_cmp_lt_i32_e32 vcc, v70, v67
	s_or_b64 s[4:5], s[6:7], s[4:5]
	s_waitcnt lgkmcnt(0)
	v_pk_add_f32 v[0:1], v[0:1], v[2:3]
	v_cndmask_b32_e32 v4, v66, v70, vcc
	v_lshlrev_b32_e32 v4, 2, v4
	ds_bpermute_b32 v2, v4, v0
	ds_bpermute_b32 v3, v4, v1
	v_cmp_lt_i32_e32 vcc, v71, v67
	s_waitcnt lgkmcnt(0)
	v_pk_add_f32 v[0:1], v[0:1], v[2:3]
	v_cndmask_b32_e32 v4, v66, v71, vcc
	v_lshlrev_b32_e32 v4, 2, v4
	ds_bpermute_b32 v2, v4, v0
	ds_bpermute_b32 v3, v4, v1
	v_cmp_lt_i32_e32 vcc, v72, v67
	s_waitcnt lgkmcnt(0)
	v_pk_add_f32 v[0:1], v[0:1], v[2:3]
	v_cndmask_b32_e32 v4, v66, v72, vcc
	v_lshlrev_b32_e32 v4, 2, v4
	ds_bpermute_b32 v2, v4, v0
	ds_bpermute_b32 v3, v4, v1
	s_and_b64 vcc, exec, s[4:5]
	s_waitcnt lgkmcnt(0)
	v_pk_add_f32 v[0:1], v[0:1], v[2:3]
	s_cbranch_vccnz .LBB59_67
; %bb.66:
	s_lshl_b64 s[4:5], s[34:35], 2
	s_add_u32 s4, s20, s4
	s_addc_u32 s5, s21, s5
	v_mov_b32_e32 v2, 0
	global_load_dword v2, v2, s[4:5]
	v_max_f32_e32 v3, v57, v57
	v_max_f32_e32 v4, v56, v56
	s_mov_b32 s2, 0x3fb8aa3b
	s_mov_b32 s4, 0xc2ce8ed0
	;; [unrolled: 1-line block ×3, first 2 shown]
	v_mov_b32_e32 v8, 0x7f800000
	s_waitcnt vmcnt(0)
	v_max_f32_e32 v6, v2, v2
	v_max_f32_e32 v5, v3, v6
	;; [unrolled: 1-line block ×3, first 2 shown]
	v_pk_add_f32 v[6:7], v[56:57], v[4:5] neg_lo:[0,1] neg_hi:[0,1]
	v_pk_add_f32 v[2:3], v[2:3], v[4:5] op_sel_hi:[0,1] neg_lo:[0,1] neg_hi:[0,1]
	v_mul_f32_e32 v9, 0x3fb8aa3b, v7
	v_mul_f32_e32 v10, 0x3fb8aa3b, v6
	v_fma_f32 v13, v7, s2, -v9
	v_rndne_f32_e32 v14, v9
	v_mul_f32_e32 v11, 0x3fb8aa3b, v3
	v_fma_f32 v15, v6, s2, -v10
	v_rndne_f32_e32 v16, v10
	v_fmac_f32_e32 v13, 0x32a5705f, v7
	v_sub_f32_e32 v9, v9, v14
	v_mul_f32_e32 v12, 0x3fb8aa3b, v2
	v_fma_f32 v17, v3, s2, -v11
	v_rndne_f32_e32 v18, v11
	v_fmac_f32_e32 v15, 0x32a5705f, v6
	v_sub_f32_e32 v10, v10, v16
	v_add_f32_e32 v9, v9, v13
	v_fma_f32 v19, v2, s2, -v12
	v_rndne_f32_e32 v20, v12
	v_cvt_i32_f32_e32 v14, v14
	v_fmac_f32_e32 v17, 0x32a5705f, v3
	v_sub_f32_e32 v11, v11, v18
	v_add_f32_e32 v10, v10, v15
	v_exp_f32_e32 v9, v9
	v_cvt_i32_f32_e32 v16, v16
	v_fmac_f32_e32 v19, 0x32a5705f, v2
	v_sub_f32_e32 v12, v12, v20
	v_add_f32_e32 v11, v11, v17
	v_exp_f32_e32 v10, v10
	v_cvt_i32_f32_e32 v18, v18
	v_add_f32_e32 v12, v12, v19
	v_exp_f32_e32 v11, v11
	v_cvt_i32_f32_e32 v20, v20
	v_exp_f32_e32 v12, v12
	v_ldexp_f32 v9, v9, v14
	v_cmp_ngt_f32_e32 vcc, s4, v7
	v_ldexp_f32 v10, v10, v16
	v_ldexp_f32 v11, v11, v18
	v_cndmask_b32_e32 v9, 0, v9, vcc
	v_cmp_ngt_f32_e32 vcc, s4, v6
	v_ldexp_f32 v12, v12, v20
	v_mov_b64_e32 v[56:57], v[4:5]
	v_cndmask_b32_e32 v10, 0, v10, vcc
	v_cmp_ngt_f32_e32 vcc, s4, v3
	s_nop 1
	v_cndmask_b32_e32 v11, 0, v11, vcc
	v_cmp_ngt_f32_e32 vcc, s4, v2
	s_nop 1
	v_cndmask_b32_e32 v12, 0, v12, vcc
	v_cmp_nlt_f32_e32 vcc, s5, v7
	s_nop 1
	v_cndmask_b32_e32 v7, v8, v9, vcc
	v_cmp_nlt_f32_e32 vcc, s5, v6
	;; [unrolled: 3-line block ×3, first 2 shown]
	v_cvt_f16_f32_e32 v9, v6
	v_pk_mul_f16 v83, v9, v83 op_sel_hi:[0,1]
	v_cndmask_b32_e32 v3, v8, v11, vcc
	v_cmp_nlt_f32_e32 vcc, s5, v2
	v_pk_mul_f16 v84, v9, v84 op_sel_hi:[0,1]
	s_nop 0
	v_cndmask_b32_e32 v2, v8, v12, vcc
	v_cvt_f16_f32_e32 v8, v7
	v_pk_fma_f32 v[0:1], v[0:1], v[6:7], v[2:3]
	v_pk_mul_f16 v81, v8, v81 op_sel_hi:[0,1]
	v_pk_mul_f16 v82, v8, v82 op_sel_hi:[0,1]
.LBB59_67:
	v_cmp_gt_i32_e32 vcc, s30, v79
	s_and_saveexec_b64 s[4:5], vcc
	s_cbranch_execz .LBB59_81
; %bb.68:
	s_load_dword s2, s[0:1], 0xd4
	v_mov_b32_e32 v4, 1.0
	s_waitcnt lgkmcnt(0)
	s_cmp_lg_u32 s2, 1
	s_cselect_b64 s[4:5], -1, 0
	s_cmp_eq_u32 s2, 1
	s_cselect_b64 s[0:1], -1, 0
	s_and_b64 vcc, exec, s[4:5]
	s_cbranch_vccnz .LBB59_70
; %bb.69:
	v_div_scale_f32 v2, s[6:7], v0, v0, 1.0
	v_rcp_f32_e32 v3, v2
	v_div_scale_f32 v4, vcc, 1.0, v0, 1.0
	v_fma_f32 v5, -v2, v3, 1.0
	v_fmac_f32_e32 v3, v5, v3
	v_mul_f32_e32 v5, v4, v3
	v_fma_f32 v6, -v2, v5, v4
	v_fmac_f32_e32 v5, v6, v3
	v_fma_f32 v2, -v2, v5, v4
	v_div_fmas_f32 v2, v2, v3, v5
	v_div_fixup_f32 v4, v2, v0, 1.0
.LBB59_70:
	s_mul_i32 s8, s33, s30
	s_add_i32 s8, s8, s43
	v_add_u32_e32 v2, s8, v78
	v_mul_lo_u32 v2, v2, s31
	v_add_u32_e32 v2, s34, v2
	v_mul_lo_u32 v2, s2, v2
	v_add_u32_e32 v2, s3, v2
	s_and_saveexec_b64 s[6:7], s[18:19]
	s_cbranch_execz .LBB59_72
; %bb.71:
	v_cvt_f32_f16_sdwa v9, v83 dst_sel:DWORD dst_unused:UNUSED_PAD src0_sel:WORD_1
	v_cvt_f32_f16_e32 v8, v83
	v_cvt_f32_f16_sdwa v11, v84 dst_sel:DWORD dst_unused:UNUSED_PAD src0_sel:WORD_1
	v_cvt_f32_f16_e32 v10, v84
	s_movk_i32 s9, 0x50
	v_mad_u64_u32 v[6:7], s[10:11], v2, s9, v[48:49]
	v_mov_b32_e32 v7, 0
	v_lshl_add_u64 v[12:13], v[6:7], 2, s[24:25]
	v_pk_mul_f32 v[6:7], v[4:5], v[8:9] op_sel_hi:[0,1]
	v_pk_mul_f32 v[8:9], v[4:5], v[10:11] op_sel_hi:[0,1]
	global_store_dwordx4 v[12:13], v[6:9], off
.LBB59_72:
	s_or_b64 exec, exec, s[6:7]
	v_cmp_eq_u32_e32 vcc, 0, v76
	s_and_b64 s[4:5], vcc, s[4:5]
	s_and_saveexec_b64 s[6:7], s[4:5]
	s_cbranch_execz .LBB59_74
; %bb.73:
	v_ashrrev_i32_e32 v3, 31, v2
	v_lshl_add_u64 v[2:3], v[2:3], 3, s[26:27]
	v_mov_b32_e32 v4, v56
	v_mov_b32_e32 v5, v0
	global_store_dwordx2 v[2:3], v[4:5], off
.LBB59_74:
	s_or_b64 exec, exec, s[6:7]
	v_cmp_gt_i32_e32 vcc, s30, v77
	s_and_b64 exec, exec, vcc
	s_cbranch_execz .LBB59_81
; %bb.75:
	s_andn2_b64 vcc, exec, s[0:1]
	v_mov_b32_e32 v0, 1.0
	s_cbranch_vccnz .LBB59_77
; %bb.76:
	v_div_scale_f32 v0, s[0:1], v1, v1, 1.0
	v_rcp_f32_e32 v2, v0
	v_div_scale_f32 v3, vcc, 1.0, v1, 1.0
	v_fma_f32 v4, -v0, v2, 1.0
	v_fmac_f32_e32 v2, v4, v2
	v_mul_f32_e32 v4, v3, v2
	v_fma_f32 v5, -v0, v4, v3
	v_fmac_f32_e32 v4, v5, v2
	v_fma_f32 v0, -v0, v4, v3
	v_div_fmas_f32 v0, v0, v2, v4
	v_div_fixup_f32 v0, v0, v1, 1.0
.LBB59_77:
	v_add_u32_e32 v2, s8, v49
	v_mul_lo_u32 v2, v2, s31
	v_add_u32_e32 v2, s34, v2
	v_mul_lo_u32 v2, s2, v2
	v_add_u32_e32 v2, s3, v2
	s_and_saveexec_b64 s[0:1], s[18:19]
	s_cbranch_execz .LBB59_79
; %bb.78:
	v_cvt_f32_f16_sdwa v7, v81 dst_sel:DWORD dst_unused:UNUSED_PAD src0_sel:WORD_1
	v_cvt_f32_f16_e32 v6, v81
	v_cvt_f32_f16_sdwa v9, v82 dst_sel:DWORD dst_unused:UNUSED_PAD src0_sel:WORD_1
	v_cvt_f32_f16_e32 v8, v82
	s_movk_i32 s2, 0x50
	v_mad_u64_u32 v[4:5], s[2:3], v2, s2, v[48:49]
	v_mov_b32_e32 v5, 0
	v_lshl_add_u64 v[10:11], v[4:5], 2, s[24:25]
	v_pk_mul_f32 v[4:5], v[0:1], v[6:7] op_sel_hi:[0,1]
	v_pk_mul_f32 v[6:7], v[0:1], v[8:9] op_sel_hi:[0,1]
	global_store_dwordx4 v[10:11], v[4:7], off
.LBB59_79:
	s_or_b64 exec, exec, s[0:1]
	s_and_b64 exec, exec, s[4:5]
	s_cbranch_execz .LBB59_81
; %bb.80:
	v_ashrrev_i32_e32 v3, 31, v2
	v_lshl_add_u64 v[2:3], v[2:3], 3, s[26:27]
	v_mov_b32_e32 v0, v57
	global_store_dwordx2 v[2:3], v[0:1], off
.LBB59_81:
	s_endpgm
	.section	.rodata,"a",@progbits
	.p2align	6, 0x0
	.amdhsa_kernel _ZL15flash_attn_tileILi80ELi80ELi16ELi1ELb0EEvPKcS1_S1_S1_S1_PKiPfP15HIP_vector_typeIfLj2EEffffjfiS5_IjLj3EEiiiiiiiiiiiliiliiiiil
		.amdhsa_group_segment_fixed_size 6848
		.amdhsa_private_segment_fixed_size 32
		.amdhsa_kernarg_size 464
		.amdhsa_user_sgpr_count 2
		.amdhsa_user_sgpr_dispatch_ptr 0
		.amdhsa_user_sgpr_queue_ptr 0
		.amdhsa_user_sgpr_kernarg_segment_ptr 1
		.amdhsa_user_sgpr_dispatch_id 0
		.amdhsa_user_sgpr_kernarg_preload_length 0
		.amdhsa_user_sgpr_kernarg_preload_offset 0
		.amdhsa_user_sgpr_private_segment_size 0
		.amdhsa_uses_dynamic_stack 0
		.amdhsa_enable_private_segment 1
		.amdhsa_system_sgpr_workgroup_id_x 1
		.amdhsa_system_sgpr_workgroup_id_y 1
		.amdhsa_system_sgpr_workgroup_id_z 1
		.amdhsa_system_sgpr_workgroup_info 0
		.amdhsa_system_vgpr_workitem_id 1
		.amdhsa_next_free_vgpr 108
		.amdhsa_next_free_sgpr 57
		.amdhsa_accum_offset 108
		.amdhsa_reserve_vcc 1
		.amdhsa_float_round_mode_32 0
		.amdhsa_float_round_mode_16_64 0
		.amdhsa_float_denorm_mode_32 3
		.amdhsa_float_denorm_mode_16_64 3
		.amdhsa_dx10_clamp 1
		.amdhsa_ieee_mode 1
		.amdhsa_fp16_overflow 0
		.amdhsa_tg_split 0
		.amdhsa_exception_fp_ieee_invalid_op 0
		.amdhsa_exception_fp_denorm_src 0
		.amdhsa_exception_fp_ieee_div_zero 0
		.amdhsa_exception_fp_ieee_overflow 0
		.amdhsa_exception_fp_ieee_underflow 0
		.amdhsa_exception_fp_ieee_inexact 0
		.amdhsa_exception_int_div_zero 0
	.end_amdhsa_kernel
	.section	.text._ZL15flash_attn_tileILi80ELi80ELi16ELi1ELb0EEvPKcS1_S1_S1_S1_PKiPfP15HIP_vector_typeIfLj2EEffffjfiS5_IjLj3EEiiiiiiiiiiiliiliiiiil,"axG",@progbits,_ZL15flash_attn_tileILi80ELi80ELi16ELi1ELb0EEvPKcS1_S1_S1_S1_PKiPfP15HIP_vector_typeIfLj2EEffffjfiS5_IjLj3EEiiiiiiiiiiiliiliiiiil,comdat
.Lfunc_end59:
	.size	_ZL15flash_attn_tileILi80ELi80ELi16ELi1ELb0EEvPKcS1_S1_S1_S1_PKiPfP15HIP_vector_typeIfLj2EEffffjfiS5_IjLj3EEiiiiiiiiiiiliiliiiiil, .Lfunc_end59-_ZL15flash_attn_tileILi80ELi80ELi16ELi1ELb0EEvPKcS1_S1_S1_S1_PKiPfP15HIP_vector_typeIfLj2EEffffjfiS5_IjLj3EEiiiiiiiiiiiliiliiiiil
                                        ; -- End function
	.section	.AMDGPU.csdata,"",@progbits
; Kernel info:
; codeLenInByte = 12660
; NumSgprs: 63
; NumVgprs: 108
; NumAgprs: 0
; TotalNumVgprs: 108
; ScratchSize: 32
; MemoryBound: 0
; FloatMode: 240
; IeeeMode: 1
; LDSByteSize: 6848 bytes/workgroup (compile time only)
; SGPRBlocks: 7
; VGPRBlocks: 13
; NumSGPRsForWavesPerEU: 63
; NumVGPRsForWavesPerEU: 108
; AccumOffset: 108
; Occupancy: 4
; WaveLimiterHint : 1
; COMPUTE_PGM_RSRC2:SCRATCH_EN: 1
; COMPUTE_PGM_RSRC2:USER_SGPR: 2
; COMPUTE_PGM_RSRC2:TRAP_HANDLER: 0
; COMPUTE_PGM_RSRC2:TGID_X_EN: 1
; COMPUTE_PGM_RSRC2:TGID_Y_EN: 1
; COMPUTE_PGM_RSRC2:TGID_Z_EN: 1
; COMPUTE_PGM_RSRC2:TIDIG_COMP_CNT: 1
; COMPUTE_PGM_RSRC3_GFX90A:ACCUM_OFFSET: 26
; COMPUTE_PGM_RSRC3_GFX90A:TG_SPLIT: 0
	.section	.text._ZL33flash_attn_stream_k_fixup_uniformILi80ELi16ELi1EEvPfPK15HIP_vector_typeIfLj2EEiiiiiiS1_IjLj3EES5_S5_,"axG",@progbits,_ZL33flash_attn_stream_k_fixup_uniformILi80ELi16ELi1EEvPfPK15HIP_vector_typeIfLj2EEiiiiiiS1_IjLj3EES5_S5_,comdat
	.globl	_ZL33flash_attn_stream_k_fixup_uniformILi80ELi16ELi1EEvPfPK15HIP_vector_typeIfLj2EEiiiiiiS1_IjLj3EES5_S5_ ; -- Begin function _ZL33flash_attn_stream_k_fixup_uniformILi80ELi16ELi1EEvPfPK15HIP_vector_typeIfLj2EEiiiiiiS1_IjLj3EES5_S5_
	.p2align	8
	.type	_ZL33flash_attn_stream_k_fixup_uniformILi80ELi16ELi1EEvPfPK15HIP_vector_typeIfLj2EEiiiiiiS1_IjLj3EES5_S5_,@function
_ZL33flash_attn_stream_k_fixup_uniformILi80ELi16ELi1EEvPfPK15HIP_vector_typeIfLj2EEiiiiiiS1_IjLj3EES5_S5_: ; @_ZL33flash_attn_stream_k_fixup_uniformILi80ELi16ELi1EEvPfPK15HIP_vector_typeIfLj2EEiiiiiiS1_IjLj3EES5_S5_
; %bb.0:
	s_load_dwordx8 s[8:15], s[0:1], 0x1c
	s_load_dwordx2 s[6:7], s[0:1], 0x10
	s_load_dwordx4 s[16:19], s[0:1], 0x3c
	s_waitcnt lgkmcnt(0)
	s_mul_hi_u32 s5, s11, s2
	s_add_i32 s5, s2, s5
	s_lshr_b32 s5, s5, s12
	s_mul_i32 s11, s5, s13
	s_sub_i32 s12, s2, s11
	s_mul_hi_u32 s11, s12, s14
	s_add_i32 s11, s12, s11
	s_lshr_b32 s11, s11, s15
	s_mul_i32 s13, s11, s16
	s_sub_i32 s12, s12, s13
	;; [unrolled: 5-line block ×3, first 2 shown]
	s_lshl_b32 s12, s17, 4
	s_add_i32 s12, s12, s3
	s_cmp_lt_i32 s12, s6
	s_cselect_b64 s[12:13], -1, 0
	s_add_i32 s16, s16, s4
	s_cmp_lt_i32 s16, s9
	s_cselect_b64 s[14:15], -1, 0
	s_and_b64 s[12:13], s[12:13], s[14:15]
	s_andn2_b64 vcc, exec, s[12:13]
	s_cbranch_vccnz .LBB60_6
; %bb.1:
	s_load_dwordx4 s[12:15], s[0:1], 0x0
	s_mul_i32 s0, s5, s6
	s_mul_i32 s11, s11, s9
	s_add_i32 s0, s0, s3
	s_mul_i32 s0, s0, s7
	s_add_i32 s5, s16, s11
	;; [unrolled: 2-line block ×3, first 2 shown]
	s_mulk_i32 s1, 0x500
	s_mulk_i32 s0, 0x50
	s_add_i32 s0, s0, s1
	v_add_u32_e32 v4, s0, v0
	s_waitcnt lgkmcnt(0)
	v_mov_b32_e32 v2, s12
	v_mov_b32_e32 v3, s13
	v_ashrrev_i32_e32 v5, 31, v4
	v_lshl_add_u64 v[2:3], v[4:5], 2, v[2:3]
	global_load_dword v7, v[2:3], off
	s_mul_i32 s6, s2, s10
	s_add_i32 s7, s6, s10
	s_add_i32 s3, s3, s4
	s_lshl_b32 s0, s7, 4
	s_add_i32 s0, s3, s0
	s_add_i32 s0, s0, -16
	s_ashr_i32 s1, s0, 31
	s_lshl_b64 s[0:1], s[0:1], 3
	s_add_u32 s0, s14, s0
	s_addc_u32 s1, s15, s1
	s_load_dword s9, s[0:1], 0x4
	s_add_i32 s4, s7, -2
	s_cmp_lt_i32 s4, s6
	s_cbranch_scc1 .LBB60_4
; %bb.2:
	s_lshl_b32 s4, s8, 6
	s_ashr_i32 s5, s4, 31
	s_lshl_b64 s[4:5], s[4:5], 2
	s_add_u32 s4, s14, s4
	s_addc_u32 s5, s15, s5
	s_load_dword s0, s[0:1], 0x0
	s_add_i32 s2, s2, 1
	s_mul_i32 s10, s10, s2
	s_mul_i32 s1, s3, 0x50
	s_lshl_b32 s2, s10, 4
	s_mulk_i32 s10, 0x500
	s_add_i32 s2, s3, s2
	s_lshl_b32 s3, s8, 4
	s_add_i32 s1, s1, s10
	s_add_i32 s2, s2, s3
	v_add_u32_e32 v0, s1, v0
	s_add_i32 s7, s7, -1
	s_sub_i32 s2, s2, 32
	v_add_u32_e32 v0, 0xfffff600, v0
	s_waitcnt lgkmcnt(0)
	v_mov_b32_e32 v6, s9
	v_mov_b32_e32 v5, s0
	s_mov_b32 s8, 0x3fb8aa3b
	s_mov_b32 s9, 0xc2ce8ed0
	;; [unrolled: 1-line block ×3, first 2 shown]
	v_mov_b32_e32 v4, 0x7f800000
	s_mov_b32 s11, 0xc1a00000
.LBB60_3:                               ; =>This Inner Loop Header: Depth=1
	v_ashrrev_i32_e32 v1, 31, v0
	v_lshl_add_u64 v[8:9], v[0:1], 2, s[4:5]
	global_load_dword v1, v[8:9], off
	s_ashr_i32 s3, s2, 31
	s_lshl_b64 s[0:1], s[2:3], 3
	s_add_u32 s0, s14, s0
	s_addc_u32 s1, s15, s1
	s_load_dwordx2 s[12:13], s[0:1], 0x0
	s_waitcnt vmcnt(1)
	v_mov_b32_e32 v8, v7
	v_max_f32_e32 v7, v5, v5
	v_mov_b32_e32 v9, v6
	s_add_i32 s7, s7, -1
	s_waitcnt lgkmcnt(0)
	v_max_f32_e64 v6, s12, s12
	v_max_f32_e32 v6, v7, v6
	v_sub_f32_e32 v10, s12, v6
	v_sub_f32_e32 v7, v5, v6
	v_mul_f32_e32 v11, 0x3fb8aa3b, v10
	v_mov_b32_e32 v5, v6
	v_mul_f32_e32 v6, 0x3fb8aa3b, v7
	v_fma_f32 v14, v10, s8, -v11
	v_rndne_f32_e32 v15, v11
	v_fma_f32 v12, v7, s8, -v6
	v_rndne_f32_e32 v13, v6
	v_fmac_f32_e32 v14, 0x32a5705f, v10
	v_sub_f32_e32 v11, v11, v15
	v_fmac_f32_e32 v12, 0x32a5705f, v7
	v_sub_f32_e32 v6, v6, v13
	v_add_f32_e32 v11, v11, v14
	v_cvt_i32_f32_e32 v15, v15
	v_add_f32_e32 v6, v6, v12
	v_exp_f32_e32 v11, v11
	v_cvt_i32_f32_e32 v13, v13
	v_exp_f32_e32 v6, v6
	v_cmp_ngt_f32_e32 vcc, s9, v10
	v_ldexp_f32 v11, v11, v15
	v_cmp_ngt_f32_e64 s[0:1], s9, v7
	v_ldexp_f32 v6, v6, v13
	v_cndmask_b32_e32 v11, 0, v11, vcc
	v_cmp_nlt_f32_e32 vcc, s10, v10
	v_cndmask_b32_e64 v6, 0, v6, s[0:1]
	v_cmp_nlt_f32_e64 s[0:1], s10, v7
	v_cndmask_b32_e32 v11, v4, v11, vcc
	v_cmp_le_f32_e32 vcc, s11, v10
	v_cndmask_b32_e64 v6, v4, v6, s[0:1]
	v_cmp_le_f32_e64 s[0:1], s11, v7
	v_cndmask_b32_e32 v7, 0, v11, vcc
	s_add_i32 s2, s2, -16
	v_cndmask_b32_e64 v10, 0, v6, s[0:1]
	v_mul_f32_e32 v6, s13, v7
	v_add_u32_e32 v0, 0xfffffb00, v0
	s_cmp_le_i32 s7, s6
	v_fmac_f32_e32 v6, v9, v10
	s_waitcnt vmcnt(0)
	v_mul_f32_e32 v7, v1, v7
	v_fmac_f32_e32 v7, v8, v10
	s_cbranch_scc0 .LBB60_3
	s_branch .LBB60_5
.LBB60_4:
	s_waitcnt lgkmcnt(0)
	v_mov_b32_e32 v6, s9
.LBB60_5:
	s_waitcnt vmcnt(0)
	v_div_scale_f32 v0, s[0:1], v6, v6, v7
	v_rcp_f32_e32 v1, v0
	v_div_scale_f32 v4, vcc, v7, v6, v7
	v_fma_f32 v5, -v0, v1, 1.0
	v_fmac_f32_e32 v1, v5, v1
	v_mul_f32_e32 v5, v4, v1
	v_fma_f32 v8, -v0, v5, v4
	v_fmac_f32_e32 v5, v8, v1
	v_fma_f32 v0, -v0, v5, v4
	v_div_fmas_f32 v0, v0, v1, v5
	v_div_fixup_f32 v0, v0, v6, v7
	global_store_dword v[2:3], v0, off
.LBB60_6:
	s_endpgm
	.section	.rodata,"a",@progbits
	.p2align	6, 0x0
	.amdhsa_kernel _ZL33flash_attn_stream_k_fixup_uniformILi80ELi16ELi1EEvPfPK15HIP_vector_typeIfLj2EEiiiiiiS1_IjLj3EES5_S5_
		.amdhsa_group_segment_fixed_size 0
		.amdhsa_private_segment_fixed_size 0
		.amdhsa_kernarg_size 76
		.amdhsa_user_sgpr_count 2
		.amdhsa_user_sgpr_dispatch_ptr 0
		.amdhsa_user_sgpr_queue_ptr 0
		.amdhsa_user_sgpr_kernarg_segment_ptr 1
		.amdhsa_user_sgpr_dispatch_id 0
		.amdhsa_user_sgpr_kernarg_preload_length 0
		.amdhsa_user_sgpr_kernarg_preload_offset 0
		.amdhsa_user_sgpr_private_segment_size 0
		.amdhsa_uses_dynamic_stack 0
		.amdhsa_enable_private_segment 0
		.amdhsa_system_sgpr_workgroup_id_x 1
		.amdhsa_system_sgpr_workgroup_id_y 1
		.amdhsa_system_sgpr_workgroup_id_z 1
		.amdhsa_system_sgpr_workgroup_info 0
		.amdhsa_system_vgpr_workitem_id 0
		.amdhsa_next_free_vgpr 16
		.amdhsa_next_free_sgpr 20
		.amdhsa_accum_offset 16
		.amdhsa_reserve_vcc 1
		.amdhsa_float_round_mode_32 0
		.amdhsa_float_round_mode_16_64 0
		.amdhsa_float_denorm_mode_32 3
		.amdhsa_float_denorm_mode_16_64 3
		.amdhsa_dx10_clamp 1
		.amdhsa_ieee_mode 1
		.amdhsa_fp16_overflow 0
		.amdhsa_tg_split 0
		.amdhsa_exception_fp_ieee_invalid_op 0
		.amdhsa_exception_fp_denorm_src 0
		.amdhsa_exception_fp_ieee_div_zero 0
		.amdhsa_exception_fp_ieee_overflow 0
		.amdhsa_exception_fp_ieee_underflow 0
		.amdhsa_exception_fp_ieee_inexact 0
		.amdhsa_exception_int_div_zero 0
	.end_amdhsa_kernel
	.section	.text._ZL33flash_attn_stream_k_fixup_uniformILi80ELi16ELi1EEvPfPK15HIP_vector_typeIfLj2EEiiiiiiS1_IjLj3EES5_S5_,"axG",@progbits,_ZL33flash_attn_stream_k_fixup_uniformILi80ELi16ELi1EEvPfPK15HIP_vector_typeIfLj2EEiiiiiiS1_IjLj3EES5_S5_,comdat
.Lfunc_end60:
	.size	_ZL33flash_attn_stream_k_fixup_uniformILi80ELi16ELi1EEvPfPK15HIP_vector_typeIfLj2EEiiiiiiS1_IjLj3EES5_S5_, .Lfunc_end60-_ZL33flash_attn_stream_k_fixup_uniformILi80ELi16ELi1EEvPfPK15HIP_vector_typeIfLj2EEiiiiiiS1_IjLj3EES5_S5_
                                        ; -- End function
	.section	.AMDGPU.csdata,"",@progbits
; Kernel info:
; codeLenInByte = 820
; NumSgprs: 26
; NumVgprs: 16
; NumAgprs: 0
; TotalNumVgprs: 16
; ScratchSize: 0
; MemoryBound: 0
; FloatMode: 240
; IeeeMode: 1
; LDSByteSize: 0 bytes/workgroup (compile time only)
; SGPRBlocks: 3
; VGPRBlocks: 1
; NumSGPRsForWavesPerEU: 26
; NumVGPRsForWavesPerEU: 16
; AccumOffset: 16
; Occupancy: 8
; WaveLimiterHint : 0
; COMPUTE_PGM_RSRC2:SCRATCH_EN: 0
; COMPUTE_PGM_RSRC2:USER_SGPR: 2
; COMPUTE_PGM_RSRC2:TRAP_HANDLER: 0
; COMPUTE_PGM_RSRC2:TGID_X_EN: 1
; COMPUTE_PGM_RSRC2:TGID_Y_EN: 1
; COMPUTE_PGM_RSRC2:TGID_Z_EN: 1
; COMPUTE_PGM_RSRC2:TIDIG_COMP_CNT: 0
; COMPUTE_PGM_RSRC3_GFX90A:ACCUM_OFFSET: 3
; COMPUTE_PGM_RSRC3_GFX90A:TG_SPLIT: 0
	.section	.text._ZL33flash_attn_stream_k_fixup_generalILi80ELi16ELi1EEvPfPK15HIP_vector_typeIfLj2EEiiiiS1_IjLj3EES5_S5_S5_,"axG",@progbits,_ZL33flash_attn_stream_k_fixup_generalILi80ELi16ELi1EEvPfPK15HIP_vector_typeIfLj2EEiiiiS1_IjLj3EES5_S5_S5_,comdat
	.globl	_ZL33flash_attn_stream_k_fixup_generalILi80ELi16ELi1EEvPfPK15HIP_vector_typeIfLj2EEiiiiS1_IjLj3EES5_S5_S5_ ; -- Begin function _ZL33flash_attn_stream_k_fixup_generalILi80ELi16ELi1EEvPfPK15HIP_vector_typeIfLj2EEiiiiS1_IjLj3EES5_S5_S5_
	.p2align	8
	.type	_ZL33flash_attn_stream_k_fixup_generalILi80ELi16ELi1EEvPfPK15HIP_vector_typeIfLj2EEiiiiS1_IjLj3EES5_S5_S5_,@function
_ZL33flash_attn_stream_k_fixup_generalILi80ELi16ELi1EEvPfPK15HIP_vector_typeIfLj2EEiiiiS1_IjLj3EES5_S5_S5_: ; @_ZL33flash_attn_stream_k_fixup_generalILi80ELi16ELi1EEvPfPK15HIP_vector_typeIfLj2EEiiiiS1_IjLj3EES5_S5_S5_
; %bb.0:
	s_load_dwordx4 s[12:15], s[0:1], 0x10
	s_load_dword s22, s[0:1], 0x50
	s_mov_b32 s8, 0
	s_waitcnt lgkmcnt(0)
	s_mul_hi_i32 s9, s15, s2
	s_cmp_lg_u64 s[8:9], 0
	s_mul_i32 s5, s15, s2
	s_cbranch_scc0 .LBB61_21
; %bb.1:
	v_cvt_f32_u32_e32 v1, s22
	v_cvt_f32_ubyte0_e32 v2, 0
	s_sub_u32 s8, 0, s22
	s_subb_u32 s10, 0, 0
	v_fmamk_f32 v1, v2, 0x4f800000, v1
	v_rcp_f32_e32 v1, v1
	s_nop 0
	v_mul_f32_e32 v1, 0x5f7ffffc, v1
	v_mul_f32_e32 v2, 0x2f800000, v1
	v_trunc_f32_e32 v2, v2
	v_fmamk_f32 v1, v2, 0xcf800000, v1
	v_cvt_u32_f32_e32 v2, v2
	v_cvt_u32_f32_e32 v1, v1
	v_readfirstlane_b32 s11, v2
	v_readfirstlane_b32 s16, v1
	s_mul_i32 s17, s8, s11
	s_mul_hi_u32 s19, s8, s16
	s_mul_i32 s18, s10, s16
	s_add_i32 s17, s19, s17
	s_add_i32 s17, s17, s18
	s_mul_i32 s20, s8, s16
	s_mul_hi_u32 s18, s16, s17
	s_mul_i32 s19, s16, s17
	s_mul_hi_u32 s16, s16, s20
	s_add_u32 s16, s16, s19
	s_addc_u32 s18, 0, s18
	s_mul_hi_u32 s21, s11, s20
	s_mul_i32 s20, s11, s20
	s_add_u32 s16, s16, s20
	s_mul_hi_u32 s19, s11, s17
	s_addc_u32 s16, s18, s21
	s_addc_u32 s18, s19, 0
	s_mul_i32 s17, s11, s17
	s_add_u32 s16, s16, s17
	s_addc_u32 s17, 0, s18
	v_add_co_u32_e32 v1, vcc, s16, v1
	s_cmp_lg_u64 vcc, 0
	s_addc_u32 s11, s11, s17
	v_readfirstlane_b32 s17, v1
	s_mul_i32 s16, s8, s11
	s_mul_hi_u32 s18, s8, s17
	s_add_i32 s16, s18, s16
	s_mul_i32 s10, s10, s17
	s_add_i32 s16, s16, s10
	s_mul_i32 s8, s8, s17
	s_mul_hi_u32 s18, s11, s8
	s_mul_i32 s19, s11, s8
	s_mul_i32 s21, s17, s16
	s_mul_hi_u32 s8, s17, s8
	s_mul_hi_u32 s20, s17, s16
	s_add_u32 s8, s8, s21
	s_addc_u32 s17, 0, s20
	s_add_u32 s8, s8, s19
	s_mul_hi_u32 s10, s11, s16
	s_addc_u32 s8, s17, s18
	s_addc_u32 s10, s10, 0
	s_mul_i32 s16, s11, s16
	s_add_u32 s8, s8, s16
	s_addc_u32 s10, 0, s10
	v_add_co_u32_e32 v1, vcc, s8, v1
	s_cmp_lg_u64 vcc, 0
	s_addc_u32 s16, s11, s10
	s_ashr_i32 s10, s9, 31
	s_add_u32 s8, s5, s10
	s_mov_b32 s11, s10
	s_addc_u32 s9, s9, s10
	s_xor_b64 s[8:9], s[8:9], s[10:11]
	v_readfirstlane_b32 s19, v1
	s_mul_i32 s18, s8, s16
	s_mul_hi_u32 s20, s8, s19
	s_mul_hi_u32 s17, s8, s16
	s_add_u32 s18, s20, s18
	s_addc_u32 s17, 0, s17
	s_mul_hi_u32 s21, s9, s19
	s_mul_i32 s19, s9, s19
	s_add_u32 s18, s18, s19
	s_mul_hi_u32 s20, s9, s16
	s_addc_u32 s17, s17, s21
	s_addc_u32 s18, s20, 0
	s_mul_i32 s16, s9, s16
	s_add_u32 s16, s17, s16
	s_addc_u32 s17, 0, s18
	s_add_u32 s18, s16, 1
	s_addc_u32 s19, s17, 0
	s_add_u32 s20, s16, 2
	s_mul_i32 s23, s22, s17
	s_mul_hi_u32 s24, s22, s16
	s_addc_u32 s21, s17, 0
	s_add_i32 s24, s24, s23
	s_mul_i32 s23, s22, s16
	v_mov_b32_e32 v1, s23
	v_sub_co_u32_e32 v1, vcc, s8, v1
	s_cmp_lg_u64 vcc, 0
	s_subb_u32 s8, s9, s24
	v_subrev_co_u32_e32 v2, vcc, s22, v1
	s_cmp_lg_u64 vcc, 0
	s_subb_u32 s9, s8, 0
	v_readfirstlane_b32 s23, v2
	s_cmp_ge_u32 s23, s22
	s_cselect_b32 s23, -1, 0
	s_cmp_eq_u32 s9, 0
	s_cselect_b32 s9, s23, -1
	s_cmp_lg_u32 s9, 0
	s_cselect_b32 s9, s21, s19
	v_readfirstlane_b32 s19, v1
	s_cselect_b32 s18, s20, s18
	s_cmp_ge_u32 s19, s22
	s_cselect_b32 s19, -1, 0
	s_cmp_eq_u32 s8, 0
	s_cselect_b32 s8, s19, -1
	s_cmp_lg_u32 s8, 0
	s_cselect_b32 s9, s9, s17
	s_cselect_b32 s8, s18, s16
	s_xor_b64 s[8:9], s[8:9], s[10:11]
	s_sub_u32 s20, s8, s10
	s_load_dwordx4 s[16:19], s[0:1], 0x44
	s_cbranch_execnz .LBB61_3
.LBB61_2:
	v_cvt_f32_u32_e32 v1, s22
	s_sub_i32 s6, 0, s22
	v_rcp_iflag_f32_e32 v1, v1
	s_nop 0
	v_mul_f32_e32 v1, 0x4f7ffffe, v1
	v_cvt_u32_f32_e32 v1, v1
	s_nop 0
	v_readfirstlane_b32 s7, v1
	s_mul_i32 s6, s6, s7
	s_mul_hi_u32 s6, s7, s6
	s_add_i32 s7, s7, s6
	s_mul_hi_u32 s6, s5, s7
	s_mul_i32 s8, s6, s22
	s_sub_i32 s5, s5, s8
	s_add_i32 s7, s6, 1
	s_sub_i32 s8, s5, s22
	s_cmp_ge_u32 s5, s22
	s_cselect_b32 s6, s7, s6
	s_cselect_b32 s5, s8, s5
	s_add_i32 s7, s6, 1
	s_cmp_ge_u32 s5, s22
	s_cselect_b32 s20, s7, s6
.LBB61_3:
	s_add_i32 s5, s2, 1
	s_mul_hi_i32 s9, s15, s5
	s_mov_b32 s8, 0
	s_cmp_lg_u64 s[8:9], 0
	s_mul_i32 s5, s15, s5
	s_cbranch_scc0 .LBB61_22
; %bb.4:
	v_cvt_f32_u32_e32 v1, s22
	v_cvt_f32_ubyte0_e32 v2, 0
	s_sub_u32 s8, 0, s22
	s_subb_u32 s10, 0, 0
	v_fmamk_f32 v1, v2, 0x4f800000, v1
	v_rcp_f32_e32 v1, v1
	s_nop 0
	v_mul_f32_e32 v1, 0x5f7ffffc, v1
	v_mul_f32_e32 v2, 0x2f800000, v1
	v_trunc_f32_e32 v2, v2
	v_fmamk_f32 v1, v2, 0xcf800000, v1
	v_cvt_u32_f32_e32 v2, v2
	v_cvt_u32_f32_e32 v1, v1
	v_readfirstlane_b32 s11, v2
	s_waitcnt lgkmcnt(0)
	v_readfirstlane_b32 s19, v1
	s_mul_i32 s21, s8, s11
	s_mul_hi_u32 s24, s8, s19
	s_mul_i32 s23, s10, s19
	s_add_i32 s21, s24, s21
	s_add_i32 s21, s21, s23
	s_mul_i32 s25, s8, s19
	s_mul_hi_u32 s23, s19, s21
	s_mul_i32 s24, s19, s21
	s_mul_hi_u32 s19, s19, s25
	s_add_u32 s19, s19, s24
	s_addc_u32 s23, 0, s23
	s_mul_hi_u32 s26, s11, s25
	s_mul_i32 s25, s11, s25
	s_add_u32 s19, s19, s25
	s_mul_hi_u32 s24, s11, s21
	s_addc_u32 s19, s23, s26
	s_addc_u32 s23, s24, 0
	s_mul_i32 s21, s11, s21
	s_add_u32 s19, s19, s21
	s_addc_u32 s21, 0, s23
	v_add_co_u32_e32 v1, vcc, s19, v1
	s_cmp_lg_u64 vcc, 0
	s_addc_u32 s11, s11, s21
	v_readfirstlane_b32 s21, v1
	s_mul_i32 s19, s8, s11
	s_mul_hi_u32 s23, s8, s21
	s_add_i32 s19, s23, s19
	s_mul_i32 s10, s10, s21
	s_add_i32 s19, s19, s10
	s_mul_i32 s8, s8, s21
	s_mul_hi_u32 s23, s11, s8
	s_mul_i32 s24, s11, s8
	s_mul_i32 s26, s21, s19
	s_mul_hi_u32 s8, s21, s8
	s_mul_hi_u32 s25, s21, s19
	s_add_u32 s8, s8, s26
	s_addc_u32 s21, 0, s25
	s_add_u32 s8, s8, s24
	s_mul_hi_u32 s10, s11, s19
	s_addc_u32 s8, s21, s23
	s_addc_u32 s10, s10, 0
	s_mul_i32 s19, s11, s19
	s_add_u32 s8, s8, s19
	s_addc_u32 s10, 0, s10
	v_add_co_u32_e32 v1, vcc, s8, v1
	s_cmp_lg_u64 vcc, 0
	s_addc_u32 s19, s11, s10
	s_ashr_i32 s10, s9, 31
	s_add_u32 s8, s5, s10
	s_mov_b32 s11, s10
	s_addc_u32 s9, s9, s10
	s_xor_b64 s[8:9], s[8:9], s[10:11]
	v_readfirstlane_b32 s23, v1
	s_mul_i32 s21, s8, s19
	s_mul_hi_u32 s24, s8, s23
	s_mul_hi_u32 s11, s8, s19
	s_add_u32 s21, s24, s21
	s_addc_u32 s11, 0, s11
	s_mul_hi_u32 s25, s9, s23
	s_mul_i32 s23, s9, s23
	s_add_u32 s21, s21, s23
	s_mul_hi_u32 s24, s9, s19
	s_addc_u32 s11, s11, s25
	s_addc_u32 s21, s24, 0
	s_mul_i32 s19, s9, s19
	s_add_u32 s11, s11, s19
	s_addc_u32 s19, 0, s21
	s_mul_i32 s19, s22, s19
	s_mul_hi_u32 s24, s22, s11
	s_add_i32 s24, s24, s19
	s_mul_i32 s19, s22, s11
	v_mov_b32_e32 v1, s19
	s_add_u32 s21, s11, 1
	s_add_u32 s23, s11, 2
	v_sub_co_u32_e32 v1, vcc, s8, v1
	s_cmp_lg_u64 vcc, 0
	s_subb_u32 s8, s9, s24
	v_subrev_co_u32_e32 v2, vcc, s22, v1
	s_cmp_lg_u64 vcc, 0
	s_subb_u32 s9, s8, 0
	v_cmp_le_u32_e32 vcc, s22, v2
	s_cmp_eq_u32 s9, 0
	v_mov_b32_e32 v3, s21
	v_cndmask_b32_e64 v2, 0, -1, vcc
	s_cselect_b64 vcc, -1, 0
	v_cndmask_b32_e32 v2, -1, v2, vcc
	v_mov_b32_e32 v4, s23
	v_cmp_ne_u32_e32 vcc, 0, v2
	s_cmp_eq_u32 s8, 0
	s_nop 0
	v_cndmask_b32_e32 v2, v3, v4, vcc
	v_cmp_le_u32_e32 vcc, s22, v1
	v_mov_b32_e32 v3, s11
	s_nop 0
	v_cndmask_b32_e64 v1, 0, -1, vcc
	s_cselect_b64 vcc, -1, 0
	v_cndmask_b32_e32 v1, -1, v1, vcc
	v_cmp_ne_u32_e32 vcc, 0, v1
	s_nop 1
	v_cndmask_b32_e32 v1, v3, v2, vcc
	v_xor_b32_e32 v1, s10, v1
	v_subrev_co_u32_e32 v2, vcc, s10, v1
	s_cbranch_execnz .LBB61_6
.LBB61_5:
	v_cvt_f32_u32_e32 v1, s22
	s_sub_i32 s6, 0, s22
	s_mov_b32 s7, 0
	v_rcp_iflag_f32_e32 v1, v1
	s_nop 0
	v_mul_f32_e32 v1, 0x4f7ffffe, v1
	v_cvt_u32_f32_e32 v1, v1
	s_nop 0
	v_readfirstlane_b32 s8, v1
	s_mul_i32 s6, s6, s8
	s_mul_hi_u32 s6, s8, s6
	s_add_i32 s8, s8, s6
	s_mul_hi_u32 s6, s5, s8
	s_mul_i32 s9, s6, s22
	s_sub_i32 s5, s5, s9
	s_add_i32 s8, s6, 1
	s_sub_i32 s9, s5, s22
	s_cmp_ge_u32 s5, s22
	s_cselect_b32 s6, s8, s6
	s_cselect_b32 s5, s9, s5
	s_add_i32 s8, s6, 1
	s_cmp_ge_u32 s5, s22
	s_cselect_b32 s6, s8, s6
	v_mov_b64_e32 v[2:3], s[6:7]
.LBB61_6:
	s_waitcnt lgkmcnt(0)
	s_mul_hi_u32 s5, s20, s16
	s_add_i32 s5, s5, s20
	v_mul_hi_u32 v1, v2, s16
	s_lshr_b32 s19, s5, s17
	v_add_u32_e32 v1, v1, v2
	s_mul_i32 s5, s19, s18
	v_lshrrev_b32_e32 v1, s17, v1
	s_cmp_eq_u32 s5, s20
	v_cmp_eq_u32_e64 s[6:7], s19, v1
	v_mul_lo_u32 v1, v1, s18
	v_cmp_eq_u32_e32 vcc, s20, v2
	s_cselect_b64 s[10:11], -1, 0
	v_cmp_ne_u32_e64 s[8:9], v1, v2
	s_and_b64 s[6:7], s[6:7], s[8:9]
	s_or_b64 s[8:9], vcc, s[10:11]
	s_or_b64 s[6:7], s[8:9], s[6:7]
	s_and_b64 vcc, exec, s[6:7]
	s_cbranch_vccnz .LBB61_24
; %bb.7:
	s_load_dwordx8 s[24:31], s[0:1], 0x20
	s_load_dword s5, s[0:1], 0x40
	s_waitcnt lgkmcnt(0)
	s_mul_hi_u32 s6, s20, s24
	s_add_i32 s6, s6, s20
	s_lshr_b32 s7, s6, s25
	s_mul_i32 s6, s7, s26
	s_sub_i32 s6, s20, s6
	s_mul_hi_u32 s8, s6, s27
	s_add_i32 s8, s6, s8
	s_lshr_b32 s23, s8, s28
	s_mul_i32 s8, s23, s29
	s_sub_i32 s6, s6, s8
	;; [unrolled: 5-line block ×3, first 2 shown]
	s_mul_hi_u32 s6, s5, s16
	s_add_i32 s5, s5, s6
	s_lshr_b32 s24, s5, s17
	s_lshl_b32 s5, s24, 4
	s_add_i32 s5, s5, s3
	s_cmp_lt_i32 s5, s12
	s_cselect_b64 s[8:9], -1, 0
	s_add_i32 s25, s25, s4
	s_cmp_lt_i32 s25, s14
	s_cselect_b64 s[10:11], -1, 0
	s_and_b64 s[8:9], s[8:9], s[10:11]
	s_andn2_b64 vcc, exec, s[8:9]
	s_mov_b32 s6, 0
	s_cbranch_vccnz .LBB61_24
; %bb.8:
	s_load_dwordx4 s[8:11], s[0:1], 0x0
	s_lshl_b32 s0, s22, 6
	s_mov_b32 s1, s6
	s_add_i32 s21, s3, s4
	s_lshl_b64 s[0:1], s[0:1], 2
	s_waitcnt lgkmcnt(0)
	s_add_u32 s4, s10, s0
	s_mul_i32 s0, s7, s12
	s_addc_u32 s5, s11, s1
	s_mul_i32 s23, s23, s14
	s_add_i32 s0, s0, s3
	s_mul_i32 s0, s0, s13
	s_add_i32 s3, s25, s23
	;; [unrolled: 2-line block ×3, first 2 shown]
	s_mulk_i32 s1, 0x500
	s_mulk_i32 s0, 0x50
	s_add_i32 s1, s1, s0
	v_add_u32_e32 v4, s1, v0
	v_mov_b32_e32 v2, s8
	v_mov_b32_e32 v3, s9
	v_ashrrev_i32_e32 v5, 31, v4
	v_lshl_add_u64 v[2:3], v[4:5], 2, v[2:3]
	global_load_dword v5, v[2:3], off
	s_lshl_b32 s0, s2, 4
	s_add_i32 s0, s0, s21
	s_ashr_i32 s1, s0, 31
	s_lshl_b64 s[0:1], s[0:1], 3
	s_add_u32 s0, s10, s0
	s_addc_u32 s1, s11, s1
	s_add_i32 s12, s2, -1
	s_mul_i32 s2, s21, 0x50
	v_add_u32_e32 v4, s2, v0
	v_cvt_f32_u32_e32 v0, s22
	v_cvt_f32_ubyte0_e32 v1, 0
	s_load_dwordx2 s[0:1], s[0:1], 0x0
	v_mov_b32_e32 v8, s20
	v_fmac_f32_e32 v0, 0x4f800000, v1
	v_rcp_f32_e32 v0, v0
	v_cvt_f32_u32_e32 v1, s22
	s_waitcnt lgkmcnt(0)
	v_mov_b32_e32 v6, s1
	v_mov_b32_e32 v7, s0
	v_mul_f32_e32 v0, 0x5f7ffffc, v0
	v_rcp_iflag_f32_e32 v1, v1
	v_mul_f32_e32 v9, 0x2f800000, v0
	v_trunc_f32_e32 v10, v9
	v_fmac_f32_e32 v0, 0xcf800000, v10
	v_cvt_u32_f32_e32 v9, v0
	v_mul_f32_e32 v0, 0x4f7ffffe, v1
	v_cvt_u32_f32_e32 v10, v10
	v_cvt_u32_f32_e32 v11, v0
	s_mov_b32 s8, 0x3fb8aa3b
	s_mov_b32 s9, 0xc2ce8ed0
	;; [unrolled: 1-line block ×4, first 2 shown]
	v_mov_b32_e32 v12, 0x7f800000
	s_mul_hi_i32 s7, s12, s15
	s_cmp_lg_u64 s[6:7], 0
	s_mul_i32 s2, s12, s15
	s_cbranch_scc0 .LBB61_15
.LBB61_9:
	s_sub_u32 s0, 0, s22
	v_readfirstlane_b32 s3, v9
	v_readfirstlane_b32 s24, v10
	s_subb_u32 s1, 0, 0
	s_mul_hi_u32 s23, s0, s3
	s_mul_i32 s25, s0, s24
	s_mul_i32 s20, s1, s3
	s_add_i32 s23, s23, s25
	s_add_i32 s23, s23, s20
	s_mul_i32 s26, s0, s3
	s_mul_hi_u32 s20, s3, s23
	s_mul_i32 s25, s3, s23
	s_mul_hi_u32 s3, s3, s26
	s_add_u32 s3, s3, s25
	s_addc_u32 s20, 0, s20
	s_mul_hi_u32 s27, s24, s26
	s_mul_i32 s26, s24, s26
	s_add_u32 s3, s3, s26
	s_mul_hi_u32 s25, s24, s23
	s_addc_u32 s3, s20, s27
	s_addc_u32 s20, s25, 0
	s_mul_i32 s23, s24, s23
	s_add_u32 s3, s3, s23
	s_addc_u32 s20, 0, s20
	v_add_co_u32_e32 v0, vcc, s3, v9
	s_cmp_lg_u64 vcc, 0
	s_addc_u32 s3, s24, s20
	v_readfirstlane_b32 s23, v0
	s_mul_i32 s20, s0, s3
	s_mul_hi_u32 s24, s0, s23
	s_add_i32 s20, s24, s20
	s_mul_i32 s1, s1, s23
	s_add_i32 s20, s20, s1
	s_mul_i32 s0, s0, s23
	s_mul_hi_u32 s24, s3, s0
	s_mul_i32 s25, s3, s0
	s_mul_i32 s27, s23, s20
	s_mul_hi_u32 s0, s23, s0
	s_mul_hi_u32 s26, s23, s20
	s_add_u32 s0, s0, s27
	s_addc_u32 s23, 0, s26
	s_add_u32 s0, s0, s25
	s_mul_hi_u32 s1, s3, s20
	s_addc_u32 s0, s23, s24
	s_addc_u32 s1, s1, 0
	s_mul_i32 s20, s3, s20
	s_add_u32 s0, s0, s20
	s_addc_u32 s1, 0, s1
	v_add_co_u32_e32 v0, vcc, s0, v0
	s_cmp_lg_u64 vcc, 0
	s_addc_u32 s3, s3, s1
	s_ashr_i32 s0, s7, 31
	s_add_u32 s24, s2, s0
	s_mov_b32 s1, s0
	s_addc_u32 s25, s7, s0
	s_xor_b64 s[24:25], s[24:25], s[0:1]
	v_readfirstlane_b32 s20, v0
	s_mul_i32 s7, s24, s3
	s_mul_hi_u32 s23, s24, s20
	s_mul_hi_u32 s1, s24, s3
	s_add_u32 s7, s23, s7
	s_addc_u32 s1, 0, s1
	s_mul_hi_u32 s26, s25, s20
	s_mul_i32 s20, s25, s20
	s_add_u32 s7, s7, s20
	s_mul_hi_u32 s23, s25, s3
	s_addc_u32 s1, s1, s26
	s_addc_u32 s7, s23, 0
	s_mul_i32 s3, s25, s3
	s_add_u32 s1, s1, s3
	s_addc_u32 s3, 0, s7
	s_mul_i32 s3, s22, s3
	s_mul_hi_u32 s23, s22, s1
	s_add_i32 s23, s23, s3
	s_mul_i32 s3, s22, s1
	v_mov_b32_e32 v0, s3
	s_add_u32 s7, s1, 1
	s_add_u32 s20, s1, 2
	v_sub_co_u32_e32 v0, vcc, s24, v0
	s_cmp_lg_u64 vcc, 0
	s_subb_u32 s3, s25, s23
	v_subrev_co_u32_e32 v1, vcc, s22, v0
	s_cmp_lg_u64 vcc, 0
	s_subb_u32 s23, s3, 0
	v_cmp_le_u32_e32 vcc, s22, v1
	s_cmp_eq_u32 s23, 0
	v_mov_b32_e32 v13, s7
	v_cndmask_b32_e64 v1, 0, -1, vcc
	s_cselect_b64 vcc, -1, 0
	v_cndmask_b32_e32 v1, -1, v1, vcc
	v_mov_b32_e32 v14, s20
	v_cmp_ne_u32_e32 vcc, 0, v1
	s_cmp_eq_u32 s3, 0
	s_nop 0
	v_cndmask_b32_e32 v1, v13, v14, vcc
	v_cmp_le_u32_e32 vcc, s22, v0
	v_mov_b32_e32 v13, s1
	s_nop 0
	v_cndmask_b32_e64 v0, 0, -1, vcc
	s_cselect_b64 vcc, -1, 0
	v_cndmask_b32_e32 v0, -1, v0, vcc
	v_cmp_ne_u32_e32 vcc, 0, v0
	s_nop 1
	v_cndmask_b32_e32 v0, v13, v1, vcc
	v_xor_b32_e32 v0, s0, v0
	v_subrev_co_u32_e32 v0, vcc, s0, v0
	s_cbranch_execnz .LBB61_11
.LBB61_10:
	s_sub_i32 s0, 0, s22
	v_mul_lo_u32 v0, s0, v11
	v_mul_hi_u32 v0, v11, v0
	v_add_u32_e32 v0, v11, v0
	v_mul_hi_u32 v0, s2, v0
	v_mul_lo_u32 v13, v0, s22
	v_sub_u32_e32 v13, s2, v13
	v_add_u32_e32 v1, 1, v0
	v_subrev_u32_e32 v14, s22, v13
	v_cmp_le_u32_e32 vcc, s22, v13
	s_nop 1
	v_cndmask_b32_e32 v13, v13, v14, vcc
	v_cndmask_b32_e32 v0, v0, v1, vcc
	v_add_u32_e32 v1, 1, v0
	v_cmp_le_u32_e32 vcc, s22, v13
	s_nop 1
	v_cndmask_b32_e32 v0, v0, v1, vcc
.LBB61_11:
	v_cmp_ne_u32_e32 vcc, v8, v0
	s_cbranch_vccz .LBB61_14
; %bb.12:
	s_add_i32 s0, s12, s22
	s_lshl_b32 s0, s0, 4
	v_mul_hi_u32 v1, v0, s16
	s_add_i32 s0, s0, s21
	s_mov_b32 s1, s6
	v_add_u32_e32 v1, v1, v0
	s_lshl_b64 s[0:1], s[0:1], 3
	v_lshrrev_b32_e32 v1, s17, v1
	s_add_u32 s2, s10, s0
	v_mul_lo_u32 v13, v1, s18
	s_addc_u32 s3, s11, s1
	v_cmp_eq_u32_e32 vcc, v13, v0
	v_cmp_gt_u32_e64 s[0:1], s19, v1
	s_or_b64 s[0:1], s[0:1], vcc
	s_and_b64 vcc, exec, s[0:1]
	s_cbranch_vccnz .LBB61_16
; %bb.13:
	s_add_i32 s7, s12, -1
	s_mov_b64 s[0:1], 0
	s_branch .LBB61_17
.LBB61_14:
                                        ; implicit-def: $sgpr0_sgpr1
                                        ; implicit-def: $vgpr14
                                        ; implicit-def: $vgpr1
                                        ; implicit-def: $vgpr13
                                        ; implicit-def: $sgpr7
                                        ; implicit-def: $vgpr0
	s_branch .LBB61_18
.LBB61_15:
                                        ; implicit-def: $vgpr0_vgpr1
	s_branch .LBB61_10
.LBB61_16:
	s_mov_b64 s[0:1], -1
	s_mov_b32 s7, s12
	v_mov_b32_e32 v0, v8
.LBB61_17:
	s_mul_i32 s20, s12, 0x500
	v_add_u32_e32 v14, s20, v4
	v_ashrrev_i32_e32 v15, 31, v14
	v_lshl_add_u64 v[14:15], v[14:15], 2, s[4:5]
	global_load_dword v14, v[14:15], off
	s_load_dwordx2 s[2:3], s[2:3], 0x0
	v_max_f32_e32 v1, v7, v7
	s_waitcnt lgkmcnt(0)
	v_max_f32_e64 v13, s2, s2
	v_max_f32_e32 v1, v1, v13
	v_sub_f32_e32 v13, v7, v1
	v_sub_f32_e32 v15, s2, v1
	v_mul_f32_e32 v16, 0x3fb8aa3b, v13
	v_mul_f32_e32 v17, 0x3fb8aa3b, v15
	v_fma_f32 v18, v13, s8, -v16
	v_rndne_f32_e32 v19, v16
	v_fma_f32 v20, v15, s8, -v17
	v_rndne_f32_e32 v21, v17
	v_fmac_f32_e32 v18, 0x32a5705f, v13
	v_sub_f32_e32 v16, v16, v19
	v_fmac_f32_e32 v20, 0x32a5705f, v15
	v_sub_f32_e32 v17, v17, v21
	v_add_f32_e32 v16, v16, v18
	v_cvt_i32_f32_e32 v19, v19
	v_add_f32_e32 v17, v17, v20
	v_exp_f32_e32 v16, v16
	v_cvt_i32_f32_e32 v21, v21
	v_exp_f32_e32 v17, v17
	v_cmp_ngt_f32_e32 vcc, s9, v13
	v_ldexp_f32 v16, v16, v19
	v_ldexp_f32 v17, v17, v21
	v_cndmask_b32_e32 v16, 0, v16, vcc
	v_cmp_ngt_f32_e32 vcc, s9, v15
	s_nop 1
	v_cndmask_b32_e32 v17, 0, v17, vcc
	v_cmp_nlt_f32_e32 vcc, s13, v13
	s_nop 1
	v_cndmask_b32_e32 v16, v12, v16, vcc
	v_cmp_nlt_f32_e32 vcc, s13, v15
	s_nop 1
	v_cndmask_b32_e32 v17, v12, v17, vcc
	v_cmp_le_f32_e32 vcc, s14, v13
	s_nop 1
	v_cndmask_b32_e32 v16, 0, v16, vcc
	v_cmp_le_f32_e32 vcc, s14, v15
	s_nop 1
	v_cndmask_b32_e32 v15, 0, v17, vcc
	v_mul_f32_e32 v13, s3, v15
	v_fmac_f32_e32 v13, v6, v16
	s_waitcnt vmcnt(0)
	v_mul_f32_e32 v14, v14, v15
	v_fmac_f32_e32 v14, v5, v16
	s_cbranch_execnz .LBB61_19
.LBB61_18:
	s_add_i32 s7, s12, -1
	s_mov_b64 s[0:1], 0
	v_mov_b32_e32 v0, v8
	v_mov_b32_e32 v13, v6
	;; [unrolled: 1-line block ×3, first 2 shown]
	s_waitcnt vmcnt(0)
	v_mov_b32_e32 v14, v5
.LBB61_19:
	s_andn2_b64 vcc, exec, s[0:1]
	s_cbranch_vccz .LBB61_23
; %bb.20:
	v_mov_b32_e32 v8, v0
	s_mov_b32 s12, s7
	v_mov_b32_e32 v6, v13
	v_mov_b32_e32 v7, v1
	s_waitcnt vmcnt(0)
	v_mov_b32_e32 v5, v14
	s_mul_hi_i32 s7, s12, s15
	s_cmp_lg_u64 s[6:7], 0
	s_mul_i32 s2, s12, s15
	s_cbranch_scc1 .LBB61_9
	s_branch .LBB61_15
.LBB61_21:
                                        ; implicit-def: $sgpr20_sgpr21
	s_load_dwordx4 s[16:19], s[0:1], 0x44
	s_branch .LBB61_2
.LBB61_22:
                                        ; implicit-def: $vgpr2_vgpr3
	s_branch .LBB61_5
.LBB61_23:
	v_div_scale_f32 v0, s[0:1], v13, v13, v14
	v_rcp_f32_e32 v1, v0
	v_div_scale_f32 v4, vcc, v14, v13, v14
	s_waitcnt vmcnt(0)
	v_fma_f32 v5, -v0, v1, 1.0
	v_fmac_f32_e32 v1, v5, v1
	v_mul_f32_e32 v5, v4, v1
	v_fma_f32 v6, -v0, v5, v4
	v_fmac_f32_e32 v5, v6, v1
	v_fma_f32 v0, -v0, v5, v4
	v_div_fmas_f32 v0, v0, v1, v5
	v_div_fixup_f32 v0, v0, v13, v14
	global_store_dword v[2:3], v0, off
.LBB61_24:
	s_endpgm
	.section	.rodata,"a",@progbits
	.p2align	6, 0x0
	.amdhsa_kernel _ZL33flash_attn_stream_k_fixup_generalILi80ELi16ELi1EEvPfPK15HIP_vector_typeIfLj2EEiiiiS1_IjLj3EES5_S5_S5_
		.amdhsa_group_segment_fixed_size 0
		.amdhsa_private_segment_fixed_size 0
		.amdhsa_kernarg_size 336
		.amdhsa_user_sgpr_count 2
		.amdhsa_user_sgpr_dispatch_ptr 0
		.amdhsa_user_sgpr_queue_ptr 0
		.amdhsa_user_sgpr_kernarg_segment_ptr 1
		.amdhsa_user_sgpr_dispatch_id 0
		.amdhsa_user_sgpr_kernarg_preload_length 0
		.amdhsa_user_sgpr_kernarg_preload_offset 0
		.amdhsa_user_sgpr_private_segment_size 0
		.amdhsa_uses_dynamic_stack 0
		.amdhsa_enable_private_segment 0
		.amdhsa_system_sgpr_workgroup_id_x 1
		.amdhsa_system_sgpr_workgroup_id_y 1
		.amdhsa_system_sgpr_workgroup_id_z 1
		.amdhsa_system_sgpr_workgroup_info 0
		.amdhsa_system_vgpr_workitem_id 0
		.amdhsa_next_free_vgpr 22
		.amdhsa_next_free_sgpr 32
		.amdhsa_accum_offset 24
		.amdhsa_reserve_vcc 1
		.amdhsa_float_round_mode_32 0
		.amdhsa_float_round_mode_16_64 0
		.amdhsa_float_denorm_mode_32 3
		.amdhsa_float_denorm_mode_16_64 3
		.amdhsa_dx10_clamp 1
		.amdhsa_ieee_mode 1
		.amdhsa_fp16_overflow 0
		.amdhsa_tg_split 0
		.amdhsa_exception_fp_ieee_invalid_op 0
		.amdhsa_exception_fp_denorm_src 0
		.amdhsa_exception_fp_ieee_div_zero 0
		.amdhsa_exception_fp_ieee_overflow 0
		.amdhsa_exception_fp_ieee_underflow 0
		.amdhsa_exception_fp_ieee_inexact 0
		.amdhsa_exception_int_div_zero 0
	.end_amdhsa_kernel
	.section	.text._ZL33flash_attn_stream_k_fixup_generalILi80ELi16ELi1EEvPfPK15HIP_vector_typeIfLj2EEiiiiS1_IjLj3EES5_S5_S5_,"axG",@progbits,_ZL33flash_attn_stream_k_fixup_generalILi80ELi16ELi1EEvPfPK15HIP_vector_typeIfLj2EEiiiiS1_IjLj3EES5_S5_S5_,comdat
.Lfunc_end61:
	.size	_ZL33flash_attn_stream_k_fixup_generalILi80ELi16ELi1EEvPfPK15HIP_vector_typeIfLj2EEiiiiS1_IjLj3EES5_S5_S5_, .Lfunc_end61-_ZL33flash_attn_stream_k_fixup_generalILi80ELi16ELi1EEvPfPK15HIP_vector_typeIfLj2EEiiiiS1_IjLj3EES5_S5_S5_
                                        ; -- End function
	.section	.AMDGPU.csdata,"",@progbits
; Kernel info:
; codeLenInByte = 2860
; NumSgprs: 38
; NumVgprs: 22
; NumAgprs: 0
; TotalNumVgprs: 22
; ScratchSize: 0
; MemoryBound: 0
; FloatMode: 240
; IeeeMode: 1
; LDSByteSize: 0 bytes/workgroup (compile time only)
; SGPRBlocks: 4
; VGPRBlocks: 2
; NumSGPRsForWavesPerEU: 38
; NumVGPRsForWavesPerEU: 22
; AccumOffset: 24
; Occupancy: 8
; WaveLimiterHint : 0
; COMPUTE_PGM_RSRC2:SCRATCH_EN: 0
; COMPUTE_PGM_RSRC2:USER_SGPR: 2
; COMPUTE_PGM_RSRC2:TRAP_HANDLER: 0
; COMPUTE_PGM_RSRC2:TGID_X_EN: 1
; COMPUTE_PGM_RSRC2:TGID_Y_EN: 1
; COMPUTE_PGM_RSRC2:TGID_Z_EN: 1
; COMPUTE_PGM_RSRC2:TIDIG_COMP_CNT: 0
; COMPUTE_PGM_RSRC3_GFX90A:ACCUM_OFFSET: 5
; COMPUTE_PGM_RSRC3_GFX90A:TG_SPLIT: 0
	.section	.text._ZL15flash_attn_tileILi80ELi80ELi8ELi1ELb0EEvPKcS1_S1_S1_S1_PKiPfP15HIP_vector_typeIfLj2EEffffjfiS5_IjLj3EEiiiiiiiiiiiliiliiiiil,"axG",@progbits,_ZL15flash_attn_tileILi80ELi80ELi8ELi1ELb0EEvPKcS1_S1_S1_S1_PKiPfP15HIP_vector_typeIfLj2EEffffjfiS5_IjLj3EEiiiiiiiiiiiliiliiiiil,comdat
	.globl	_ZL15flash_attn_tileILi80ELi80ELi8ELi1ELb0EEvPKcS1_S1_S1_S1_PKiPfP15HIP_vector_typeIfLj2EEffffjfiS5_IjLj3EEiiiiiiiiiiiliiliiiiil ; -- Begin function _ZL15flash_attn_tileILi80ELi80ELi8ELi1ELb0EEvPKcS1_S1_S1_S1_PKiPfP15HIP_vector_typeIfLj2EEffffjfiS5_IjLj3EEiiiiiiiiiiiliiliiiiil
	.p2align	8
	.type	_ZL15flash_attn_tileILi80ELi80ELi8ELi1ELb0EEvPKcS1_S1_S1_S1_PKiPfP15HIP_vector_typeIfLj2EEffffjfiS5_IjLj3EEiiiiiiiiiiiliiliiiiil,@function
_ZL15flash_attn_tileILi80ELi80ELi8ELi1ELb0EEvPKcS1_S1_S1_S1_PKiPfP15HIP_vector_typeIfLj2EEffffjfiS5_IjLj3EEiiiiiiiiiiiliiliiiiil: ; @_ZL15flash_attn_tileILi80ELi80ELi8ELi1ELb0EEvPKcS1_S1_S1_S1_PKiPfP15HIP_vector_typeIfLj2EEffffjfiS5_IjLj3EEiiiiiiiiiiiliiliiiiil
; %bb.0:
	s_load_dwordx4 s[36:39], s[0:1], 0x5c
	s_load_dwordx2 s[42:43], s[0:1], 0x80
	s_load_dwordx16 s[16:31], s[0:1], 0x0
	s_load_dwordx2 s[10:11], s[0:1], 0xb8
	s_mov_b64 s[40:41], 0
	s_waitcnt lgkmcnt(0)
	v_cvt_f32_u32_e32 v1, s39
	s_sub_i32 s5, 0, s39
	v_rcp_iflag_f32_e32 v1, v1
	s_nop 0
	v_mul_f32_e32 v1, 0x4f7ffffe, v1
	v_cvt_u32_f32_e32 v1, v1
	s_nop 0
	v_readfirstlane_b32 s6, v1
	s_mul_i32 s5, s5, s6
	s_mul_hi_u32 s5, s6, s5
	s_add_i32 s6, s6, s5
	s_mul_hi_u32 s5, s4, s6
	s_mul_i32 s6, s5, s39
	s_sub_i32 s6, s4, s6
	s_add_i32 s7, s5, 1
	s_sub_i32 s8, s6, s39
	s_cmp_ge_u32 s6, s39
	s_cselect_b32 s5, s7, s5
	s_cselect_b32 s6, s8, s6
	s_add_i32 s7, s5, 1
	s_cmp_ge_u32 s6, s39
	s_cselect_b32 s33, s7, s5
	s_abs_i32 s5, s43
	v_cvt_f32_u32_e32 v1, s5
	s_mul_i32 s8, s33, s39
	s_sub_i32 s9, 0, s5
	s_sub_i32 s34, s4, s8
	v_rcp_iflag_f32_e32 v1, v1
	s_abs_i32 s7, s39
	s_xor_b32 s6, s39, s43
	s_ashr_i32 s6, s6, 31
	v_mul_f32_e32 v1, 0x4f7ffffe, v1
	v_cvt_u32_f32_e32 v1, v1
	s_nop 0
	v_readfirstlane_b32 s4, v1
	s_mul_i32 s9, s9, s4
	s_mul_hi_u32 s8, s4, s9
	s_add_i32 s4, s4, s8
	s_mul_hi_u32 s4, s7, s4
	s_mul_i32 s8, s4, s5
	s_sub_i32 s7, s7, s8
	s_add_i32 s9, s4, 1
	s_sub_i32 s8, s7, s5
	s_cmp_ge_u32 s7, s5
	s_cselect_b32 s4, s9, s4
	s_cselect_b32 s7, s8, s7
	s_add_i32 s8, s4, 1
	s_cmp_ge_u32 s7, s5
	s_cselect_b32 s4, s8, s4
	s_xor_b32 s4, s4, s6
	s_sub_i32 s44, s4, s6
	s_abs_i32 s43, s44
	v_cvt_f32_u32_e32 v1, s43
	s_sub_i32 s5, 0, s43
	s_cmp_eq_u64 s[22:23], 0
	v_rcp_iflag_f32_e32 v1, v1
	s_nop 0
	v_mul_f32_e32 v1, 0x4f7ffffe, v1
	v_cvt_u32_f32_e32 v1, v1
	s_nop 0
	v_readfirstlane_b32 s4, v1
	s_mul_i32 s5, s5, s4
	s_mul_hi_u32 s5, s4, s5
	s_cbranch_scc1 .LBB62_2
; %bb.1:
	s_abs_i32 s8, s10
	v_cvt_f32_u32_e32 v1, s8
	s_sub_i32 s12, 0, s8
	s_abs_i32 s10, s33
	s_ashr_i32 s9, s33, 31
	v_rcp_iflag_f32_e32 v1, v1
	s_load_dwordx2 s[6:7], s[0:1], 0xc8
	v_mul_f32_e32 v1, 0x4f7ffffe, v1
	v_cvt_u32_f32_e32 v1, v1
	s_nop 0
	v_readfirstlane_b32 s13, v1
	s_mul_i32 s12, s12, s13
	s_mul_hi_u32 s12, s13, s12
	s_add_i32 s13, s13, s12
	s_mul_hi_u32 s12, s10, s13
	s_mul_i32 s12, s12, s8
	s_sub_i32 s10, s10, s12
	s_sub_i32 s12, s10, s8
	s_cmp_ge_u32 s10, s8
	s_cselect_b32 s10, s12, s10
	s_sub_i32 s12, s10, s8
	s_cmp_ge_u32 s10, s8
	s_cselect_b32 s8, s12, s10
	s_xor_b32 s8, s8, s9
	s_sub_i32 s8, s8, s9
	s_ashr_i32 s9, s8, 31
	s_waitcnt lgkmcnt(0)
	s_mul_i32 s7, s8, s7
	s_mul_hi_u32 s10, s8, s6
	s_add_i32 s7, s10, s7
	s_mul_i32 s9, s9, s6
	s_add_i32 s7, s7, s9
	s_mul_i32 s8, s8, s6
	s_add_u32 s40, s22, s8
	s_addc_u32 s41, s23, s7
.LBB62_2:
	s_load_dwordx4 s[12:15], s[0:1], 0x40
	s_add_i32 s22, s4, s5
	s_load_dword s4, s[0:1], 0x50
	s_abs_i32 s10, s34
	v_mov_b32_e32 v64, 1.0
	s_waitcnt lgkmcnt(0)
	v_cmp_le_f32_e64 s[6:7], s13, 0
	s_and_b64 vcc, exec, s[6:7]
	s_cbranch_vccnz .LBB62_4
; %bb.3:
	s_sub_i32 s5, s34, s4
	s_lshl_b32 s5, s5, 1
	s_add_i32 s6, s34, 1
	s_or_b32 s7, s5, 1
	s_cmp_lt_u32 s34, s4
	s_cselect_b64 vcc, -1, 0
	s_and_b64 s[4:5], vcc, exec
	v_mov_b32_e32 v1, s15
	v_mov_b32_e32 v2, s14
	s_cselect_b32 s4, s6, s7
	v_cndmask_b32_e32 v18, v1, v2, vcc
	v_cvt_f32_i32_e32 v1, s4
	v_cmp_neq_f32_e32 vcc, 1.0, v18
	s_mov_b32 s4, 0x3f2aaaab
	s_movk_i32 s6, 0x204
	v_cndmask_b32_e32 v19, 1.0, v1, vcc
	v_cmp_eq_f32_e32 vcc, 0, v19
	s_mov_b32 s8, 0x42b17218
	s_mov_b32 s7, 0x7f800000
	v_cndmask_b32_e64 v20, |v18|, 1.0, vcc
	v_frexp_mant_f32_e32 v1, v20
	v_cmp_gt_f32_e64 s[4:5], s4, v1
	s_brev_b32 s14, -2
	s_nop 0
	v_cndmask_b32_e64 v2, 1.0, 2.0, s[4:5]
	v_mul_f32_e32 v1, v1, v2
	v_add_f32_e32 v2, 1.0, v1
	v_rcp_f32_e32 v10, v2
	v_add_f32_e32 v3, -1.0, v2
	v_sub_f32_e32 v5, v1, v3
	v_add_f32_e32 v3, -1.0, v1
	v_mul_f32_e32 v1, v3, v10
	v_mul_f32_e32 v4, v2, v1
	v_fma_f32 v6, v1, v2, -v4
	v_fmac_f32_e32 v6, v1, v5
	v_add_f32_e32 v2, v4, v6
	v_sub_f32_e32 v5, v3, v2
	v_pk_add_f32 v[8:9], v[2:3], v[4:5] neg_lo:[0,1] neg_hi:[0,1]
	v_mov_b32_e32 v7, v2
	v_pk_add_f32 v[2:3], v[8:9], v[6:7] neg_lo:[0,1] neg_hi:[0,1]
	v_mov_b32_e32 v6, 0x3e91f4c4
	v_add_f32_e32 v2, v2, v3
	v_add_f32_e32 v2, v5, v2
	v_mul_f32_e32 v3, v10, v2
	v_add_f32_e32 v2, v1, v3
	v_sub_f32_e32 v1, v2, v1
	v_sub_f32_e32 v1, v3, v1
	v_mul_f32_e32 v3, v2, v2
	v_fma_f32 v5, v2, v2, -v3
	v_add_f32_e32 v4, v1, v1
	v_fmac_f32_e32 v5, v2, v4
	v_add_f32_e32 v4, v3, v5
	v_fmac_f32_e32 v6, 0x3e76c4e1, v4
	v_fmaak_f32 v6, v4, v6, 0x3ecccdef
	v_sub_f32_e32 v3, v4, v3
	v_sub_f32_e32 v12, v5, v3
	v_mul_f32_e32 v3, v4, v6
	v_fma_f32 v5, v4, v6, -v3
	v_fmac_f32_e32 v5, v12, v6
	v_add_f32_e32 v6, v3, v5
	v_add_f32_e32 v7, 0x3f2aaaaa, v6
	v_sub_f32_e32 v3, v6, v3
	v_sub_f32_e32 v3, v5, v3
	v_add_f32_e32 v5, 0xbf2aaaaa, v7
	v_add_f32_e32 v3, 0x31739010, v3
	v_sub_f32_e32 v5, v6, v5
	v_pk_mul_f32 v[8:9], v[2:3], v[4:5]
	v_pk_add_f32 v[10:11], v[2:3], v[4:5]
	v_fma_f32 v6, v4, v2, -v8
	v_fmac_f32_e32 v6, v4, v1
	v_mov_b32_e32 v9, v11
	v_fmac_f32_e32 v6, v12, v2
	v_pk_add_f32 v[4:5], v[8:9], v[6:7]
	v_ldexp_f32 v1, v1, 1
	v_sub_f32_e32 v3, v4, v8
	v_sub_f32_e32 v3, v6, v3
	;; [unrolled: 1-line block ×3, first 2 shown]
	v_add_f32_e32 v9, v11, v6
	v_mov_b32_e32 v6, v5
	v_pk_mul_f32 v[6:7], v[4:5], v[6:7]
	v_cvt_f64_f32_e32 v[10:11], v20
	v_frexp_exp_i32_f64_e32 v7, v[10:11]
	v_subbrev_co_u32_e64 v7, s[4:5], 0, v7, s[4:5]
	v_cvt_f32_i32_e32 v7, v7
	v_fma_f32 v8, v4, v5, -v6
	v_fmac_f32_e32 v8, v4, v9
	s_mov_b32 s4, 0x3f317218
	v_mul_f32_e32 v4, 0x3f317218, v7
	v_fmac_f32_e32 v8, v3, v5
	v_fma_f32 v3, v7, s4, -v4
	v_fmamk_f32 v10, v7, 0xb102e308, v3
	v_ldexp_f32 v11, v2, 1
	v_add_f32_e32 v5, v6, v8
	v_pk_add_f32 v[2:3], v[4:5], v[10:11]
	v_mov_b32_e32 v12, v5
	v_mov_b32_e32 v13, v3
	;; [unrolled: 1-line block ×3, first 2 shown]
	v_pk_add_f32 v[6:7], v[12:13], v[6:7] neg_lo:[0,1] neg_hi:[0,1]
	v_mov_b32_e32 v9, v5
	v_pk_add_f32 v[6:7], v[8:9], v[6:7] neg_lo:[0,1] neg_hi:[0,1]
	v_mov_b32_e32 v11, v2
	v_add_f32_e32 v1, v1, v6
	v_add_f32_e32 v5, v1, v7
	v_pk_add_f32 v[6:7], v[2:3], v[4:5] neg_lo:[0,1] neg_hi:[0,1]
	v_pk_add_f32 v[8:9], v[2:3], v[4:5]
	v_mov_b32_e32 v12, v6
	v_mov_b32_e32 v13, v9
	v_pk_add_f32 v[12:13], v[10:11], v[12:13]
	v_pk_add_f32 v[6:7], v[10:11], v[6:7] neg_lo:[0,1] neg_hi:[0,1]
	v_mov_b32_e32 v4, v13
	v_pk_add_f32 v[14:15], v[4:5], v[2:3] neg_lo:[0,1] neg_hi:[0,1]
	v_mov_b32_e32 v12, v9
	v_mov_b32_e32 v1, v14
	;; [unrolled: 1-line block ×4, first 2 shown]
	v_pk_add_f32 v[16:17], v[8:9], v[0:1] neg_lo:[0,1] neg_hi:[0,1]
	v_pk_add_f32 v[2:3], v[12:13], v[2:3] neg_lo:[0,1] neg_hi:[0,1]
	v_mov_b32_e32 v10, v5
	v_pk_add_f32 v[2:3], v[10:11], v[2:3] neg_lo:[0,1] neg_hi:[0,1]
	v_mov_b32_e32 v16, v6
	v_pk_add_f32 v[8:9], v[16:17], v[2:3]
	v_mov_b32_e32 v7, v13
	v_mov_b32_e32 v10, v9
	v_pk_add_f32 v[10:11], v[8:9], v[10:11]
	s_nop 0
	v_pk_add_f32 v[4:5], v[4:5], v[10:11]
	v_mov_b32_e32 v3, v10
	v_mov_b32_e32 v9, v4
	v_pk_add_f32 v[12:13], v[8:9], v[6:7] neg_lo:[0,1] neg_hi:[0,1]
	s_nop 0
	v_sub_f32_e32 v1, v8, v12
	v_pk_add_f32 v[2:3], v[2:3], v[12:13] neg_lo:[0,1] neg_hi:[0,1]
	v_sub_f32_e32 v1, v6, v1
	v_add_f32_e32 v1, v2, v1
	v_add_f32_e32 v1, v1, v3
	;; [unrolled: 1-line block ×3, first 2 shown]
	v_sub_f32_e32 v3, v2, v4
	v_sub_f32_e32 v1, v1, v3
	v_mul_f32_e32 v3, v19, v2
	v_fma_f32 v2, v19, v2, -v3
	v_fmac_f32_e32 v2, v19, v1
	v_add_f32_e32 v1, v3, v2
	v_cmp_class_f32_e64 s[4:5], v3, s6
	v_sub_f32_e32 v4, v1, v3
	v_sub_f32_e32 v2, v2, v4
	v_cndmask_b32_e64 v1, v1, v3, s[4:5]
	v_mov_b32_e32 v3, 0x37000000
	v_cmp_eq_f32_e64 s[4:5], s8, v1
	s_nop 1
	v_cndmask_b32_e64 v3, 0, v3, s[4:5]
	v_sub_f32_e32 v4, v1, v3
	s_mov_b32 s4, 0x3fb8aa3b
	v_mul_f32_e32 v5, 0x3fb8aa3b, v4
	v_fma_f32 v6, v4, s4, -v5
	v_rndne_f32_e32 v7, v5
	v_fmamk_f32 v6, v4, 0x32a5705f, v6
	v_sub_f32_e32 v5, v5, v7
	v_add_f32_e32 v5, v5, v6
	v_exp_f32_e32 v5, v5
	v_cvt_i32_f32_e32 v6, v7
	v_cmp_neq_f32_e64 s[4:5], |v1|, s7
	s_nop 1
	v_cndmask_b32_e64 v1, 0, v2, s[4:5]
	s_mov_b32 s4, 0xc2ce8ed0
	v_ldexp_f32 v2, v5, v6
	v_cmp_ngt_f32_e64 s[4:5], s4, v4
	v_add_f32_e32 v1, v3, v1
	v_mov_b32_e32 v3, 0x7f800000
	v_cndmask_b32_e64 v2, 0, v2, s[4:5]
	v_cmp_nlt_f32_e64 s[4:5], s8, v4
	v_trunc_f32_e32 v4, v19
	v_mov_b32_e32 v5, 0x7fc00000
	v_cndmask_b32_e64 v2, v3, v2, s[4:5]
	v_fma_f32 v1, v2, v1, v2
	v_cmp_class_f32_e64 s[4:5], v2, s6
	v_cmp_gt_f32_e64 s[8:9], 0, v19
	s_nop 0
	v_cndmask_b32_e64 v1, v1, v2, s[4:5]
	v_cndmask_b32_e64 v2, v18, 1.0, vcc
	v_cmp_eq_f32_e32 vcc, v4, v19
	v_mul_f32_e32 v4, 0.5, v19
	v_trunc_f32_e32 v6, v4
	v_cmp_neq_f32_e64 s[4:5], v6, v4
	s_and_b64 s[4:5], vcc, s[4:5]
	s_nop 0
	v_cndmask_b32_e64 v4, 1.0, v2, s[4:5]
	v_bfi_b32 v1, s14, v1, v4
	v_cndmask_b32_e32 v4, v5, v1, vcc
	v_cmp_gt_f32_e32 vcc, 0, v2
	s_nop 1
	v_cndmask_b32_e32 v1, v1, v4, vcc
	v_cmp_eq_f32_e32 vcc, s7, v20
	v_cmp_eq_f32_e64 s[6:7], 0, v2
	s_xor_b64 s[8:9], s[8:9], s[6:7]
	v_cndmask_b32_e64 v3, v3, 0, s[8:9]
	v_cndmask_b32_e64 v4, 0, v2, s[4:5]
	v_bfi_b32 v3, s14, v3, v4
	s_or_b64 vcc, vcc, s[6:7]
	v_cndmask_b32_e32 v1, v1, v3, vcc
	v_cmp_o_f32_e32 vcc, v2, v2
	s_nop 1
	v_cndmask_b32_e32 v64, v5, v1, vcc
.LBB62_4:
	s_lshl_b32 s4, s2, 3
	v_bfe_u32 v51, v0, 10, 10
	v_and_b32_e32 v40, 0x3ff, v0
	s_mul_hi_u32 s6, s10, s22
	v_cmp_gt_u32_e64 s[14:15], 20, v40
	v_add_u32_e32 v41, s4, v51
	s_and_saveexec_b64 s[4:5], s[14:15]
	s_cbranch_execz .LBB62_6
; %bb.5:
	s_load_dwordx4 s[48:51], s[0:1], 0x70
	v_mul_hi_u32 v0, s36, v41
	v_add_u32_e32 v0, v41, v0
	v_lshrrev_b32_e32 v0, s37, v0
	v_mul_lo_u32 v0, v0, s38
	s_waitcnt lgkmcnt(0)
	s_mul_i32 s7, s33, s50
	s_ashr_i32 s9, s7, 31
	s_mul_i32 s8, s34, s49
	s_add_u32 s7, s16, s7
	s_addc_u32 s9, s17, s9
	s_ashr_i32 s16, s8, 31
	s_add_u32 s8, s7, s8
	s_addc_u32 s9, s9, s16
	v_sub_u32_e32 v3, v41, v0
	s_ashr_i32 s7, s48, 31
	v_mov_b32_e32 v0, s48
	v_alignbit_b32 v0, s7, v0, 2
	v_mad_u64_u32 v[0:1], s[16:17], v0, v3, 0
	v_mov_b32_e32 v2, v1
	s_lshr_b32 s7, s7, 2
	v_mad_u64_u32 v[2:3], s[16:17], s7, v3, v[2:3]
	v_mov_b32_e32 v1, v2
	v_lshl_add_u64 v[0:1], v[0:1], 2, s[8:9]
	v_lshlrev_b32_e32 v2, 4, v40
	v_mov_b32_e32 v3, 0
	v_lshl_add_u64 v[0:1], v[0:1], 0, v[2:3]
	global_load_dwordx4 v[0:3], v[0:1], off
	v_mul_u32_u24_e32 v4, 40, v51
	s_waitcnt vmcnt(0)
	v_pk_mul_f32 v[0:1], v[0:1], s[12:13] op_sel_hi:[1,0]
	v_pk_mul_f32 v[2:3], v[2:3], s[12:13] op_sel_hi:[1,0]
	v_cvt_f16_f32_e32 v5, v1
	v_cvt_f16_f32_e32 v1, v3
	;; [unrolled: 1-line block ×4, first 2 shown]
	v_lshlrev_b32_e32 v3, 1, v40
	v_add_lshl_u32 v3, v4, v3, 2
	v_pack_b32_f16 v1, v2, v1
	v_pack_b32_f16 v0, v0, v5
	ds_write_b64 v3, v[0:1] offset:3264
.LBB62_6:
	s_or_b64 exec, exec, s[4:5]
	s_ashr_i32 s35, s34, 31
	s_ashr_i32 s4, s44, 31
	s_cmp_eq_u64 s[26:27], 0
	s_waitcnt lgkmcnt(0)
	s_barrier
	s_cbranch_scc1 .LBB62_8
; %bb.7:
	s_load_dword s5, s[0:1], 0xd0
	s_mov_b32 s9, 0
	s_waitcnt lgkmcnt(0)
	s_mul_i32 s5, s5, s33
	s_add_i32 s8, s5, s2
	s_lshl_b64 s[8:9], s[8:9], 2
	s_add_u32 s8, s26, s8
	s_addc_u32 s9, s27, s9
	s_load_dword s42, s[8:9], 0x0
.LBB62_8:
	s_nop 0
	s_load_dwordx2 s[8:9], s[0:1], 0x8c
	s_load_dwordx4 s[48:51], s[0:1], 0x98
	s_load_dwordx2 s[12:13], s[0:1], 0xa8
	s_ashr_i32 s5, s33, 31
	s_ashr_i32 s44, s11, 1
	s_waitcnt lgkmcnt(0)
	s_ashr_i32 s45, s8, 2
	s_mul_i32 s7, s33, s49
	s_mul_hi_u32 s8, s33, s48
	s_add_i32 s7, s8, s7
	s_mul_i32 s8, s5, s48
	s_ashr_i32 s2, s50, 2
	s_add_i32 s7, s7, s8
	s_mul_i32 s8, s33, s48
	s_add_u32 s8, s18, s8
	s_mul_i32 s11, s6, s43
	s_addc_u32 s7, s19, s7
	s_sub_i32 s10, s10, s11
	s_xor_b32 s4, s35, s4
	s_add_i32 s11, s6, 1
	s_sub_i32 s16, s10, s43
	s_cmp_ge_u32 s10, s43
	s_cselect_b32 s6, s11, s6
	s_cselect_b32 s10, s16, s10
	s_add_i32 s11, s6, 1
	s_cmp_ge_u32 s10, s43
	s_cselect_b32 s6, s11, s6
	s_xor_b32 s6, s6, s4
	s_sub_i32 s4, s6, s4
	s_mul_i32 s6, s4, s9
	s_ashr_i32 s9, s6, 31
	s_add_u32 s46, s8, s6
	s_addc_u32 s47, s7, s9
	s_mul_i32 s6, s33, s13
	s_mul_hi_u32 s7, s33, s12
	s_add_i32 s6, s7, s6
	s_mul_i32 s5, s5, s12
	s_add_i32 s6, s6, s5
	s_mul_i32 s5, s33, s12
	s_add_u32 s5, s20, s5
	s_mul_i32 s4, s4, s51
	s_addc_u32 s6, s21, s6
	s_ashr_i32 s7, s4, 31
	s_add_u32 s26, s5, s4
	s_addc_u32 s27, s6, s7
	s_lshl_b32 s43, s3, 5
	s_sub_i32 s48, s42, 32
	s_cmp_ge_i32 s43, s48
	v_mov_b32_e32 v62, 0
	v_lshl_add_u32 v72, v51, 5, v40
	v_lshrrev_b32_e32 v71, 2, v40
	v_lshlrev_b32_e32 v65, 2, v40
	v_lshrrev_b32_e32 v67, 1, v40
	v_lshrrev_b32_e32 v66, 3, v40
	v_lshlrev_b32_e32 v55, 3, v40
	v_mbcnt_lo_u32_b32 v68, -1, 0
	s_cbranch_scc1 .LBB62_31
; %bb.9:
	v_and_b32_e32 v0, 12, v65
	v_lshl_add_u32 v1, v51, 3, v71
	s_movk_i32 s8, 0x60
	v_lshlrev_b32_e32 v2, 2, v0
	v_cmp_gt_u32_e64 s[6:7], 32, v1
	v_mad_u32_u24 v76, v1, s8, v2
	v_mul_lo_u32 v46, s45, v1
	v_mul_hi_u32 v1, s36, v41
	v_add_u32_e32 v1, v41, v1
	v_lshrrev_b32_e32 v1, s37, v1
	v_mul_lo_u32 v1, v1, s38
	v_sub_u32_e32 v1, v41, v1
	v_mad_u32_u24 v75, v72, s8, 64
	v_mad_u64_u32 v[48:49], s[8:9], v1, s44, v[40:41]
	v_mov_b32_e32 v1, 0x11c0
	v_lshl_add_u32 v49, v51, 6, v1
	v_lshl_add_u32 v1, v51, 4, v67
	s_cmp_lg_u64 s[40:41], 0
	v_lshl_add_u32 v2, v51, 2, v66
	v_and_b32_e32 v50, 4, v65
	v_mul_u32_u24_e32 v3, 0xa0, v1
	v_and_b32_e32 v54, 28, v65
	s_movk_i32 s12, 0xa0
	v_mul_lo_u32 v42, s45, v72
	v_mov_b32_e32 v45, 0
	s_cselect_b64 s[16:17], -1, 0
	v_cmp_gt_u32_e64 s[8:9], 16, v1
	v_lshl_or_b32 v3, v50, 2, v3
	v_mul_lo_u32 v52, s2, v1
	v_lshlrev_b32_e32 v1, 2, v54
	v_mul_lo_u32 v56, s2, v2
	s_add_u32 s18, s0, 0xd0
	v_cmp_gt_u32_e64 s[4:5], 32, v72
	v_mul_u32_u24_e32 v73, 0x60, v40
	v_mul_u32_u24_e32 v74, 0xa0, v51
	v_ashrrev_i32_e32 v43, 31, v42
	v_ashrrev_i32_e32 v47, 31, v46
	v_lshl_add_u32 v77, v40, 1, v49
	v_cmp_gt_u32_e64 s[10:11], 16, v2
	v_add_u32_e32 v78, 0x80, v3
	v_ashrrev_i32_e32 v53, 31, v52
	v_mad_u32_u24 v79, v2, s12, v1
	v_ashrrev_i32_e32 v57, 31, v56
	s_addc_u32 s19, s1, 0
	v_mov_b32_e32 v4, 0xfeffffff
	v_mbcnt_hi_u32_b32 v80, -1, v68
	s_mov_b32 s49, 0x3fb8aa3b
	s_mov_b32 s50, 0xc2ce8ed0
	;; [unrolled: 1-line block ×3, first 2 shown]
	v_lshlrev_b32_e32 v44, 2, v0
	v_mov_b32_e32 v81, 0x7f800000
	v_mov_b32_e32 v63, v45
	;; [unrolled: 1-line block ×4, first 2 shown]
.LBB62_10:                              ; =>This Inner Loop Header: Depth=1
	s_mul_hi_i32 s13, s43, s45
	s_mul_i32 s12, s43, s45
	s_lshl_b64 s[12:13], s[12:13], 2
	s_add_u32 s12, s46, s12
	s_addc_u32 s13, s47, s13
	v_lshl_add_u64 v[2:3], v[42:43], 2, s[12:13]
	s_and_saveexec_b64 s[20:21], s[4:5]
	s_cbranch_execz .LBB62_12
; %bb.11:                               ;   in Loop: Header=BB62_10 Depth=1
	global_load_dwordx4 v[6:9], v[2:3], off offset:64
	s_waitcnt vmcnt(0)
	ds_write_b128 v75, v[6:9]
.LBB62_12:                              ;   in Loop: Header=BB62_10 Depth=1
	s_or_b64 exec, exec, s[20:21]
	v_lshl_add_u64 v[0:1], v[46:47], 2, s[12:13]
	s_and_saveexec_b64 s[12:13], s[6:7]
	s_cbranch_execz .LBB62_14
; %bb.13:                               ;   in Loop: Header=BB62_10 Depth=1
	v_lshl_add_u64 v[6:7], v[0:1], 0, v[44:45]
	global_load_dwordx4 v[6:9], v[6:7], off
	s_waitcnt vmcnt(0)
	ds_write_b128 v76, v[6:9]
.LBB62_14:                              ;   in Loop: Header=BB62_10 Depth=1
	s_or_b64 exec, exec, s[12:13]
	s_waitcnt lgkmcnt(0)
	s_barrier
	ds_read_b128 v[6:9], v73
	ds_read_b128 v[10:13], v74 offset:3264
	v_mov_b32_e32 v5, 0
	s_waitcnt lgkmcnt(0)
	;;#ASMSTART
	v_dot2_f32_f16 v5, v6, v10, v5
	;;#ASMEND
	s_nop 0
	;;#ASMSTART
	v_dot2_f32_f16 v5, v7, v11, v5
	;;#ASMEND
	s_nop 0
	;;#ASMSTART
	v_dot2_f32_f16 v5, v8, v12, v5
	;;#ASMEND
	s_nop 0
	;;#ASMSTART
	v_dot2_f32_f16 v5, v9, v13, v5
	;;#ASMEND
	ds_read_b128 v[6:9], v73 offset:16
	ds_read_b128 v[10:13], v74 offset:3280
	s_waitcnt lgkmcnt(0)
	;;#ASMSTART
	v_dot2_f32_f16 v5, v6, v10, v5
	;;#ASMEND
	s_nop 0
	;;#ASMSTART
	v_dot2_f32_f16 v5, v7, v11, v5
	;;#ASMEND
	s_nop 0
	;;#ASMSTART
	v_dot2_f32_f16 v5, v8, v12, v5
	;;#ASMEND
	s_nop 0
	;;#ASMSTART
	v_dot2_f32_f16 v5, v9, v13, v5
	;;#ASMEND
	ds_read_b128 v[6:9], v73 offset:32
	ds_read_b128 v[10:13], v74 offset:3296
	;; [unrolled: 18-line block ×4, first 2 shown]
	s_waitcnt lgkmcnt(0)
	;;#ASMSTART
	v_dot2_f32_f16 v5, v6, v10, v5
	;;#ASMEND
	s_nop 0
	;;#ASMSTART
	v_dot2_f32_f16 v5, v7, v11, v5
	;;#ASMEND
	s_nop 0
	;; [unrolled: 4-line block ×3, first 2 shown]
	;;#ASMSTART
	v_dot2_f32_f16 v5, v9, v13, v5
	;;#ASMEND
	s_barrier
	s_and_saveexec_b64 s[12:13], s[4:5]
	s_cbranch_execz .LBB62_16
; %bb.15:                               ;   in Loop: Header=BB62_10 Depth=1
	global_load_dwordx4 v[6:9], v[2:3], off offset:144
	s_waitcnt vmcnt(0)
	ds_write_b128 v75, v[6:9]
.LBB62_16:                              ;   in Loop: Header=BB62_10 Depth=1
	s_or_b64 exec, exec, s[12:13]
	s_and_saveexec_b64 s[12:13], s[6:7]
	s_cbranch_execz .LBB62_18
; %bb.17:                               ;   in Loop: Header=BB62_10 Depth=1
	v_lshl_add_u64 v[0:1], v[0:1], 0, v[44:45]
	global_load_dwordx4 v[0:3], v[0:1], off offset:80
	s_waitcnt vmcnt(0)
	ds_write_b128 v76, v[0:3]
.LBB62_18:                              ;   in Loop: Header=BB62_10 Depth=1
	s_or_b64 exec, exec, s[12:13]
	s_waitcnt lgkmcnt(0)
	s_barrier
	ds_read_b128 v[0:3], v73
	ds_read_b128 v[6:9], v74 offset:3344
	s_andn2_b64 vcc, exec, s[16:17]
	s_waitcnt lgkmcnt(0)
	;;#ASMSTART
	v_dot2_f32_f16 v5, v0, v6, v5
	;;#ASMEND
	s_nop 0
	;;#ASMSTART
	v_dot2_f32_f16 v5, v1, v7, v5
	;;#ASMEND
	s_nop 0
	;;#ASMSTART
	v_dot2_f32_f16 v5, v2, v8, v5
	;;#ASMEND
	s_nop 0
	;;#ASMSTART
	v_dot2_f32_f16 v5, v3, v9, v5
	;;#ASMEND
	ds_read_b128 v[0:3], v73 offset:16
	ds_read_b128 v[6:9], v74 offset:3360
	s_waitcnt lgkmcnt(0)
	;;#ASMSTART
	v_dot2_f32_f16 v5, v0, v6, v5
	;;#ASMEND
	s_nop 0
	;;#ASMSTART
	v_dot2_f32_f16 v5, v1, v7, v5
	;;#ASMEND
	s_nop 0
	;;#ASMSTART
	v_dot2_f32_f16 v5, v2, v8, v5
	;;#ASMEND
	s_nop 0
	;;#ASMSTART
	v_dot2_f32_f16 v5, v3, v9, v5
	;;#ASMEND
	ds_read_b128 v[0:3], v73 offset:32
	ds_read_b128 v[6:9], v74 offset:3376
	;; [unrolled: 18-line block ×4, first 2 shown]
	s_waitcnt lgkmcnt(0)
	;;#ASMSTART
	v_dot2_f32_f16 v5, v0, v6, v5
	;;#ASMEND
	s_nop 0
	;;#ASMSTART
	v_dot2_f32_f16 v5, v1, v7, v5
	;;#ASMEND
	s_nop 0
	;; [unrolled: 4-line block ×3, first 2 shown]
	;;#ASMSTART
	v_dot2_f32_f16 v5, v3, v9, v5
	;;#ASMEND
	s_cbranch_vccnz .LBB62_20
; %bb.19:                               ;   in Loop: Header=BB62_10 Depth=1
	v_add_u32_e32 v0, s43, v48
	v_ashrrev_i32_e32 v1, 31, v0
	v_lshl_add_u64 v[0:1], v[0:1], 1, s[40:41]
	flat_load_ushort v0, v[0:1]
	s_waitcnt vmcnt(0) lgkmcnt(0)
	v_cvt_f32_f16_e32 v0, v0
	v_mul_f32_e32 v0, v64, v0
	s_branch .LBB62_21
.LBB62_20:                              ;   in Loop: Header=BB62_10 Depth=1
	v_mov_b32_e32 v0, 0
.LBB62_21:                              ;   in Loop: Header=BB62_10 Depth=1
	v_add_f32_e32 v0, v5, v0
	v_add_f32_e32 v1, 0x40051340, v0
	v_max_f32_e32 v2, v4, v4
	v_max_f32_e32 v1, v2, v1
	v_and_b32_e32 v2, 0x60, v80
	v_add_u32_e32 v2, 32, v2
	v_xor_b32_e32 v3, 16, v80
	v_cmp_lt_i32_e32 vcc, v3, v2
	s_mul_hi_i32 s13, s43, s2
	s_mul_i32 s12, s43, s2
	v_cndmask_b32_e32 v3, v80, v3, vcc
	v_lshlrev_b32_e32 v3, 2, v3
	ds_bpermute_b32 v3, v3, v1
	s_lshl_b64 s[12:13], s[12:13], 2
	s_add_u32 s12, s26, s12
	s_addc_u32 s13, s27, s13
	v_lshlrev_b32_e32 v58, 2, v50
	s_waitcnt lgkmcnt(0)
	v_max_f32_e32 v3, v3, v3
	v_max_f32_e32 v1, v1, v3
	v_xor_b32_e32 v3, 8, v80
	v_cmp_lt_i32_e32 vcc, v3, v2
	s_barrier
	s_nop 0
	v_cndmask_b32_e32 v3, v80, v3, vcc
	v_lshlrev_b32_e32 v3, 2, v3
	ds_bpermute_b32 v3, v3, v1
	s_waitcnt lgkmcnt(0)
	v_max_f32_e32 v3, v3, v3
	v_max_f32_e32 v1, v1, v3
	v_xor_b32_e32 v3, 4, v80
	v_cmp_lt_i32_e32 vcc, v3, v2
	s_nop 1
	v_cndmask_b32_e32 v3, v80, v3, vcc
	v_lshlrev_b32_e32 v3, 2, v3
	ds_bpermute_b32 v3, v3, v1
	s_waitcnt lgkmcnt(0)
	v_max_f32_e32 v3, v3, v3
	v_max_f32_e32 v1, v1, v3
	v_xor_b32_e32 v3, 2, v80
	v_cmp_lt_i32_e32 vcc, v3, v2
	;; [unrolled: 9-line block ×3, first 2 shown]
	s_nop 1
	v_cndmask_b32_e32 v2, v80, v3, vcc
	v_lshlrev_b32_e32 v2, 2, v2
	ds_bpermute_b32 v2, v2, v1
	s_waitcnt lgkmcnt(0)
	v_max_f32_e32 v2, v2, v2
	v_max_f32_e32 v70, v1, v2
	v_sub_f32_e32 v0, v0, v70
	v_mul_f32_e32 v1, 0x3fb8aa3b, v0
	v_fma_f32 v2, v0, s49, -v1
	v_rndne_f32_e32 v3, v1
	v_fmac_f32_e32 v2, 0x32a5705f, v0
	v_sub_f32_e32 v1, v1, v3
	v_add_f32_e32 v1, v1, v2
	v_exp_f32_e32 v1, v1
	v_cvt_i32_f32_e32 v2, v3
	v_cmp_ngt_f32_e32 vcc, s50, v0
	v_ldexp_f32 v1, v1, v2
	s_nop 0
	v_cndmask_b32_e32 v1, 0, v1, vcc
	v_cmp_nlt_f32_e32 vcc, s51, v0
	s_nop 1
	v_cndmask_b32_e32 v69, v81, v1, vcc
	v_cvt_f16_f32_e32 v0, v69
	ds_write_b16 v77, v0
	s_and_saveexec_b64 s[20:21], s[8:9]
	s_cbranch_execz .LBB62_23
; %bb.22:                               ;   in Loop: Header=BB62_10 Depth=1
	v_lshl_add_u64 v[0:1], v[52:53], 2, s[12:13]
	v_mov_b32_e32 v59, v45
	v_lshl_add_u64 v[0:1], v[0:1], 0, v[58:59]
	global_load_dwordx4 v[0:3], v[0:1], off offset:128
	s_waitcnt vmcnt(0)
	ds_write_b128 v78, v[0:3]
.LBB62_23:                              ;   in Loop: Header=BB62_10 Depth=1
	s_or_b64 exec, exec, s[20:21]
	v_lshlrev_b32_e32 v60, 2, v54
	s_and_saveexec_b64 s[20:21], s[10:11]
	s_cbranch_execz .LBB62_25
; %bb.24:                               ;   in Loop: Header=BB62_10 Depth=1
	v_lshl_add_u64 v[0:1], v[56:57], 2, s[12:13]
	v_mov_b32_e32 v61, v45
	v_lshl_add_u64 v[0:1], v[0:1], 0, v[60:61]
	global_load_dwordx4 v[0:3], v[0:1], off
	s_waitcnt vmcnt(0)
	ds_write_b128 v79, v[0:3]
.LBB62_25:                              ;   in Loop: Header=BB62_10 Depth=1
	s_or_b64 exec, exec, s[20:21]
	s_waitcnt lgkmcnt(0)
	s_barrier
	ds_read2_b64 v[28:31], v55 offset1:20
	ds_read_b128 v[8:11], v49
	ds_read_b128 v[0:3], v49 offset:16
	ds_read2_b64 v[36:39], v55 offset0:40 offset1:60
	ds_read2_b64 v[32:35], v55 offset0:80 offset1:100
	;; [unrolled: 1-line block ×5, first 2 shown]
	v_add_u32_e32 v84, 0x400, v55
	v_add_u32_e32 v83, 0x800, v55
	v_sub_f32_e32 v85, v4, v70
	ds_read2_b64 v[16:19], v84 offset0:112 offset1:132
	ds_read2_b64 v[4:7], v83 offset0:24 offset1:44
	s_or_b32 s20, s43, 16
	s_mul_hi_i32 s21, s20, s2
	s_mul_i32 s20, s20, s2
	s_lshl_b64 s[20:21], s[20:21], 2
	s_add_u32 s20, s26, s20
	v_cmp_ngt_f32_e32 vcc, s50, v85
	v_cmp_nlt_f32_e64 s[12:13], s51, v85
	s_addc_u32 s21, s27, s21
	s_waitcnt lgkmcnt(0)
	s_barrier
	s_and_saveexec_b64 s[22:23], s[8:9]
	s_cbranch_execz .LBB62_27
; %bb.26:                               ;   in Loop: Header=BB62_10 Depth=1
	v_lshl_add_u64 v[86:87], v[52:53], 2, s[20:21]
	v_mov_b32_e32 v59, v45
	v_lshl_add_u64 v[58:59], v[86:87], 0, v[58:59]
	global_load_dwordx4 v[86:89], v[58:59], off offset:128
	s_waitcnt vmcnt(0)
	ds_write_b128 v78, v[86:89]
.LBB62_27:                              ;   in Loop: Header=BB62_10 Depth=1
	s_or_b64 exec, exec, s[22:23]
	s_and_saveexec_b64 s[22:23], s[10:11]
	s_cbranch_execz .LBB62_29
; %bb.28:                               ;   in Loop: Header=BB62_10 Depth=1
	v_lshl_add_u64 v[58:59], v[56:57], 2, s[20:21]
	v_mov_b32_e32 v61, v45
	v_lshl_add_u64 v[58:59], v[58:59], 0, v[60:61]
	global_load_dwordx4 v[58:61], v[58:59], off
	s_waitcnt vmcnt(0)
	ds_write_b128 v79, v[58:61]
.LBB62_29:                              ;   in Loop: Header=BB62_10 Depth=1
	s_or_b64 exec, exec, s[22:23]
	v_mul_f32_e32 v58, 0x3fb8aa3b, v85
	v_fma_f32 v59, v85, s49, -v58
	v_rndne_f32_e32 v60, v58
	v_fmac_f32_e32 v59, 0x32a5705f, v85
	v_sub_f32_e32 v58, v58, v60
	v_add_f32_e32 v58, v58, v59
	v_cvt_i32_f32_e32 v59, v60
	v_exp_f32_e32 v58, v58
	v_pk_mul_f16 v28, v28, v8 op_sel_hi:[1,0]
	v_pk_mul_f16 v29, v29, v8 op_sel_hi:[1,0]
	s_waitcnt lgkmcnt(0)
	v_ldexp_f32 v58, v58, v59
	v_cndmask_b32_e32 v58, 0, v58, vcc
	v_cndmask_b32_e64 v58, v81, v58, s[12:13]
	v_cvt_f16_f32_e32 v59, v58
	s_barrier
	v_fmac_f32_e32 v69, v82, v58
	v_pk_fma_f16 v28, v63, v59, v28 op_sel_hi:[1,0,1]
	v_pk_fma_f16 v29, v62, v59, v29 op_sel_hi:[1,0,1]
	v_pk_fma_f16 v28, v30, v8, v28 op_sel:[0,1,0]
	v_pk_fma_f16 v8, v31, v8, v29 op_sel:[0,1,0]
	v_pk_fma_f16 v28, v36, v9, v28 op_sel_hi:[1,0,1]
	v_pk_fma_f16 v8, v37, v9, v8 op_sel_hi:[1,0,1]
	v_pk_fma_f16 v28, v38, v9, v28 op_sel:[0,1,0]
	v_pk_fma_f16 v8, v39, v9, v8 op_sel:[0,1,0]
	;; [unrolled: 4-line block ×6, first 2 shown]
	v_pk_fma_f16 v1, v16, v2, v8 op_sel_hi:[1,0,1]
	ds_read2_b64 v[8:11], v55 offset1:20
	ds_read_b128 v[12:15], v49 offset:32
	v_pk_fma_f16 v0, v17, v2, v0 op_sel_hi:[1,0,1]
	v_pk_fma_f16 v1, v18, v2, v1 op_sel:[0,1,0]
	v_pk_fma_f16 v0, v19, v2, v0 op_sel:[0,1,0]
	v_pk_fma_f16 v1, v4, v3, v1 op_sel_hi:[1,0,1]
	v_pk_fma_f16 v0, v5, v3, v0 op_sel_hi:[1,0,1]
	v_pk_fma_f16 v4, v6, v3, v1 op_sel:[0,1,0]
	v_pk_fma_f16 v16, v7, v3, v0 op_sel:[0,1,0]
	s_waitcnt lgkmcnt(0)
	v_pk_fma_f16 v8, v8, v12, v4 op_sel_hi:[1,0,1]
	ds_read2_b64 v[4:7], v55 offset0:40 offset1:60
	v_pk_fma_f16 v9, v9, v12, v16 op_sel_hi:[1,0,1]
	v_pk_fma_f16 v16, v10, v12, v8 op_sel:[0,1,0]
	v_pk_fma_f16 v12, v11, v12, v9 op_sel:[0,1,0]
	ds_read2_b64 v[8:11], v55 offset0:80 offset1:100
	s_waitcnt lgkmcnt(1)
	v_pk_fma_f16 v4, v4, v13, v16 op_sel_hi:[1,0,1]
	v_pk_fma_f16 v5, v5, v13, v12 op_sel_hi:[1,0,1]
	v_pk_fma_f16 v4, v6, v13, v4 op_sel:[0,1,0]
	v_pk_fma_f16 v12, v7, v13, v5 op_sel:[0,1,0]
	s_waitcnt lgkmcnt(0)
	v_pk_fma_f16 v8, v8, v14, v4 op_sel_hi:[1,0,1]
	ds_read2_b64 v[4:7], v55 offset0:120 offset1:140
	v_pk_fma_f16 v9, v9, v14, v12 op_sel_hi:[1,0,1]
	ds_read_b128 v[0:3], v49 offset:48
	v_pk_fma_f16 v12, v10, v14, v8 op_sel:[0,1,0]
	v_pk_fma_f16 v13, v11, v14, v9 op_sel:[0,1,0]
	ds_read2_b64 v[8:11], v55 offset0:160 offset1:180
	s_waitcnt lgkmcnt(2)
	v_pk_fma_f16 v4, v4, v15, v12 op_sel_hi:[1,0,1]
	v_pk_fma_f16 v5, v5, v15, v13 op_sel_hi:[1,0,1]
	v_pk_fma_f16 v4, v6, v15, v4 op_sel:[0,1,0]
	v_pk_fma_f16 v12, v7, v15, v5 op_sel:[0,1,0]
	s_waitcnt lgkmcnt(0)
	v_pk_fma_f16 v8, v8, v0, v4 op_sel_hi:[1,0,1]
	ds_read2_b64 v[4:7], v55 offset0:200 offset1:220
	v_pk_fma_f16 v9, v9, v0, v12 op_sel_hi:[1,0,1]
	v_pk_fma_f16 v12, v10, v0, v8 op_sel:[0,1,0]
	v_pk_fma_f16 v0, v11, v0, v9 op_sel:[0,1,0]
	ds_read2_b64 v[8:11], v84 offset0:112 offset1:132
	s_waitcnt lgkmcnt(1)
	v_pk_fma_f16 v4, v4, v1, v12 op_sel_hi:[1,0,1]
	v_pk_fma_f16 v0, v5, v1, v0 op_sel_hi:[1,0,1]
	v_pk_fma_f16 v4, v6, v1, v4 op_sel:[0,1,0]
	v_pk_fma_f16 v0, v7, v1, v0 op_sel:[0,1,0]
	s_waitcnt lgkmcnt(0)
	v_pk_fma_f16 v1, v8, v2, v4 op_sel_hi:[1,0,1]
	ds_read2_b64 v[4:7], v83 offset0:24 offset1:44
	s_waitcnt lgkmcnt(0)
	s_barrier
	s_load_dword s12, s[18:19], 0x4
	v_pk_fma_f16 v0, v9, v2, v0 op_sel_hi:[1,0,1]
	v_pk_fma_f16 v1, v10, v2, v1 op_sel:[0,1,0]
	v_pk_fma_f16 v0, v11, v2, v0 op_sel:[0,1,0]
	v_pk_fma_f16 v1, v4, v3, v1 op_sel_hi:[1,0,1]
	s_waitcnt lgkmcnt(0)
	s_lshl_b32 s12, s12, 5
	v_pk_fma_f16 v0, v5, v3, v0 op_sel_hi:[1,0,1]
	s_add_i32 s43, s12, s43
	v_pk_fma_f16 v63, v6, v3, v1 op_sel:[0,1,0]
	s_cmp_lt_i32 s43, s48
	v_pk_fma_f16 v62, v7, v3, v0 op_sel:[0,1,0]
	s_cbranch_scc0 .LBB62_32
; %bb.30:                               ;   in Loop: Header=BB62_10 Depth=1
	v_mov_b32_e32 v4, v70
	v_mov_b32_e32 v82, v69
	s_branch .LBB62_10
.LBB62_31:
	v_mov_b32_e32 v70, 0xfeffffff
	v_mov_b32_e32 v69, 0
	;; [unrolled: 1-line block ×3, first 2 shown]
.LBB62_32:
	s_cmp_gt_i32 s42, s43
	s_cbranch_scc1 .LBB62_34
; %bb.33:
	v_mbcnt_hi_u32_b32 v43, -1, v68
	v_and_b32_e32 v0, 0x60, v43
	v_add_u32_e32 v52, 32, v0
	v_xor_b32_e32 v53, 16, v43
	v_xor_b32_e32 v54, 8, v43
	;; [unrolled: 1-line block ×5, first 2 shown]
	v_mov_b32_e32 v42, v70
	s_cbranch_execz .LBB62_35
	s_branch .LBB62_57
.LBB62_34:
                                        ; implicit-def: $vgpr43
                                        ; implicit-def: $vgpr52
                                        ; implicit-def: $vgpr53
                                        ; implicit-def: $vgpr54
                                        ; implicit-def: $vgpr56
                                        ; implicit-def: $vgpr57
                                        ; implicit-def: $vgpr58
	v_mov_b32_e32 v42, v70
.LBB62_35:
	s_mul_hi_i32 s5, s43, s45
	s_mul_i32 s4, s43, s45
	s_sub_i32 s16, s42, s43
	s_lshl_b64 s[4:5], s[4:5], 2
	s_add_u32 s12, s46, s4
	s_mov_b64 s[10:11], src_private_base
	v_mul_lo_u32 v0, s45, v72
	s_addc_u32 s13, s47, s5
	s_movk_i32 s10, 0x60
	v_ashrrev_i32_e32 v1, 31, v0
	v_cmp_gt_u32_e64 s[6:7], 32, v72
	v_mad_u32_u24 v3, v72, s10, 64
	v_cmp_gt_i32_e32 vcc, s16, v72
	v_lshl_add_u64 v[4:5], v[0:1], 2, s[12:13]
	s_and_saveexec_b64 s[4:5], s[6:7]
	s_cbranch_execz .LBB62_37
; %bb.36:
	v_mov_b32_e32 v0, 0
	v_mov_b32_e32 v1, v0
	;; [unrolled: 1-line block ×3, first 2 shown]
	scratch_store_dword off, v0, off
	scratch_store_dwordx3 off, v[0:2], off offset:4
	s_nop 1
	v_lshl_add_u64 v[0:1], v[4:5], 0, 64
	v_mov_b32_e32 v2, s11
	v_cndmask_b32_e32 v1, v2, v1, vcc
	v_mov_b32_e32 v2, 0
	v_cndmask_b32_e32 v0, v2, v0, vcc
	flat_load_dwordx4 v[6:9], v[0:1]
	s_waitcnt vmcnt(0) lgkmcnt(0)
	ds_write_b128 v3, v[6:9]
.LBB62_37:
	s_or_b64 exec, exec, s[4:5]
	v_lshl_add_u32 v1, v51, 3, v71
	v_and_b32_e32 v2, 12, v65
	v_mul_lo_u32 v8, s45, v1
	v_lshlrev_b32_e32 v6, 2, v2
	v_ashrrev_i32_e32 v9, 31, v8
	v_cmp_gt_u32_e64 s[8:9], 32, v1
	v_mov_b32_e32 v0, 0
	v_mad_u32_u24 v10, v1, s10, v6
	v_cmp_gt_i32_e64 s[4:5], s16, v1
	v_lshl_add_u64 v[8:9], v[8:9], 2, s[12:13]
	s_and_saveexec_b64 s[12:13], s[8:9]
	s_cbranch_execz .LBB62_39
; %bb.38:
	v_mov_b32_e32 v1, v0
	v_mov_b32_e32 v2, v0
	;; [unrolled: 1-line block ×3, first 2 shown]
	scratch_store_dwordx3 off, v[0:2], off offset:4
	v_lshl_add_u64 v[12:13], v[8:9], 0, v[6:7]
	scratch_store_dword off, v0, off
	v_mov_b32_e32 v1, s11
	v_cndmask_b32_e64 v13, v1, v13, s[4:5]
	v_mov_b32_e32 v1, 0
	v_cndmask_b32_e64 v12, v1, v12, s[4:5]
	flat_load_dwordx4 v[12:15], v[12:13]
	s_waitcnt vmcnt(0) lgkmcnt(0)
	ds_write_b128 v10, v[12:15]
.LBB62_39:
	s_or_b64 exec, exec, s[12:13]
	v_mul_u32_u24_e32 v2, 0x60, v40
	v_mul_u32_u24_e32 v1, 0xa0, v51
	s_waitcnt lgkmcnt(0)
	s_barrier
	ds_read_b128 v[12:15], v2
	ds_read_b128 v[16:19], v1 offset:3264
	s_waitcnt lgkmcnt(0)
	;;#ASMSTART
	v_dot2_f32_f16 v0, v12, v16, v0
	;;#ASMEND
	s_nop 0
	;;#ASMSTART
	v_dot2_f32_f16 v0, v13, v17, v0
	;;#ASMEND
	s_nop 0
	;;#ASMSTART
	v_dot2_f32_f16 v0, v14, v18, v0
	;;#ASMEND
	s_nop 0
	;;#ASMSTART
	v_dot2_f32_f16 v0, v15, v19, v0
	;;#ASMEND
	ds_read_b128 v[12:15], v2 offset:16
	ds_read_b128 v[16:19], v1 offset:3280
	s_waitcnt lgkmcnt(0)
	;;#ASMSTART
	v_dot2_f32_f16 v0, v12, v16, v0
	;;#ASMEND
	s_nop 0
	;;#ASMSTART
	v_dot2_f32_f16 v0, v13, v17, v0
	;;#ASMEND
	s_nop 0
	;;#ASMSTART
	v_dot2_f32_f16 v0, v14, v18, v0
	;;#ASMEND
	s_nop 0
	;;#ASMSTART
	v_dot2_f32_f16 v0, v15, v19, v0
	;;#ASMEND
	ds_read_b128 v[12:15], v2 offset:32
	;; [unrolled: 18-line block ×4, first 2 shown]
	ds_read_b128 v[16:19], v1 offset:3328
	s_waitcnt lgkmcnt(0)
	;;#ASMSTART
	v_dot2_f32_f16 v0, v12, v16, v0
	;;#ASMEND
	s_nop 0
	;;#ASMSTART
	v_dot2_f32_f16 v0, v13, v17, v0
	;;#ASMEND
	s_nop 0
	;; [unrolled: 4-line block ×3, first 2 shown]
	;;#ASMSTART
	v_dot2_f32_f16 v0, v15, v19, v0
	;;#ASMEND
	s_barrier
	s_and_saveexec_b64 s[12:13], s[6:7]
	s_cbranch_execz .LBB62_41
; %bb.40:
	s_mov_b64 s[6:7], 0x90
	v_mov_b32_e32 v12, 0
	v_lshl_add_u64 v[4:5], v[4:5], 0, s[6:7]
	v_mov_b32_e32 v7, s11
	v_mov_b32_e32 v13, v12
	v_mov_b32_e32 v14, v12
	v_cndmask_b32_e32 v5, v7, v5, vcc
	v_mov_b32_e32 v7, 0
	scratch_store_dword off, v12, off
	scratch_store_dwordx3 off, v[12:14], off offset:4
	v_cndmask_b32_e32 v4, v7, v4, vcc
	flat_load_dwordx4 v[12:15], v[4:5]
	s_waitcnt vmcnt(0) lgkmcnt(0)
	ds_write_b128 v3, v[12:15]
.LBB62_41:
	s_or_b64 exec, exec, s[12:13]
	s_and_saveexec_b64 s[6:7], s[8:9]
	s_cbranch_execz .LBB62_43
; %bb.42:
	v_mov_b32_e32 v12, 0
	v_mov_b32_e32 v7, v12
	v_lshl_add_u64 v[4:5], v[8:9], 0, v[6:7]
	s_mov_b64 s[8:9], 0x50
	v_lshl_add_u64 v[4:5], v[4:5], 0, s[8:9]
	v_mov_b32_e32 v3, s11
	v_mov_b32_e32 v13, v12
	;; [unrolled: 1-line block ×3, first 2 shown]
	v_cndmask_b32_e64 v5, v3, v5, s[4:5]
	v_mov_b32_e32 v3, 0
	scratch_store_dword off, v12, off
	scratch_store_dwordx3 off, v[12:14], off offset:4
	v_cndmask_b32_e64 v4, v3, v4, s[4:5]
	flat_load_dwordx4 v[4:7], v[4:5]
	s_waitcnt vmcnt(0) lgkmcnt(0)
	ds_write_b128 v10, v[4:7]
.LBB62_43:
	s_or_b64 exec, exec, s[6:7]
	s_waitcnt lgkmcnt(0)
	s_barrier
	ds_read_b128 v[4:7], v2
	ds_read_b128 v[8:11], v1 offset:3344
	v_cmp_gt_i32_e32 vcc, s16, v40
	s_waitcnt lgkmcnt(0)
	;;#ASMSTART
	v_dot2_f32_f16 v0, v4, v8, v0
	;;#ASMEND
	s_nop 0
	;;#ASMSTART
	v_dot2_f32_f16 v0, v5, v9, v0
	;;#ASMEND
	s_nop 0
	;;#ASMSTART
	v_dot2_f32_f16 v0, v6, v10, v0
	;;#ASMEND
	s_nop 0
	;;#ASMSTART
	v_dot2_f32_f16 v0, v7, v11, v0
	;;#ASMEND
	ds_read_b128 v[4:7], v2 offset:16
	ds_read_b128 v[8:11], v1 offset:3360
	s_waitcnt lgkmcnt(0)
	;;#ASMSTART
	v_dot2_f32_f16 v0, v4, v8, v0
	;;#ASMEND
	s_nop 0
	;;#ASMSTART
	v_dot2_f32_f16 v0, v5, v9, v0
	;;#ASMEND
	s_nop 0
	;;#ASMSTART
	v_dot2_f32_f16 v0, v6, v10, v0
	;;#ASMEND
	s_nop 0
	;;#ASMSTART
	v_dot2_f32_f16 v0, v7, v11, v0
	;;#ASMEND
	ds_read_b128 v[4:7], v2 offset:32
	ds_read_b128 v[8:11], v1 offset:3376
	;; [unrolled: 18-line block ×4, first 2 shown]
	s_waitcnt lgkmcnt(0)
	;;#ASMSTART
	v_dot2_f32_f16 v0, v2, v6, v0
	;;#ASMEND
	s_nop 0
	;;#ASMSTART
	v_dot2_f32_f16 v0, v3, v7, v0
	;;#ASMEND
	v_mov_b32_e32 v1, v70
	;;#ASMSTART
	v_dot2_f32_f16 v0, v4, v8, v0
	;;#ASMEND
	s_nop 0
	;;#ASMSTART
	v_dot2_f32_f16 v0, v5, v9, v0
	;;#ASMEND
	s_and_saveexec_b64 s[4:5], vcc
	s_cbranch_execz .LBB62_48
; %bb.44:
	s_cmp_eq_u64 s[40:41], 0
	s_cbranch_scc1 .LBB62_46
; %bb.45:
	v_mul_hi_u32 v1, s36, v41
	v_add_u32_e32 v1, v41, v1
	v_lshrrev_b32_e32 v1, s37, v1
	v_mul_lo_u32 v1, v1, s38
	v_sub_u32_e32 v1, v41, v1
	v_mul_lo_u32 v1, v1, s44
	v_add3_u32 v2, v1, v40, s43
	v_ashrrev_i32_e32 v3, 31, v2
	v_lshl_add_u64 v[2:3], v[2:3], 1, s[40:41]
	flat_load_ushort v1, v[2:3]
	s_waitcnt vmcnt(0) lgkmcnt(0)
	v_cvt_f32_f16_e32 v1, v1
	v_mul_f32_e32 v1, v64, v1
	s_branch .LBB62_47
.LBB62_46:
	v_mov_b32_e32 v1, 0
.LBB62_47:
	v_add_f32_e32 v0, v0, v1
	v_add_f32_e32 v1, 0x40051340, v0
	v_max_f32_e32 v2, v70, v70
	v_max_f32_e32 v1, v2, v1
.LBB62_48:
	s_or_b64 exec, exec, s[4:5]
	v_mbcnt_hi_u32_b32 v43, -1, v68
	v_and_b32_e32 v2, 0x60, v43
	v_add_u32_e32 v52, 32, v2
	v_xor_b32_e32 v53, 16, v43
	v_cmp_lt_i32_e32 vcc, v53, v52
	v_xor_b32_e32 v54, 8, v43
	v_xor_b32_e32 v56, 4, v43
	v_cndmask_b32_e32 v2, v43, v53, vcc
	v_lshlrev_b32_e32 v2, 2, v2
	ds_bpermute_b32 v2, v2, v1
	v_max_f32_e32 v1, v1, v1
	v_cmp_lt_i32_e32 vcc, v54, v52
	v_xor_b32_e32 v57, 2, v43
	v_xor_b32_e32 v58, 1, v43
	s_waitcnt lgkmcnt(0)
	v_max_f32_e32 v2, v2, v2
	v_max_f32_e32 v1, v1, v2
	v_cndmask_b32_e32 v2, v43, v54, vcc
	v_lshlrev_b32_e32 v2, 2, v2
	ds_bpermute_b32 v2, v2, v1
	v_cmp_lt_i32_e32 vcc, v56, v52
	s_mov_b32 s4, 0x3fb8aa3b
	v_lshl_add_u32 v61, v51, 4, v67
	s_mul_hi_i32 s5, s43, s2
	s_waitcnt lgkmcnt(0)
	v_max_f32_e32 v2, v2, v2
	v_max_f32_e32 v1, v1, v2
	v_cndmask_b32_e32 v2, v43, v56, vcc
	v_lshlrev_b32_e32 v2, 2, v2
	ds_bpermute_b32 v2, v2, v1
	v_cmp_lt_i32_e32 vcc, v57, v52
	s_waitcnt lgkmcnt(0)
	s_barrier
	v_max_f32_e32 v2, v2, v2
	v_max_f32_e32 v1, v1, v2
	v_cndmask_b32_e32 v2, v43, v57, vcc
	v_lshlrev_b32_e32 v2, 2, v2
	ds_bpermute_b32 v2, v2, v1
	v_cmp_lt_i32_e32 vcc, v58, v52
	s_mov_b64 s[8:9], src_private_base
	v_mul_lo_u32 v44, s2, v61
	s_movk_i32 s8, 0xa0
	s_waitcnt lgkmcnt(0)
	v_max_f32_e32 v2, v2, v2
	v_max_f32_e32 v1, v1, v2
	v_cndmask_b32_e32 v2, v43, v58, vcc
	v_lshlrev_b32_e32 v2, 2, v2
	ds_bpermute_b32 v2, v2, v1
	v_ashrrev_i32_e32 v45, 31, v44
	s_waitcnt lgkmcnt(0)
	v_max_f32_e32 v2, v2, v2
	v_max_f32_e32 v42, v1, v2
	v_sub_f32_e32 v0, v0, v42
	v_mul_f32_e32 v1, 0x3fb8aa3b, v0
	v_fma_f32 v2, v0, s4, -v1
	v_rndne_f32_e32 v3, v1
	v_fmamk_f32 v2, v0, 0x32a5705f, v2
	v_sub_f32_e32 v1, v1, v3
	v_add_f32_e32 v1, v1, v2
	v_exp_f32_e32 v1, v1
	v_cvt_i32_f32_e32 v2, v3
	s_mov_b32 s4, 0xc2ce8ed0
	v_cmp_ngt_f32_e32 vcc, s4, v0
	s_mov_b32 s4, 0x42b17218
	v_ldexp_f32 v1, v1, v2
	v_cndmask_b32_e32 v1, 0, v1, vcc
	v_mov_b32_e32 v2, 0x7f800000
	v_cmp_nlt_f32_e32 vcc, s4, v0
	s_mul_i32 s4, s43, s2
	s_lshl_b64 s[4:5], s[4:5], 2
	v_cndmask_b32_e32 v0, v2, v1, vcc
	v_cmp_gt_u32_e32 vcc, s16, v40
	v_mov_b32_e32 v1, 0x11c0
	v_lshl_add_u32 v60, v51, 6, v1
	v_cndmask_b32_e32 v59, 0, v0, vcc
	v_cvt_f16_f32_e32 v0, v59
	v_lshl_add_u32 v1, v40, 1, v60
	s_add_u32 s6, s26, s4
	v_cmp_gt_u32_e32 vcc, 16, v61
	ds_write_b16 v1, v0
	v_and_b32_e32 v0, 4, v65
	v_mul_u32_u24_e32 v1, 0xa0, v61
	v_lshl_or_b32 v1, v0, 2, v1
	v_add_u32_e32 v64, 0x80, v1
	s_addc_u32 s7, s27, s5
	v_lshlrev_b32_e32 v46, 2, v0
	s_and_saveexec_b64 s[10:11], vcc
	s_cbranch_execz .LBB62_50
; %bb.49:
	v_mov_b32_e32 v0, 0
	v_mov_b32_e32 v1, v0
	;; [unrolled: 1-line block ×3, first 2 shown]
	scratch_store_dwordx3 off, v[0:2], off offset:4
	v_mov_b32_e32 v47, v0
	scratch_store_dword off, v0, off
	v_lshl_add_u64 v[2:3], v[44:45], 2, s[6:7]
	v_lshl_add_u64 v[0:1], v[2:3], 0, v[46:47]
	s_mov_b64 s[4:5], 0x80
	v_lshl_add_u64 v[0:1], v[0:1], 0, s[4:5]
	v_mov_b32_e32 v2, s9
	v_cmp_gt_i32_e64 s[4:5], s16, v61
	s_nop 1
	v_cndmask_b32_e64 v1, v2, v1, s[4:5]
	v_mov_b32_e32 v2, 0
	v_cndmask_b32_e64 v0, v2, v0, s[4:5]
	flat_load_dwordx4 v[0:3], v[0:1]
	s_waitcnt vmcnt(0) lgkmcnt(0)
	ds_write_b128 v64, v[0:3]
.LBB62_50:
	s_or_b64 exec, exec, s[10:11]
	v_lshl_add_u32 v66, v51, 2, v66
	v_and_b32_e32 v1, 28, v65
	v_lshlrev_b32_e32 v48, 2, v1
	v_mul_lo_u32 v50, s2, v66
	v_cmp_gt_u32_e64 s[4:5], 16, v66
	v_mov_b32_e32 v0, 0
	v_mad_u32_u24 v65, v66, s8, v48
	v_ashrrev_i32_e32 v51, 31, v50
	s_and_saveexec_b64 s[10:11], s[4:5]
	s_cbranch_execz .LBB62_52
; %bb.51:
	v_mov_b32_e32 v1, v0
	v_mov_b32_e32 v2, v0
	scratch_store_dwordx3 off, v[0:2], off offset:4
	v_mov_b32_e32 v49, v0
	scratch_store_dword off, v0, off
	v_lshl_add_u64 v[2:3], v[50:51], 2, s[6:7]
	v_lshl_add_u64 v[0:1], v[2:3], 0, v[48:49]
	v_mov_b32_e32 v2, s9
	v_cmp_gt_i32_e64 s[6:7], s16, v66
	s_nop 1
	v_cndmask_b32_e64 v1, v2, v1, s[6:7]
	v_mov_b32_e32 v2, 0
	v_cndmask_b32_e64 v0, v2, v0, s[6:7]
	flat_load_dwordx4 v[0:3], v[0:1]
	s_waitcnt vmcnt(0) lgkmcnt(0)
	ds_write_b128 v65, v[0:3]
.LBB62_52:
	s_or_b64 exec, exec, s[10:11]
	v_sub_f32_e32 v0, v70, v42
	s_mov_b32 s6, 0x3fb8aa3b
	v_mul_f32_e32 v1, 0x3fb8aa3b, v0
	v_fma_f32 v2, v0, s6, -v1
	v_rndne_f32_e32 v3, v1
	v_fmamk_f32 v2, v0, 0x32a5705f, v2
	v_sub_f32_e32 v1, v1, v3
	v_add_f32_e32 v1, v1, v2
	v_exp_f32_e32 v1, v1
	v_cvt_i32_f32_e32 v2, v3
	s_mov_b32 s6, 0xc2ce8ed0
	v_cmp_ngt_f32_e64 s[6:7], s6, v0
	s_waitcnt lgkmcnt(0)
	v_ldexp_f32 v1, v1, v2
	v_cndmask_b32_e64 v49, 0, v1, s[6:7]
	s_mov_b32 s6, 0x42b17218
	v_cmp_nlt_f32_e64 s[6:7], s6, v0
	s_barrier
	ds_read2_b64 v[28:31], v55 offset1:20
	ds_read_b128 v[8:11], v60
	ds_read_b128 v[0:3], v60 offset:16
	ds_read2_b64 v[36:39], v55 offset0:40 offset1:60
	ds_read2_b64 v[32:35], v55 offset0:80 offset1:100
	;; [unrolled: 1-line block ×5, first 2 shown]
	v_add_u32_e32 v4, 0x400, v55
	ds_read2_b64 v[16:19], v4 offset0:112 offset1:132
	v_add_u32_e32 v4, 0x800, v55
	ds_read2_b64 v[4:7], v4 offset0:24 offset1:44
	s_or_b32 s8, s43, 16
	s_mul_hi_i32 s11, s8, s2
	s_mul_i32 s10, s8, s2
	s_lshl_b64 s[10:11], s[10:11], 2
	s_add_u32 s10, s26, s10
	v_mov_b32_e32 v67, 0x7f800000
	s_addc_u32 s11, s27, s11
	s_add_i32 s16, s16, -16
	s_waitcnt lgkmcnt(0)
	s_barrier
	s_and_saveexec_b64 s[12:13], vcc
	s_cbranch_execz .LBB62_54
; %bb.53:
	v_mov_b32_e32 v70, 0
	v_lshl_add_u64 v[44:45], v[44:45], 2, s[10:11]
	v_mov_b32_e32 v47, v70
	v_lshl_add_u64 v[44:45], v[44:45], 0, v[46:47]
	s_mov_b64 s[18:19], 0x80
	v_lshl_add_u64 v[44:45], v[44:45], 0, s[18:19]
	v_mov_b32_e32 v46, s9
	v_cmp_gt_i32_e32 vcc, s16, v61
	v_mov_b32_e32 v71, v70
	v_mov_b32_e32 v72, v70
	v_cndmask_b32_e32 v45, v46, v45, vcc
	v_mov_b32_e32 v46, 0
	scratch_store_dword off, v70, off
	scratch_store_dwordx3 off, v[70:72], off offset:4
	v_cndmask_b32_e32 v44, v46, v44, vcc
	flat_load_dwordx4 v[44:47], v[44:45]
	s_waitcnt vmcnt(0) lgkmcnt(0)
	ds_write_b128 v64, v[44:47]
.LBB62_54:
	s_or_b64 exec, exec, s[12:13]
	v_cndmask_b32_e64 v44, v67, v49, s[6:7]
	s_and_saveexec_b64 s[6:7], s[4:5]
	s_cbranch_execz .LBB62_56
; %bb.55:
	v_mov_b32_e32 v70, 0
	v_lshl_add_u64 v[46:47], v[50:51], 2, s[10:11]
	v_mov_b32_e32 v49, v70
	v_lshl_add_u64 v[46:47], v[46:47], 0, v[48:49]
	v_mov_b32_e32 v45, s9
	v_cmp_gt_i32_e32 vcc, s16, v66
	v_mov_b32_e32 v71, v70
	v_mov_b32_e32 v72, v70
	v_cndmask_b32_e32 v47, v45, v47, vcc
	v_mov_b32_e32 v45, 0
	scratch_store_dword off, v70, off
	scratch_store_dwordx3 off, v[70:72], off offset:4
	v_cndmask_b32_e32 v46, v45, v46, vcc
	flat_load_dwordx4 v[46:49], v[46:47]
	s_waitcnt vmcnt(0) lgkmcnt(0)
	ds_write_b128 v65, v[46:49]
.LBB62_56:
	s_or_b64 exec, exec, s[6:7]
	v_cvt_f16_f32_e32 v45, v44
	v_pk_mul_f16 v28, v28, v8 op_sel_hi:[1,0]
	v_pk_mul_f16 v29, v29, v8 op_sel_hi:[1,0]
	s_waitcnt lgkmcnt(0)
	v_pk_fma_f16 v28, v63, v45, v28 op_sel_hi:[1,0,1]
	v_pk_fma_f16 v29, v62, v45, v29 op_sel_hi:[1,0,1]
	v_pk_fma_f16 v28, v30, v8, v28 op_sel:[0,1,0]
	v_pk_fma_f16 v8, v31, v8, v29 op_sel:[0,1,0]
	v_pk_fma_f16 v28, v36, v9, v28 op_sel_hi:[1,0,1]
	v_pk_fma_f16 v8, v37, v9, v8 op_sel_hi:[1,0,1]
	v_pk_fma_f16 v28, v38, v9, v28 op_sel:[0,1,0]
	v_pk_fma_f16 v8, v39, v9, v8 op_sel:[0,1,0]
	;; [unrolled: 4-line block ×7, first 2 shown]
	s_barrier
	ds_read2_b64 v[8:11], v55 offset1:20
	ds_read_b128 v[12:15], v60 offset:32
	v_pk_fma_f16 v1, v4, v3, v1 op_sel_hi:[1,0,1]
	v_pk_fma_f16 v0, v5, v3, v0 op_sel_hi:[1,0,1]
	v_pk_fma_f16 v16, v6, v3, v1 op_sel:[0,1,0]
	v_pk_fma_f16 v17, v7, v3, v0 op_sel:[0,1,0]
	ds_read_b128 v[0:3], v60 offset:48
	ds_read2_b64 v[4:7], v55 offset0:40 offset1:60
	s_waitcnt lgkmcnt(2)
	v_pk_fma_f16 v8, v8, v12, v16 op_sel_hi:[1,0,1]
	v_pk_fma_f16 v9, v9, v12, v17 op_sel_hi:[1,0,1]
	v_pk_fma_f16 v8, v10, v12, v8 op_sel:[0,1,0]
	v_pk_fma_f16 v12, v11, v12, v9 op_sel:[0,1,0]
	s_waitcnt lgkmcnt(0)
	v_pk_fma_f16 v4, v4, v13, v8 op_sel_hi:[1,0,1]
	ds_read2_b64 v[8:11], v55 offset0:80 offset1:100
	v_pk_fma_f16 v5, v5, v13, v12 op_sel_hi:[1,0,1]
	v_pk_fma_f16 v12, v6, v13, v4 op_sel:[0,1,0]
	v_pk_fma_f16 v13, v7, v13, v5 op_sel:[0,1,0]
	ds_read2_b64 v[4:7], v55 offset0:120 offset1:140
	s_waitcnt lgkmcnt(1)
	v_pk_fma_f16 v8, v8, v14, v12 op_sel_hi:[1,0,1]
	v_pk_fma_f16 v9, v9, v14, v13 op_sel_hi:[1,0,1]
	v_pk_fma_f16 v8, v10, v14, v8 op_sel:[0,1,0]
	v_pk_fma_f16 v12, v11, v14, v9 op_sel:[0,1,0]
	s_waitcnt lgkmcnt(0)
	v_pk_fma_f16 v4, v4, v15, v8 op_sel_hi:[1,0,1]
	ds_read2_b64 v[8:11], v55 offset0:160 offset1:180
	v_pk_fma_f16 v5, v5, v15, v12 op_sel_hi:[1,0,1]
	v_pk_fma_f16 v12, v6, v15, v4 op_sel:[0,1,0]
	v_pk_fma_f16 v13, v7, v15, v5 op_sel:[0,1,0]
	ds_read2_b64 v[4:7], v55 offset0:200 offset1:220
	s_waitcnt lgkmcnt(1)
	v_pk_fma_f16 v8, v8, v0, v12 op_sel_hi:[1,0,1]
	v_pk_fma_f16 v9, v9, v0, v13 op_sel_hi:[1,0,1]
	v_pk_fma_f16 v8, v10, v0, v8 op_sel:[0,1,0]
	v_pk_fma_f16 v0, v11, v0, v9 op_sel:[0,1,0]
	s_waitcnt lgkmcnt(0)
	v_pk_fma_f16 v4, v4, v1, v8 op_sel_hi:[1,0,1]
	v_pk_fma_f16 v0, v5, v1, v0 op_sel_hi:[1,0,1]
	v_add_u32_e32 v5, 0x400, v55
	ds_read2_b64 v[8:11], v5 offset0:112 offset1:132
	v_pk_fma_f16 v12, v6, v1, v4 op_sel:[0,1,0]
	v_pk_fma_f16 v0, v7, v1, v0 op_sel:[0,1,0]
	v_add_u32_e32 v1, 0x800, v55
	ds_read2_b64 v[4:7], v1 offset0:24 offset1:44
	s_waitcnt lgkmcnt(1)
	v_pk_fma_f16 v1, v8, v2, v12 op_sel_hi:[1,0,1]
	v_pk_fma_f16 v0, v9, v2, v0 op_sel_hi:[1,0,1]
	v_pk_fma_f16 v1, v10, v2, v1 op_sel:[0,1,0]
	v_pk_fma_f16 v0, v11, v2, v0 op_sel:[0,1,0]
	v_fmac_f32_e32 v59, v69, v44
	s_waitcnt lgkmcnt(0)
	v_pk_fma_f16 v1, v4, v3, v1 op_sel_hi:[1,0,1]
	v_pk_fma_f16 v0, v5, v3, v0 op_sel_hi:[1,0,1]
	v_pk_fma_f16 v63, v6, v3, v1 op_sel:[0,1,0]
	v_pk_fma_f16 v62, v7, v3, v0 op_sel:[0,1,0]
	v_mov_b32_e32 v69, v59
	s_barrier
.LBB62_57:
	v_cmp_lt_i32_e32 vcc, v53, v52
	s_cmp_eq_u64 s[24:25], 0
	s_cselect_b64 s[4:5], -1, 0
	v_cndmask_b32_e32 v0, v43, v53, vcc
	v_lshlrev_b32_e32 v0, 2, v0
	ds_bpermute_b32 v0, v0, v69
	v_cmp_lt_i32_e32 vcc, v54, v52
	s_cmp_lg_u32 s3, 0
	s_cselect_b64 s[6:7], -1, 0
	v_cndmask_b32_e32 v1, v43, v54, vcc
	v_lshlrev_b32_e32 v1, 2, v1
	s_waitcnt lgkmcnt(0)
	v_add_f32_e32 v0, v69, v0
	ds_bpermute_b32 v1, v1, v0
	v_cmp_lt_i32_e32 vcc, v56, v52
	s_or_b64 s[4:5], s[6:7], s[4:5]
	s_waitcnt lgkmcnt(0)
	v_add_f32_e32 v0, v0, v1
	v_cndmask_b32_e32 v2, v43, v56, vcc
	v_lshlrev_b32_e32 v2, 2, v2
	ds_bpermute_b32 v1, v2, v0
	v_cmp_lt_i32_e32 vcc, v57, v52
	s_waitcnt lgkmcnt(0)
	v_add_f32_e32 v0, v0, v1
	v_cndmask_b32_e32 v2, v43, v57, vcc
	v_lshlrev_b32_e32 v2, 2, v2
	ds_bpermute_b32 v1, v2, v0
	v_cmp_lt_i32_e32 vcc, v58, v52
	s_waitcnt lgkmcnt(0)
	v_add_f32_e32 v0, v0, v1
	v_cndmask_b32_e32 v2, v43, v58, vcc
	v_lshlrev_b32_e32 v2, 2, v2
	ds_bpermute_b32 v1, v2, v0
	s_and_b64 vcc, exec, s[4:5]
	s_waitcnt lgkmcnt(0)
	v_add_f32_e32 v43, v0, v1
	s_cbranch_vccnz .LBB62_60
; %bb.58:
	s_lshl_b64 s[4:5], s[34:35], 2
	s_add_u32 s4, s24, s4
	s_addc_u32 s5, s25, s5
	v_mov_b32_e32 v0, 0
	global_load_dword v1, v0, s[4:5]
	v_max_f32_e32 v0, v42, v42
	s_mov_b32 s2, 0x3fb8aa3b
	s_mov_b32 s4, 0xc2ce8ed0
	s_waitcnt vmcnt(0)
	v_max_f32_e32 v2, v1, v1
	v_max_f32_e32 v0, v0, v2
	v_sub_f32_e32 v2, v42, v0
	v_sub_f32_e32 v1, v1, v0
	v_mul_f32_e32 v3, 0x3fb8aa3b, v2
	v_mul_f32_e32 v4, 0x3fb8aa3b, v1
	v_fma_f32 v5, v2, s2, -v3
	v_rndne_f32_e32 v6, v3
	v_fma_f32 v7, v1, s2, -v4
	v_rndne_f32_e32 v8, v4
	v_fmac_f32_e32 v5, 0x32a5705f, v2
	v_sub_f32_e32 v3, v3, v6
	v_fmac_f32_e32 v7, 0x32a5705f, v1
	v_sub_f32_e32 v4, v4, v8
	v_add_f32_e32 v3, v3, v5
	v_cvt_i32_f32_e32 v6, v6
	v_add_f32_e32 v4, v4, v7
	v_exp_f32_e32 v3, v3
	v_cvt_i32_f32_e32 v8, v8
	v_exp_f32_e32 v4, v4
	v_cmp_ngt_f32_e32 vcc, s4, v2
	v_ldexp_f32 v3, v3, v6
	s_mov_b32 s2, 0x42b17218
	v_ldexp_f32 v4, v4, v8
	v_cndmask_b32_e32 v3, 0, v3, vcc
	v_cmp_ngt_f32_e32 vcc, s4, v1
	v_mov_b32_e32 v5, 0x7f800000
	s_nop 0
	v_cndmask_b32_e32 v4, 0, v4, vcc
	v_cmp_nlt_f32_e32 vcc, s2, v2
	s_nop 1
	v_cndmask_b32_e32 v2, v5, v3, vcc
	v_cvt_f16_f32_e32 v3, v2
	v_cmp_nlt_f32_e32 vcc, s2, v1
	v_pk_mul_f16 v63, v3, v63 op_sel_hi:[0,1]
	s_nop 0
	v_cndmask_b32_e32 v1, v5, v4, vcc
	v_fmac_f32_e32 v1, v43, v2
	v_pk_mul_f16 v62, v3, v62 op_sel_hi:[0,1]
	v_mov_b64_e32 v[42:43], v[0:1]
	v_cmp_gt_i32_e32 vcc, s38, v41
	s_and_saveexec_b64 s[4:5], vcc
	s_cbranch_execnz .LBB62_61
.LBB62_59:
	s_endpgm
.LBB62_60:
	v_mov_b32_e32 v1, v43
	v_cmp_gt_i32_e32 vcc, s38, v41
	s_and_saveexec_b64 s[4:5], vcc
	s_cbranch_execz .LBB62_59
.LBB62_61:
	s_load_dword s2, s[0:1], 0xd4
	s_mul_i32 s33, s33, s38
	v_add_u32_e32 v0, s33, v41
	v_mul_lo_u32 v0, v0, s39
	v_add_u32_e32 v0, s34, v0
	s_waitcnt lgkmcnt(0)
	s_cmp_lg_u32 s2, 1
	v_mul_lo_u32 v0, s2, v0
	s_cselect_b64 s[0:1], -1, 0
	v_add_u32_e32 v0, s3, v0
	s_and_saveexec_b64 s[2:3], s[14:15]
	s_cbranch_execz .LBB62_63
; %bb.62:
	v_div_scale_f32 v4, s[4:5], v1, v1, 1.0
	v_rcp_f32_e32 v5, v4
	v_cvt_f32_f16_sdwa v9, v63 dst_sel:DWORD dst_unused:UNUSED_PAD src0_sel:WORD_1
	v_cvt_f32_f16_sdwa v11, v62 dst_sel:DWORD dst_unused:UNUSED_PAD src0_sel:WORD_1
	v_cvt_f32_f16_e32 v10, v62
	v_fma_f32 v6, -v4, v5, 1.0
	v_fmac_f32_e32 v5, v6, v5
	v_div_scale_f32 v6, vcc, 1.0, v1, 1.0
	v_mul_f32_e32 v7, v6, v5
	v_fma_f32 v8, -v4, v7, v6
	v_fmac_f32_e32 v7, v8, v5
	v_fma_f32 v4, -v4, v7, v6
	v_div_fmas_f32 v4, v4, v5, v7
	v_cvt_f32_f16_e32 v8, v63
	v_div_fixup_f32 v1, v4, v1, 1.0
	s_movk_i32 s4, 0x50
	v_cndmask_b32_e64 v4, v1, 1.0, s[0:1]
	v_mul_lo_u32 v1, v0, s4
	v_mov_b32_e32 v2, s28
	v_mov_b32_e32 v3, s29
	v_lshl_add_u32 v6, v40, 2, v1
	v_mov_b32_e32 v7, 0
	v_lshl_add_u64 v[6:7], v[6:7], 2, v[2:3]
	v_pk_mul_f32 v[2:3], v[4:5], v[8:9] op_sel_hi:[0,1]
	v_pk_mul_f32 v[4:5], v[4:5], v[10:11] op_sel_hi:[0,1]
	global_store_dwordx4 v[6:7], v[2:5], off
.LBB62_63:
	s_or_b64 exec, exec, s[2:3]
	v_cmp_eq_u32_e32 vcc, 0, v40
	s_and_b64 s[0:1], vcc, s[0:1]
	s_and_b64 exec, exec, s[0:1]
	s_cbranch_execz .LBB62_59
; %bb.64:
	v_mov_b32_e32 v2, s30
	v_mov_b32_e32 v3, s31
	v_ashrrev_i32_e32 v1, 31, v0
	v_lshl_add_u64 v[0:1], v[0:1], 3, v[2:3]
	global_store_dwordx2 v[0:1], v[42:43], off
	s_endpgm
	.section	.rodata,"a",@progbits
	.p2align	6, 0x0
	.amdhsa_kernel _ZL15flash_attn_tileILi80ELi80ELi8ELi1ELb0EEvPKcS1_S1_S1_S1_PKiPfP15HIP_vector_typeIfLj2EEffffjfiS5_IjLj3EEiiiiiiiiiiiliiliiiiil
		.amdhsa_group_segment_fixed_size 5056
		.amdhsa_private_segment_fixed_size 32
		.amdhsa_kernarg_size 464
		.amdhsa_user_sgpr_count 2
		.amdhsa_user_sgpr_dispatch_ptr 0
		.amdhsa_user_sgpr_queue_ptr 0
		.amdhsa_user_sgpr_kernarg_segment_ptr 1
		.amdhsa_user_sgpr_dispatch_id 0
		.amdhsa_user_sgpr_kernarg_preload_length 0
		.amdhsa_user_sgpr_kernarg_preload_offset 0
		.amdhsa_user_sgpr_private_segment_size 0
		.amdhsa_uses_dynamic_stack 0
		.amdhsa_enable_private_segment 1
		.amdhsa_system_sgpr_workgroup_id_x 1
		.amdhsa_system_sgpr_workgroup_id_y 1
		.amdhsa_system_sgpr_workgroup_id_z 1
		.amdhsa_system_sgpr_workgroup_info 0
		.amdhsa_system_vgpr_workitem_id 1
		.amdhsa_next_free_vgpr 90
		.amdhsa_next_free_sgpr 52
		.amdhsa_accum_offset 92
		.amdhsa_reserve_vcc 1
		.amdhsa_float_round_mode_32 0
		.amdhsa_float_round_mode_16_64 0
		.amdhsa_float_denorm_mode_32 3
		.amdhsa_float_denorm_mode_16_64 3
		.amdhsa_dx10_clamp 1
		.amdhsa_ieee_mode 1
		.amdhsa_fp16_overflow 0
		.amdhsa_tg_split 0
		.amdhsa_exception_fp_ieee_invalid_op 0
		.amdhsa_exception_fp_denorm_src 0
		.amdhsa_exception_fp_ieee_div_zero 0
		.amdhsa_exception_fp_ieee_overflow 0
		.amdhsa_exception_fp_ieee_underflow 0
		.amdhsa_exception_fp_ieee_inexact 0
		.amdhsa_exception_int_div_zero 0
	.end_amdhsa_kernel
	.section	.text._ZL15flash_attn_tileILi80ELi80ELi8ELi1ELb0EEvPKcS1_S1_S1_S1_PKiPfP15HIP_vector_typeIfLj2EEffffjfiS5_IjLj3EEiiiiiiiiiiiliiliiiiil,"axG",@progbits,_ZL15flash_attn_tileILi80ELi80ELi8ELi1ELb0EEvPKcS1_S1_S1_S1_PKiPfP15HIP_vector_typeIfLj2EEffffjfiS5_IjLj3EEiiiiiiiiiiiliiliiiiil,comdat
.Lfunc_end62:
	.size	_ZL15flash_attn_tileILi80ELi80ELi8ELi1ELb0EEvPKcS1_S1_S1_S1_PKiPfP15HIP_vector_typeIfLj2EEffffjfiS5_IjLj3EEiiiiiiiiiiiliiliiiiil, .Lfunc_end62-_ZL15flash_attn_tileILi80ELi80ELi8ELi1ELb0EEvPKcS1_S1_S1_S1_PKiPfP15HIP_vector_typeIfLj2EEffffjfiS5_IjLj3EEiiiiiiiiiiiliiliiiiil
                                        ; -- End function
	.section	.AMDGPU.csdata,"",@progbits
; Kernel info:
; codeLenInByte = 8960
; NumSgprs: 58
; NumVgprs: 90
; NumAgprs: 0
; TotalNumVgprs: 90
; ScratchSize: 32
; MemoryBound: 0
; FloatMode: 240
; IeeeMode: 1
; LDSByteSize: 5056 bytes/workgroup (compile time only)
; SGPRBlocks: 7
; VGPRBlocks: 11
; NumSGPRsForWavesPerEU: 58
; NumVGPRsForWavesPerEU: 90
; AccumOffset: 92
; Occupancy: 5
; WaveLimiterHint : 1
; COMPUTE_PGM_RSRC2:SCRATCH_EN: 1
; COMPUTE_PGM_RSRC2:USER_SGPR: 2
; COMPUTE_PGM_RSRC2:TRAP_HANDLER: 0
; COMPUTE_PGM_RSRC2:TGID_X_EN: 1
; COMPUTE_PGM_RSRC2:TGID_Y_EN: 1
; COMPUTE_PGM_RSRC2:TGID_Z_EN: 1
; COMPUTE_PGM_RSRC2:TIDIG_COMP_CNT: 1
; COMPUTE_PGM_RSRC3_GFX90A:ACCUM_OFFSET: 22
; COMPUTE_PGM_RSRC3_GFX90A:TG_SPLIT: 0
	.section	.text._ZL33flash_attn_stream_k_fixup_uniformILi80ELi8ELi1EEvPfPK15HIP_vector_typeIfLj2EEiiiiiiS1_IjLj3EES5_S5_,"axG",@progbits,_ZL33flash_attn_stream_k_fixup_uniformILi80ELi8ELi1EEvPfPK15HIP_vector_typeIfLj2EEiiiiiiS1_IjLj3EES5_S5_,comdat
	.globl	_ZL33flash_attn_stream_k_fixup_uniformILi80ELi8ELi1EEvPfPK15HIP_vector_typeIfLj2EEiiiiiiS1_IjLj3EES5_S5_ ; -- Begin function _ZL33flash_attn_stream_k_fixup_uniformILi80ELi8ELi1EEvPfPK15HIP_vector_typeIfLj2EEiiiiiiS1_IjLj3EES5_S5_
	.p2align	8
	.type	_ZL33flash_attn_stream_k_fixup_uniformILi80ELi8ELi1EEvPfPK15HIP_vector_typeIfLj2EEiiiiiiS1_IjLj3EES5_S5_,@function
_ZL33flash_attn_stream_k_fixup_uniformILi80ELi8ELi1EEvPfPK15HIP_vector_typeIfLj2EEiiiiiiS1_IjLj3EES5_S5_: ; @_ZL33flash_attn_stream_k_fixup_uniformILi80ELi8ELi1EEvPfPK15HIP_vector_typeIfLj2EEiiiiiiS1_IjLj3EES5_S5_
; %bb.0:
	s_load_dwordx8 s[8:15], s[0:1], 0x1c
	s_load_dwordx2 s[6:7], s[0:1], 0x10
	s_load_dwordx4 s[16:19], s[0:1], 0x3c
	s_waitcnt lgkmcnt(0)
	s_mul_hi_u32 s5, s11, s2
	s_add_i32 s5, s2, s5
	s_lshr_b32 s5, s5, s12
	s_mul_i32 s11, s5, s13
	s_sub_i32 s12, s2, s11
	s_mul_hi_u32 s11, s12, s14
	s_add_i32 s11, s12, s11
	s_lshr_b32 s11, s11, s15
	s_mul_i32 s13, s11, s16
	s_sub_i32 s12, s12, s13
	s_mul_hi_u32 s13, s12, s17
	s_add_i32 s13, s12, s13
	s_lshr_b32 s16, s13, s18
	s_mul_i32 s13, s16, s19
	s_sub_i32 s17, s12, s13
	s_lshl_b32 s12, s17, 3
	s_add_i32 s12, s12, s3
	s_cmp_lt_i32 s12, s6
	s_cselect_b64 s[12:13], -1, 0
	s_add_i32 s16, s16, s4
	s_cmp_lt_i32 s16, s9
	s_cselect_b64 s[14:15], -1, 0
	s_and_b64 s[12:13], s[12:13], s[14:15]
	s_andn2_b64 vcc, exec, s[12:13]
	s_cbranch_vccnz .LBB63_6
; %bb.1:
	s_load_dwordx4 s[12:15], s[0:1], 0x0
	s_mul_i32 s0, s5, s6
	s_mul_i32 s11, s11, s9
	s_add_i32 s0, s0, s3
	s_mul_i32 s0, s0, s7
	s_add_i32 s5, s16, s11
	;; [unrolled: 2-line block ×3, first 2 shown]
	s_mulk_i32 s1, 0x280
	s_mulk_i32 s0, 0x50
	s_add_i32 s0, s0, s1
	v_add_u32_e32 v4, s0, v0
	s_waitcnt lgkmcnt(0)
	v_mov_b32_e32 v2, s12
	v_mov_b32_e32 v3, s13
	v_ashrrev_i32_e32 v5, 31, v4
	v_lshl_add_u64 v[2:3], v[4:5], 2, v[2:3]
	global_load_dword v7, v[2:3], off
	s_mul_i32 s6, s2, s10
	s_add_i32 s7, s6, s10
	s_add_i32 s3, s3, s4
	s_lshl_b32 s0, s7, 3
	s_add_i32 s0, s3, s0
	s_add_i32 s0, s0, -8
	s_ashr_i32 s1, s0, 31
	s_lshl_b64 s[0:1], s[0:1], 3
	s_add_u32 s0, s14, s0
	s_addc_u32 s1, s15, s1
	s_load_dword s9, s[0:1], 0x4
	s_add_i32 s4, s7, -2
	s_cmp_lt_i32 s4, s6
	s_cbranch_scc1 .LBB63_4
; %bb.2:
	s_lshl_b32 s4, s8, 5
	s_ashr_i32 s5, s4, 31
	s_lshl_b64 s[4:5], s[4:5], 2
	s_add_u32 s4, s14, s4
	s_addc_u32 s5, s15, s5
	s_load_dword s0, s[0:1], 0x0
	s_add_i32 s2, s2, 1
	s_mul_i32 s10, s10, s2
	s_mul_i32 s1, s3, 0x50
	s_lshl_b32 s2, s10, 3
	s_mulk_i32 s10, 0x280
	s_add_i32 s2, s3, s2
	s_lshl_b32 s3, s8, 3
	s_add_i32 s1, s1, s10
	s_add_i32 s2, s2, s3
	v_add_u32_e32 v0, s1, v0
	s_add_i32 s7, s7, -1
	s_add_i32 s2, s2, -16
	v_add_u32_e32 v0, 0xfffffb00, v0
	s_waitcnt lgkmcnt(0)
	v_mov_b32_e32 v6, s9
	v_mov_b32_e32 v5, s0
	s_mov_b32 s8, 0x3fb8aa3b
	s_mov_b32 s9, 0xc2ce8ed0
	;; [unrolled: 1-line block ×3, first 2 shown]
	v_mov_b32_e32 v4, 0x7f800000
	s_mov_b32 s11, 0xc1a00000
.LBB63_3:                               ; =>This Inner Loop Header: Depth=1
	v_ashrrev_i32_e32 v1, 31, v0
	v_lshl_add_u64 v[8:9], v[0:1], 2, s[4:5]
	global_load_dword v1, v[8:9], off
	s_ashr_i32 s3, s2, 31
	s_lshl_b64 s[0:1], s[2:3], 3
	s_add_u32 s0, s14, s0
	s_addc_u32 s1, s15, s1
	s_load_dwordx2 s[12:13], s[0:1], 0x0
	s_waitcnt vmcnt(1)
	v_mov_b32_e32 v8, v7
	v_max_f32_e32 v7, v5, v5
	v_mov_b32_e32 v9, v6
	s_add_i32 s7, s7, -1
	s_waitcnt lgkmcnt(0)
	v_max_f32_e64 v6, s12, s12
	v_max_f32_e32 v6, v7, v6
	v_sub_f32_e32 v10, s12, v6
	v_sub_f32_e32 v7, v5, v6
	v_mul_f32_e32 v11, 0x3fb8aa3b, v10
	v_mov_b32_e32 v5, v6
	v_mul_f32_e32 v6, 0x3fb8aa3b, v7
	v_fma_f32 v14, v10, s8, -v11
	v_rndne_f32_e32 v15, v11
	v_fma_f32 v12, v7, s8, -v6
	v_rndne_f32_e32 v13, v6
	v_fmac_f32_e32 v14, 0x32a5705f, v10
	v_sub_f32_e32 v11, v11, v15
	v_fmac_f32_e32 v12, 0x32a5705f, v7
	v_sub_f32_e32 v6, v6, v13
	v_add_f32_e32 v11, v11, v14
	v_cvt_i32_f32_e32 v15, v15
	v_add_f32_e32 v6, v6, v12
	v_exp_f32_e32 v11, v11
	v_cvt_i32_f32_e32 v13, v13
	v_exp_f32_e32 v6, v6
	v_cmp_ngt_f32_e32 vcc, s9, v10
	v_ldexp_f32 v11, v11, v15
	v_cmp_ngt_f32_e64 s[0:1], s9, v7
	v_ldexp_f32 v6, v6, v13
	v_cndmask_b32_e32 v11, 0, v11, vcc
	v_cmp_nlt_f32_e32 vcc, s10, v10
	v_cndmask_b32_e64 v6, 0, v6, s[0:1]
	v_cmp_nlt_f32_e64 s[0:1], s10, v7
	v_cndmask_b32_e32 v11, v4, v11, vcc
	v_cmp_le_f32_e32 vcc, s11, v10
	v_cndmask_b32_e64 v6, v4, v6, s[0:1]
	v_cmp_le_f32_e64 s[0:1], s11, v7
	v_cndmask_b32_e32 v7, 0, v11, vcc
	s_add_i32 s2, s2, -8
	v_cndmask_b32_e64 v10, 0, v6, s[0:1]
	v_mul_f32_e32 v6, s13, v7
	v_add_u32_e32 v0, 0xfffffd80, v0
	s_cmp_le_i32 s7, s6
	v_fmac_f32_e32 v6, v9, v10
	s_waitcnt vmcnt(0)
	v_mul_f32_e32 v7, v1, v7
	v_fmac_f32_e32 v7, v8, v10
	s_cbranch_scc0 .LBB63_3
	s_branch .LBB63_5
.LBB63_4:
	s_waitcnt lgkmcnt(0)
	v_mov_b32_e32 v6, s9
.LBB63_5:
	s_waitcnt vmcnt(0)
	v_div_scale_f32 v0, s[0:1], v6, v6, v7
	v_rcp_f32_e32 v1, v0
	v_div_scale_f32 v4, vcc, v7, v6, v7
	v_fma_f32 v5, -v0, v1, 1.0
	v_fmac_f32_e32 v1, v5, v1
	v_mul_f32_e32 v5, v4, v1
	v_fma_f32 v8, -v0, v5, v4
	v_fmac_f32_e32 v5, v8, v1
	v_fma_f32 v0, -v0, v5, v4
	v_div_fmas_f32 v0, v0, v1, v5
	v_div_fixup_f32 v0, v0, v6, v7
	global_store_dword v[2:3], v0, off
.LBB63_6:
	s_endpgm
	.section	.rodata,"a",@progbits
	.p2align	6, 0x0
	.amdhsa_kernel _ZL33flash_attn_stream_k_fixup_uniformILi80ELi8ELi1EEvPfPK15HIP_vector_typeIfLj2EEiiiiiiS1_IjLj3EES5_S5_
		.amdhsa_group_segment_fixed_size 0
		.amdhsa_private_segment_fixed_size 0
		.amdhsa_kernarg_size 76
		.amdhsa_user_sgpr_count 2
		.amdhsa_user_sgpr_dispatch_ptr 0
		.amdhsa_user_sgpr_queue_ptr 0
		.amdhsa_user_sgpr_kernarg_segment_ptr 1
		.amdhsa_user_sgpr_dispatch_id 0
		.amdhsa_user_sgpr_kernarg_preload_length 0
		.amdhsa_user_sgpr_kernarg_preload_offset 0
		.amdhsa_user_sgpr_private_segment_size 0
		.amdhsa_uses_dynamic_stack 0
		.amdhsa_enable_private_segment 0
		.amdhsa_system_sgpr_workgroup_id_x 1
		.amdhsa_system_sgpr_workgroup_id_y 1
		.amdhsa_system_sgpr_workgroup_id_z 1
		.amdhsa_system_sgpr_workgroup_info 0
		.amdhsa_system_vgpr_workitem_id 0
		.amdhsa_next_free_vgpr 16
		.amdhsa_next_free_sgpr 20
		.amdhsa_accum_offset 16
		.amdhsa_reserve_vcc 1
		.amdhsa_float_round_mode_32 0
		.amdhsa_float_round_mode_16_64 0
		.amdhsa_float_denorm_mode_32 3
		.amdhsa_float_denorm_mode_16_64 3
		.amdhsa_dx10_clamp 1
		.amdhsa_ieee_mode 1
		.amdhsa_fp16_overflow 0
		.amdhsa_tg_split 0
		.amdhsa_exception_fp_ieee_invalid_op 0
		.amdhsa_exception_fp_denorm_src 0
		.amdhsa_exception_fp_ieee_div_zero 0
		.amdhsa_exception_fp_ieee_overflow 0
		.amdhsa_exception_fp_ieee_underflow 0
		.amdhsa_exception_fp_ieee_inexact 0
		.amdhsa_exception_int_div_zero 0
	.end_amdhsa_kernel
	.section	.text._ZL33flash_attn_stream_k_fixup_uniformILi80ELi8ELi1EEvPfPK15HIP_vector_typeIfLj2EEiiiiiiS1_IjLj3EES5_S5_,"axG",@progbits,_ZL33flash_attn_stream_k_fixup_uniformILi80ELi8ELi1EEvPfPK15HIP_vector_typeIfLj2EEiiiiiiS1_IjLj3EES5_S5_,comdat
.Lfunc_end63:
	.size	_ZL33flash_attn_stream_k_fixup_uniformILi80ELi8ELi1EEvPfPK15HIP_vector_typeIfLj2EEiiiiiiS1_IjLj3EES5_S5_, .Lfunc_end63-_ZL33flash_attn_stream_k_fixup_uniformILi80ELi8ELi1EEvPfPK15HIP_vector_typeIfLj2EEiiiiiiS1_IjLj3EES5_S5_
                                        ; -- End function
	.section	.AMDGPU.csdata,"",@progbits
; Kernel info:
; codeLenInByte = 820
; NumSgprs: 26
; NumVgprs: 16
; NumAgprs: 0
; TotalNumVgprs: 16
; ScratchSize: 0
; MemoryBound: 0
; FloatMode: 240
; IeeeMode: 1
; LDSByteSize: 0 bytes/workgroup (compile time only)
; SGPRBlocks: 3
; VGPRBlocks: 1
; NumSGPRsForWavesPerEU: 26
; NumVGPRsForWavesPerEU: 16
; AccumOffset: 16
; Occupancy: 8
; WaveLimiterHint : 0
; COMPUTE_PGM_RSRC2:SCRATCH_EN: 0
; COMPUTE_PGM_RSRC2:USER_SGPR: 2
; COMPUTE_PGM_RSRC2:TRAP_HANDLER: 0
; COMPUTE_PGM_RSRC2:TGID_X_EN: 1
; COMPUTE_PGM_RSRC2:TGID_Y_EN: 1
; COMPUTE_PGM_RSRC2:TGID_Z_EN: 1
; COMPUTE_PGM_RSRC2:TIDIG_COMP_CNT: 0
; COMPUTE_PGM_RSRC3_GFX90A:ACCUM_OFFSET: 3
; COMPUTE_PGM_RSRC3_GFX90A:TG_SPLIT: 0
	.section	.text._ZL33flash_attn_stream_k_fixup_generalILi80ELi8ELi1EEvPfPK15HIP_vector_typeIfLj2EEiiiiS1_IjLj3EES5_S5_S5_,"axG",@progbits,_ZL33flash_attn_stream_k_fixup_generalILi80ELi8ELi1EEvPfPK15HIP_vector_typeIfLj2EEiiiiS1_IjLj3EES5_S5_S5_,comdat
	.globl	_ZL33flash_attn_stream_k_fixup_generalILi80ELi8ELi1EEvPfPK15HIP_vector_typeIfLj2EEiiiiS1_IjLj3EES5_S5_S5_ ; -- Begin function _ZL33flash_attn_stream_k_fixup_generalILi80ELi8ELi1EEvPfPK15HIP_vector_typeIfLj2EEiiiiS1_IjLj3EES5_S5_S5_
	.p2align	8
	.type	_ZL33flash_attn_stream_k_fixup_generalILi80ELi8ELi1EEvPfPK15HIP_vector_typeIfLj2EEiiiiS1_IjLj3EES5_S5_S5_,@function
_ZL33flash_attn_stream_k_fixup_generalILi80ELi8ELi1EEvPfPK15HIP_vector_typeIfLj2EEiiiiS1_IjLj3EES5_S5_S5_: ; @_ZL33flash_attn_stream_k_fixup_generalILi80ELi8ELi1EEvPfPK15HIP_vector_typeIfLj2EEiiiiS1_IjLj3EES5_S5_S5_
; %bb.0:
	s_load_dwordx4 s[12:15], s[0:1], 0x10
	s_load_dword s22, s[0:1], 0x50
	s_mov_b32 s8, 0
	s_waitcnt lgkmcnt(0)
	s_mul_hi_i32 s9, s15, s2
	s_cmp_lg_u64 s[8:9], 0
	s_mul_i32 s5, s15, s2
	s_cbranch_scc0 .LBB64_21
; %bb.1:
	v_cvt_f32_u32_e32 v1, s22
	v_cvt_f32_ubyte0_e32 v2, 0
	s_sub_u32 s8, 0, s22
	s_subb_u32 s10, 0, 0
	v_fmamk_f32 v1, v2, 0x4f800000, v1
	v_rcp_f32_e32 v1, v1
	s_nop 0
	v_mul_f32_e32 v1, 0x5f7ffffc, v1
	v_mul_f32_e32 v2, 0x2f800000, v1
	v_trunc_f32_e32 v2, v2
	v_fmamk_f32 v1, v2, 0xcf800000, v1
	v_cvt_u32_f32_e32 v2, v2
	v_cvt_u32_f32_e32 v1, v1
	v_readfirstlane_b32 s11, v2
	v_readfirstlane_b32 s16, v1
	s_mul_i32 s17, s8, s11
	s_mul_hi_u32 s19, s8, s16
	s_mul_i32 s18, s10, s16
	s_add_i32 s17, s19, s17
	s_add_i32 s17, s17, s18
	s_mul_i32 s20, s8, s16
	s_mul_hi_u32 s18, s16, s17
	s_mul_i32 s19, s16, s17
	s_mul_hi_u32 s16, s16, s20
	s_add_u32 s16, s16, s19
	s_addc_u32 s18, 0, s18
	s_mul_hi_u32 s21, s11, s20
	s_mul_i32 s20, s11, s20
	s_add_u32 s16, s16, s20
	s_mul_hi_u32 s19, s11, s17
	s_addc_u32 s16, s18, s21
	s_addc_u32 s18, s19, 0
	s_mul_i32 s17, s11, s17
	s_add_u32 s16, s16, s17
	s_addc_u32 s17, 0, s18
	v_add_co_u32_e32 v1, vcc, s16, v1
	s_cmp_lg_u64 vcc, 0
	s_addc_u32 s11, s11, s17
	v_readfirstlane_b32 s17, v1
	s_mul_i32 s16, s8, s11
	s_mul_hi_u32 s18, s8, s17
	s_add_i32 s16, s18, s16
	s_mul_i32 s10, s10, s17
	s_add_i32 s16, s16, s10
	s_mul_i32 s8, s8, s17
	s_mul_hi_u32 s18, s11, s8
	s_mul_i32 s19, s11, s8
	s_mul_i32 s21, s17, s16
	s_mul_hi_u32 s8, s17, s8
	s_mul_hi_u32 s20, s17, s16
	s_add_u32 s8, s8, s21
	s_addc_u32 s17, 0, s20
	s_add_u32 s8, s8, s19
	s_mul_hi_u32 s10, s11, s16
	s_addc_u32 s8, s17, s18
	s_addc_u32 s10, s10, 0
	s_mul_i32 s16, s11, s16
	s_add_u32 s8, s8, s16
	s_addc_u32 s10, 0, s10
	v_add_co_u32_e32 v1, vcc, s8, v1
	s_cmp_lg_u64 vcc, 0
	s_addc_u32 s16, s11, s10
	s_ashr_i32 s10, s9, 31
	s_add_u32 s8, s5, s10
	s_mov_b32 s11, s10
	s_addc_u32 s9, s9, s10
	s_xor_b64 s[8:9], s[8:9], s[10:11]
	v_readfirstlane_b32 s19, v1
	s_mul_i32 s18, s8, s16
	s_mul_hi_u32 s20, s8, s19
	s_mul_hi_u32 s17, s8, s16
	s_add_u32 s18, s20, s18
	s_addc_u32 s17, 0, s17
	s_mul_hi_u32 s21, s9, s19
	s_mul_i32 s19, s9, s19
	s_add_u32 s18, s18, s19
	s_mul_hi_u32 s20, s9, s16
	s_addc_u32 s17, s17, s21
	s_addc_u32 s18, s20, 0
	s_mul_i32 s16, s9, s16
	s_add_u32 s16, s17, s16
	s_addc_u32 s17, 0, s18
	s_add_u32 s18, s16, 1
	s_addc_u32 s19, s17, 0
	s_add_u32 s20, s16, 2
	s_mul_i32 s23, s22, s17
	s_mul_hi_u32 s24, s22, s16
	s_addc_u32 s21, s17, 0
	s_add_i32 s24, s24, s23
	s_mul_i32 s23, s22, s16
	v_mov_b32_e32 v1, s23
	v_sub_co_u32_e32 v1, vcc, s8, v1
	s_cmp_lg_u64 vcc, 0
	s_subb_u32 s8, s9, s24
	v_subrev_co_u32_e32 v2, vcc, s22, v1
	s_cmp_lg_u64 vcc, 0
	s_subb_u32 s9, s8, 0
	v_readfirstlane_b32 s23, v2
	s_cmp_ge_u32 s23, s22
	s_cselect_b32 s23, -1, 0
	s_cmp_eq_u32 s9, 0
	s_cselect_b32 s9, s23, -1
	s_cmp_lg_u32 s9, 0
	s_cselect_b32 s9, s21, s19
	v_readfirstlane_b32 s19, v1
	s_cselect_b32 s18, s20, s18
	s_cmp_ge_u32 s19, s22
	s_cselect_b32 s19, -1, 0
	s_cmp_eq_u32 s8, 0
	s_cselect_b32 s8, s19, -1
	s_cmp_lg_u32 s8, 0
	s_cselect_b32 s9, s9, s17
	s_cselect_b32 s8, s18, s16
	s_xor_b64 s[8:9], s[8:9], s[10:11]
	s_sub_u32 s20, s8, s10
	s_load_dwordx4 s[16:19], s[0:1], 0x44
	s_cbranch_execnz .LBB64_3
.LBB64_2:
	v_cvt_f32_u32_e32 v1, s22
	s_sub_i32 s6, 0, s22
	v_rcp_iflag_f32_e32 v1, v1
	s_nop 0
	v_mul_f32_e32 v1, 0x4f7ffffe, v1
	v_cvt_u32_f32_e32 v1, v1
	s_nop 0
	v_readfirstlane_b32 s7, v1
	s_mul_i32 s6, s6, s7
	s_mul_hi_u32 s6, s7, s6
	s_add_i32 s7, s7, s6
	s_mul_hi_u32 s6, s5, s7
	s_mul_i32 s8, s6, s22
	s_sub_i32 s5, s5, s8
	s_add_i32 s7, s6, 1
	s_sub_i32 s8, s5, s22
	s_cmp_ge_u32 s5, s22
	s_cselect_b32 s6, s7, s6
	s_cselect_b32 s5, s8, s5
	s_add_i32 s7, s6, 1
	s_cmp_ge_u32 s5, s22
	s_cselect_b32 s20, s7, s6
.LBB64_3:
	s_add_i32 s5, s2, 1
	s_mul_hi_i32 s9, s15, s5
	s_mov_b32 s8, 0
	s_cmp_lg_u64 s[8:9], 0
	s_mul_i32 s5, s15, s5
	s_cbranch_scc0 .LBB64_22
; %bb.4:
	v_cvt_f32_u32_e32 v1, s22
	v_cvt_f32_ubyte0_e32 v2, 0
	s_sub_u32 s8, 0, s22
	s_subb_u32 s10, 0, 0
	v_fmamk_f32 v1, v2, 0x4f800000, v1
	v_rcp_f32_e32 v1, v1
	s_nop 0
	v_mul_f32_e32 v1, 0x5f7ffffc, v1
	v_mul_f32_e32 v2, 0x2f800000, v1
	v_trunc_f32_e32 v2, v2
	v_fmamk_f32 v1, v2, 0xcf800000, v1
	v_cvt_u32_f32_e32 v2, v2
	v_cvt_u32_f32_e32 v1, v1
	v_readfirstlane_b32 s11, v2
	s_waitcnt lgkmcnt(0)
	v_readfirstlane_b32 s19, v1
	s_mul_i32 s21, s8, s11
	s_mul_hi_u32 s24, s8, s19
	s_mul_i32 s23, s10, s19
	s_add_i32 s21, s24, s21
	s_add_i32 s21, s21, s23
	s_mul_i32 s25, s8, s19
	s_mul_hi_u32 s23, s19, s21
	s_mul_i32 s24, s19, s21
	s_mul_hi_u32 s19, s19, s25
	s_add_u32 s19, s19, s24
	s_addc_u32 s23, 0, s23
	s_mul_hi_u32 s26, s11, s25
	s_mul_i32 s25, s11, s25
	s_add_u32 s19, s19, s25
	s_mul_hi_u32 s24, s11, s21
	s_addc_u32 s19, s23, s26
	s_addc_u32 s23, s24, 0
	s_mul_i32 s21, s11, s21
	s_add_u32 s19, s19, s21
	s_addc_u32 s21, 0, s23
	v_add_co_u32_e32 v1, vcc, s19, v1
	s_cmp_lg_u64 vcc, 0
	s_addc_u32 s11, s11, s21
	v_readfirstlane_b32 s21, v1
	s_mul_i32 s19, s8, s11
	s_mul_hi_u32 s23, s8, s21
	s_add_i32 s19, s23, s19
	s_mul_i32 s10, s10, s21
	s_add_i32 s19, s19, s10
	s_mul_i32 s8, s8, s21
	s_mul_hi_u32 s23, s11, s8
	s_mul_i32 s24, s11, s8
	s_mul_i32 s26, s21, s19
	s_mul_hi_u32 s8, s21, s8
	s_mul_hi_u32 s25, s21, s19
	s_add_u32 s8, s8, s26
	s_addc_u32 s21, 0, s25
	s_add_u32 s8, s8, s24
	s_mul_hi_u32 s10, s11, s19
	s_addc_u32 s8, s21, s23
	s_addc_u32 s10, s10, 0
	s_mul_i32 s19, s11, s19
	s_add_u32 s8, s8, s19
	s_addc_u32 s10, 0, s10
	v_add_co_u32_e32 v1, vcc, s8, v1
	s_cmp_lg_u64 vcc, 0
	s_addc_u32 s19, s11, s10
	s_ashr_i32 s10, s9, 31
	s_add_u32 s8, s5, s10
	s_mov_b32 s11, s10
	s_addc_u32 s9, s9, s10
	s_xor_b64 s[8:9], s[8:9], s[10:11]
	v_readfirstlane_b32 s23, v1
	s_mul_i32 s21, s8, s19
	s_mul_hi_u32 s24, s8, s23
	s_mul_hi_u32 s11, s8, s19
	s_add_u32 s21, s24, s21
	s_addc_u32 s11, 0, s11
	s_mul_hi_u32 s25, s9, s23
	s_mul_i32 s23, s9, s23
	s_add_u32 s21, s21, s23
	s_mul_hi_u32 s24, s9, s19
	s_addc_u32 s11, s11, s25
	s_addc_u32 s21, s24, 0
	s_mul_i32 s19, s9, s19
	s_add_u32 s11, s11, s19
	s_addc_u32 s19, 0, s21
	s_mul_i32 s19, s22, s19
	s_mul_hi_u32 s24, s22, s11
	s_add_i32 s24, s24, s19
	s_mul_i32 s19, s22, s11
	v_mov_b32_e32 v1, s19
	s_add_u32 s21, s11, 1
	s_add_u32 s23, s11, 2
	v_sub_co_u32_e32 v1, vcc, s8, v1
	s_cmp_lg_u64 vcc, 0
	s_subb_u32 s8, s9, s24
	v_subrev_co_u32_e32 v2, vcc, s22, v1
	s_cmp_lg_u64 vcc, 0
	s_subb_u32 s9, s8, 0
	v_cmp_le_u32_e32 vcc, s22, v2
	s_cmp_eq_u32 s9, 0
	v_mov_b32_e32 v3, s21
	v_cndmask_b32_e64 v2, 0, -1, vcc
	s_cselect_b64 vcc, -1, 0
	v_cndmask_b32_e32 v2, -1, v2, vcc
	v_mov_b32_e32 v4, s23
	v_cmp_ne_u32_e32 vcc, 0, v2
	s_cmp_eq_u32 s8, 0
	s_nop 0
	v_cndmask_b32_e32 v2, v3, v4, vcc
	v_cmp_le_u32_e32 vcc, s22, v1
	v_mov_b32_e32 v3, s11
	s_nop 0
	v_cndmask_b32_e64 v1, 0, -1, vcc
	s_cselect_b64 vcc, -1, 0
	v_cndmask_b32_e32 v1, -1, v1, vcc
	v_cmp_ne_u32_e32 vcc, 0, v1
	s_nop 1
	v_cndmask_b32_e32 v1, v3, v2, vcc
	v_xor_b32_e32 v1, s10, v1
	v_subrev_co_u32_e32 v2, vcc, s10, v1
	s_cbranch_execnz .LBB64_6
.LBB64_5:
	v_cvt_f32_u32_e32 v1, s22
	s_sub_i32 s6, 0, s22
	s_mov_b32 s7, 0
	v_rcp_iflag_f32_e32 v1, v1
	s_nop 0
	v_mul_f32_e32 v1, 0x4f7ffffe, v1
	v_cvt_u32_f32_e32 v1, v1
	s_nop 0
	v_readfirstlane_b32 s8, v1
	s_mul_i32 s6, s6, s8
	s_mul_hi_u32 s6, s8, s6
	s_add_i32 s8, s8, s6
	s_mul_hi_u32 s6, s5, s8
	s_mul_i32 s9, s6, s22
	s_sub_i32 s5, s5, s9
	s_add_i32 s8, s6, 1
	s_sub_i32 s9, s5, s22
	s_cmp_ge_u32 s5, s22
	s_cselect_b32 s6, s8, s6
	s_cselect_b32 s5, s9, s5
	s_add_i32 s8, s6, 1
	s_cmp_ge_u32 s5, s22
	s_cselect_b32 s6, s8, s6
	v_mov_b64_e32 v[2:3], s[6:7]
.LBB64_6:
	s_waitcnt lgkmcnt(0)
	s_mul_hi_u32 s5, s20, s16
	s_add_i32 s5, s5, s20
	v_mul_hi_u32 v1, v2, s16
	s_lshr_b32 s19, s5, s17
	v_add_u32_e32 v1, v1, v2
	s_mul_i32 s5, s19, s18
	v_lshrrev_b32_e32 v1, s17, v1
	s_cmp_eq_u32 s5, s20
	v_cmp_eq_u32_e64 s[6:7], s19, v1
	v_mul_lo_u32 v1, v1, s18
	v_cmp_eq_u32_e32 vcc, s20, v2
	s_cselect_b64 s[10:11], -1, 0
	v_cmp_ne_u32_e64 s[8:9], v1, v2
	s_and_b64 s[6:7], s[6:7], s[8:9]
	s_or_b64 s[8:9], vcc, s[10:11]
	s_or_b64 s[6:7], s[8:9], s[6:7]
	s_and_b64 vcc, exec, s[6:7]
	s_cbranch_vccnz .LBB64_24
; %bb.7:
	s_load_dwordx8 s[24:31], s[0:1], 0x20
	s_load_dword s5, s[0:1], 0x40
	s_waitcnt lgkmcnt(0)
	s_mul_hi_u32 s6, s20, s24
	s_add_i32 s6, s6, s20
	s_lshr_b32 s7, s6, s25
	s_mul_i32 s6, s7, s26
	s_sub_i32 s6, s20, s6
	s_mul_hi_u32 s8, s6, s27
	s_add_i32 s8, s6, s8
	s_lshr_b32 s23, s8, s28
	s_mul_i32 s8, s23, s29
	s_sub_i32 s6, s6, s8
	;; [unrolled: 5-line block ×3, first 2 shown]
	s_mul_hi_u32 s6, s5, s16
	s_add_i32 s5, s5, s6
	s_lshr_b32 s24, s5, s17
	s_lshl_b32 s5, s24, 3
	s_add_i32 s5, s5, s3
	s_cmp_lt_i32 s5, s12
	s_cselect_b64 s[8:9], -1, 0
	s_add_i32 s25, s25, s4
	s_cmp_lt_i32 s25, s14
	s_cselect_b64 s[10:11], -1, 0
	s_and_b64 s[8:9], s[8:9], s[10:11]
	s_andn2_b64 vcc, exec, s[8:9]
	s_mov_b32 s6, 0
	s_cbranch_vccnz .LBB64_24
; %bb.8:
	s_load_dwordx4 s[8:11], s[0:1], 0x0
	s_lshl_b32 s0, s22, 5
	s_mov_b32 s1, s6
	s_add_i32 s21, s3, s4
	s_lshl_b64 s[0:1], s[0:1], 2
	s_waitcnt lgkmcnt(0)
	s_add_u32 s4, s10, s0
	s_mul_i32 s0, s7, s12
	s_addc_u32 s5, s11, s1
	s_mul_i32 s23, s23, s14
	s_add_i32 s0, s0, s3
	s_mul_i32 s0, s0, s13
	s_add_i32 s3, s25, s23
	;; [unrolled: 2-line block ×3, first 2 shown]
	s_mulk_i32 s1, 0x280
	s_mulk_i32 s0, 0x50
	s_add_i32 s1, s1, s0
	v_add_u32_e32 v4, s1, v0
	v_mov_b32_e32 v2, s8
	v_mov_b32_e32 v3, s9
	v_ashrrev_i32_e32 v5, 31, v4
	v_lshl_add_u64 v[2:3], v[4:5], 2, v[2:3]
	global_load_dword v5, v[2:3], off
	s_lshl_b32 s0, s2, 3
	s_add_i32 s0, s0, s21
	s_ashr_i32 s1, s0, 31
	s_lshl_b64 s[0:1], s[0:1], 3
	s_add_u32 s0, s10, s0
	s_addc_u32 s1, s11, s1
	s_add_i32 s12, s2, -1
	s_mul_i32 s2, s21, 0x50
	v_add_u32_e32 v4, s2, v0
	v_cvt_f32_u32_e32 v0, s22
	v_cvt_f32_ubyte0_e32 v1, 0
	s_load_dwordx2 s[0:1], s[0:1], 0x0
	v_mov_b32_e32 v8, s20
	v_fmac_f32_e32 v0, 0x4f800000, v1
	v_rcp_f32_e32 v0, v0
	v_cvt_f32_u32_e32 v1, s22
	s_waitcnt lgkmcnt(0)
	v_mov_b32_e32 v6, s1
	v_mov_b32_e32 v7, s0
	v_mul_f32_e32 v0, 0x5f7ffffc, v0
	v_rcp_iflag_f32_e32 v1, v1
	v_mul_f32_e32 v9, 0x2f800000, v0
	v_trunc_f32_e32 v10, v9
	v_fmac_f32_e32 v0, 0xcf800000, v10
	v_cvt_u32_f32_e32 v9, v0
	v_mul_f32_e32 v0, 0x4f7ffffe, v1
	v_cvt_u32_f32_e32 v10, v10
	v_cvt_u32_f32_e32 v11, v0
	s_mov_b32 s8, 0x3fb8aa3b
	s_mov_b32 s9, 0xc2ce8ed0
	;; [unrolled: 1-line block ×4, first 2 shown]
	v_mov_b32_e32 v12, 0x7f800000
	s_mul_hi_i32 s7, s12, s15
	s_cmp_lg_u64 s[6:7], 0
	s_mul_i32 s2, s12, s15
	s_cbranch_scc0 .LBB64_15
.LBB64_9:
	s_sub_u32 s0, 0, s22
	v_readfirstlane_b32 s3, v9
	v_readfirstlane_b32 s24, v10
	s_subb_u32 s1, 0, 0
	s_mul_hi_u32 s23, s0, s3
	s_mul_i32 s25, s0, s24
	s_mul_i32 s20, s1, s3
	s_add_i32 s23, s23, s25
	s_add_i32 s23, s23, s20
	s_mul_i32 s26, s0, s3
	s_mul_hi_u32 s20, s3, s23
	s_mul_i32 s25, s3, s23
	s_mul_hi_u32 s3, s3, s26
	s_add_u32 s3, s3, s25
	s_addc_u32 s20, 0, s20
	s_mul_hi_u32 s27, s24, s26
	s_mul_i32 s26, s24, s26
	s_add_u32 s3, s3, s26
	s_mul_hi_u32 s25, s24, s23
	s_addc_u32 s3, s20, s27
	s_addc_u32 s20, s25, 0
	s_mul_i32 s23, s24, s23
	s_add_u32 s3, s3, s23
	s_addc_u32 s20, 0, s20
	v_add_co_u32_e32 v0, vcc, s3, v9
	s_cmp_lg_u64 vcc, 0
	s_addc_u32 s3, s24, s20
	v_readfirstlane_b32 s23, v0
	s_mul_i32 s20, s0, s3
	s_mul_hi_u32 s24, s0, s23
	s_add_i32 s20, s24, s20
	s_mul_i32 s1, s1, s23
	s_add_i32 s20, s20, s1
	s_mul_i32 s0, s0, s23
	s_mul_hi_u32 s24, s3, s0
	s_mul_i32 s25, s3, s0
	s_mul_i32 s27, s23, s20
	s_mul_hi_u32 s0, s23, s0
	s_mul_hi_u32 s26, s23, s20
	s_add_u32 s0, s0, s27
	s_addc_u32 s23, 0, s26
	s_add_u32 s0, s0, s25
	s_mul_hi_u32 s1, s3, s20
	s_addc_u32 s0, s23, s24
	s_addc_u32 s1, s1, 0
	s_mul_i32 s20, s3, s20
	s_add_u32 s0, s0, s20
	s_addc_u32 s1, 0, s1
	v_add_co_u32_e32 v0, vcc, s0, v0
	s_cmp_lg_u64 vcc, 0
	s_addc_u32 s3, s3, s1
	s_ashr_i32 s0, s7, 31
	s_add_u32 s24, s2, s0
	s_mov_b32 s1, s0
	s_addc_u32 s25, s7, s0
	s_xor_b64 s[24:25], s[24:25], s[0:1]
	v_readfirstlane_b32 s20, v0
	s_mul_i32 s7, s24, s3
	s_mul_hi_u32 s23, s24, s20
	s_mul_hi_u32 s1, s24, s3
	s_add_u32 s7, s23, s7
	s_addc_u32 s1, 0, s1
	s_mul_hi_u32 s26, s25, s20
	s_mul_i32 s20, s25, s20
	s_add_u32 s7, s7, s20
	s_mul_hi_u32 s23, s25, s3
	s_addc_u32 s1, s1, s26
	s_addc_u32 s7, s23, 0
	s_mul_i32 s3, s25, s3
	s_add_u32 s1, s1, s3
	s_addc_u32 s3, 0, s7
	s_mul_i32 s3, s22, s3
	s_mul_hi_u32 s23, s22, s1
	s_add_i32 s23, s23, s3
	s_mul_i32 s3, s22, s1
	v_mov_b32_e32 v0, s3
	s_add_u32 s7, s1, 1
	s_add_u32 s20, s1, 2
	v_sub_co_u32_e32 v0, vcc, s24, v0
	s_cmp_lg_u64 vcc, 0
	s_subb_u32 s3, s25, s23
	v_subrev_co_u32_e32 v1, vcc, s22, v0
	s_cmp_lg_u64 vcc, 0
	s_subb_u32 s23, s3, 0
	v_cmp_le_u32_e32 vcc, s22, v1
	s_cmp_eq_u32 s23, 0
	v_mov_b32_e32 v13, s7
	v_cndmask_b32_e64 v1, 0, -1, vcc
	s_cselect_b64 vcc, -1, 0
	v_cndmask_b32_e32 v1, -1, v1, vcc
	v_mov_b32_e32 v14, s20
	v_cmp_ne_u32_e32 vcc, 0, v1
	s_cmp_eq_u32 s3, 0
	s_nop 0
	v_cndmask_b32_e32 v1, v13, v14, vcc
	v_cmp_le_u32_e32 vcc, s22, v0
	v_mov_b32_e32 v13, s1
	s_nop 0
	v_cndmask_b32_e64 v0, 0, -1, vcc
	s_cselect_b64 vcc, -1, 0
	v_cndmask_b32_e32 v0, -1, v0, vcc
	v_cmp_ne_u32_e32 vcc, 0, v0
	s_nop 1
	v_cndmask_b32_e32 v0, v13, v1, vcc
	v_xor_b32_e32 v0, s0, v0
	v_subrev_co_u32_e32 v0, vcc, s0, v0
	s_cbranch_execnz .LBB64_11
.LBB64_10:
	s_sub_i32 s0, 0, s22
	v_mul_lo_u32 v0, s0, v11
	v_mul_hi_u32 v0, v11, v0
	v_add_u32_e32 v0, v11, v0
	v_mul_hi_u32 v0, s2, v0
	v_mul_lo_u32 v13, v0, s22
	v_sub_u32_e32 v13, s2, v13
	v_add_u32_e32 v1, 1, v0
	v_subrev_u32_e32 v14, s22, v13
	v_cmp_le_u32_e32 vcc, s22, v13
	s_nop 1
	v_cndmask_b32_e32 v13, v13, v14, vcc
	v_cndmask_b32_e32 v0, v0, v1, vcc
	v_add_u32_e32 v1, 1, v0
	v_cmp_le_u32_e32 vcc, s22, v13
	s_nop 1
	v_cndmask_b32_e32 v0, v0, v1, vcc
.LBB64_11:
	v_cmp_ne_u32_e32 vcc, v8, v0
	s_cbranch_vccz .LBB64_14
; %bb.12:
	s_add_i32 s0, s12, s22
	s_lshl_b32 s0, s0, 3
	v_mul_hi_u32 v1, v0, s16
	s_add_i32 s0, s0, s21
	s_mov_b32 s1, s6
	v_add_u32_e32 v1, v1, v0
	s_lshl_b64 s[0:1], s[0:1], 3
	v_lshrrev_b32_e32 v1, s17, v1
	s_add_u32 s2, s10, s0
	v_mul_lo_u32 v13, v1, s18
	s_addc_u32 s3, s11, s1
	v_cmp_eq_u32_e32 vcc, v13, v0
	v_cmp_gt_u32_e64 s[0:1], s19, v1
	s_or_b64 s[0:1], s[0:1], vcc
	s_and_b64 vcc, exec, s[0:1]
	s_cbranch_vccnz .LBB64_16
; %bb.13:
	s_add_i32 s7, s12, -1
	s_mov_b64 s[0:1], 0
	s_branch .LBB64_17
.LBB64_14:
                                        ; implicit-def: $sgpr0_sgpr1
                                        ; implicit-def: $vgpr14
                                        ; implicit-def: $vgpr1
                                        ; implicit-def: $vgpr13
                                        ; implicit-def: $sgpr7
                                        ; implicit-def: $vgpr0
	s_branch .LBB64_18
.LBB64_15:
                                        ; implicit-def: $vgpr0_vgpr1
	s_branch .LBB64_10
.LBB64_16:
	s_mov_b64 s[0:1], -1
	s_mov_b32 s7, s12
	v_mov_b32_e32 v0, v8
.LBB64_17:
	s_mul_i32 s20, s12, 0x280
	v_add_u32_e32 v14, s20, v4
	v_ashrrev_i32_e32 v15, 31, v14
	v_lshl_add_u64 v[14:15], v[14:15], 2, s[4:5]
	global_load_dword v14, v[14:15], off
	s_load_dwordx2 s[2:3], s[2:3], 0x0
	v_max_f32_e32 v1, v7, v7
	s_waitcnt lgkmcnt(0)
	v_max_f32_e64 v13, s2, s2
	v_max_f32_e32 v1, v1, v13
	v_sub_f32_e32 v13, v7, v1
	v_sub_f32_e32 v15, s2, v1
	v_mul_f32_e32 v16, 0x3fb8aa3b, v13
	v_mul_f32_e32 v17, 0x3fb8aa3b, v15
	v_fma_f32 v18, v13, s8, -v16
	v_rndne_f32_e32 v19, v16
	v_fma_f32 v20, v15, s8, -v17
	v_rndne_f32_e32 v21, v17
	v_fmac_f32_e32 v18, 0x32a5705f, v13
	v_sub_f32_e32 v16, v16, v19
	v_fmac_f32_e32 v20, 0x32a5705f, v15
	v_sub_f32_e32 v17, v17, v21
	v_add_f32_e32 v16, v16, v18
	v_cvt_i32_f32_e32 v19, v19
	v_add_f32_e32 v17, v17, v20
	v_exp_f32_e32 v16, v16
	v_cvt_i32_f32_e32 v21, v21
	v_exp_f32_e32 v17, v17
	v_cmp_ngt_f32_e32 vcc, s9, v13
	v_ldexp_f32 v16, v16, v19
	v_ldexp_f32 v17, v17, v21
	v_cndmask_b32_e32 v16, 0, v16, vcc
	v_cmp_ngt_f32_e32 vcc, s9, v15
	s_nop 1
	v_cndmask_b32_e32 v17, 0, v17, vcc
	v_cmp_nlt_f32_e32 vcc, s13, v13
	s_nop 1
	v_cndmask_b32_e32 v16, v12, v16, vcc
	v_cmp_nlt_f32_e32 vcc, s13, v15
	s_nop 1
	v_cndmask_b32_e32 v17, v12, v17, vcc
	v_cmp_le_f32_e32 vcc, s14, v13
	s_nop 1
	v_cndmask_b32_e32 v16, 0, v16, vcc
	v_cmp_le_f32_e32 vcc, s14, v15
	s_nop 1
	v_cndmask_b32_e32 v15, 0, v17, vcc
	v_mul_f32_e32 v13, s3, v15
	v_fmac_f32_e32 v13, v6, v16
	s_waitcnt vmcnt(0)
	v_mul_f32_e32 v14, v14, v15
	v_fmac_f32_e32 v14, v5, v16
	s_cbranch_execnz .LBB64_19
.LBB64_18:
	s_add_i32 s7, s12, -1
	s_mov_b64 s[0:1], 0
	v_mov_b32_e32 v0, v8
	v_mov_b32_e32 v13, v6
	;; [unrolled: 1-line block ×3, first 2 shown]
	s_waitcnt vmcnt(0)
	v_mov_b32_e32 v14, v5
.LBB64_19:
	s_andn2_b64 vcc, exec, s[0:1]
	s_cbranch_vccz .LBB64_23
; %bb.20:
	v_mov_b32_e32 v8, v0
	s_mov_b32 s12, s7
	v_mov_b32_e32 v6, v13
	v_mov_b32_e32 v7, v1
	s_waitcnt vmcnt(0)
	v_mov_b32_e32 v5, v14
	s_mul_hi_i32 s7, s12, s15
	s_cmp_lg_u64 s[6:7], 0
	s_mul_i32 s2, s12, s15
	s_cbranch_scc1 .LBB64_9
	s_branch .LBB64_15
.LBB64_21:
                                        ; implicit-def: $sgpr20_sgpr21
	s_load_dwordx4 s[16:19], s[0:1], 0x44
	s_branch .LBB64_2
.LBB64_22:
                                        ; implicit-def: $vgpr2_vgpr3
	s_branch .LBB64_5
.LBB64_23:
	v_div_scale_f32 v0, s[0:1], v13, v13, v14
	v_rcp_f32_e32 v1, v0
	v_div_scale_f32 v4, vcc, v14, v13, v14
	s_waitcnt vmcnt(0)
	v_fma_f32 v5, -v0, v1, 1.0
	v_fmac_f32_e32 v1, v5, v1
	v_mul_f32_e32 v5, v4, v1
	v_fma_f32 v6, -v0, v5, v4
	v_fmac_f32_e32 v5, v6, v1
	v_fma_f32 v0, -v0, v5, v4
	v_div_fmas_f32 v0, v0, v1, v5
	v_div_fixup_f32 v0, v0, v13, v14
	global_store_dword v[2:3], v0, off
.LBB64_24:
	s_endpgm
	.section	.rodata,"a",@progbits
	.p2align	6, 0x0
	.amdhsa_kernel _ZL33flash_attn_stream_k_fixup_generalILi80ELi8ELi1EEvPfPK15HIP_vector_typeIfLj2EEiiiiS1_IjLj3EES5_S5_S5_
		.amdhsa_group_segment_fixed_size 0
		.amdhsa_private_segment_fixed_size 0
		.amdhsa_kernarg_size 336
		.amdhsa_user_sgpr_count 2
		.amdhsa_user_sgpr_dispatch_ptr 0
		.amdhsa_user_sgpr_queue_ptr 0
		.amdhsa_user_sgpr_kernarg_segment_ptr 1
		.amdhsa_user_sgpr_dispatch_id 0
		.amdhsa_user_sgpr_kernarg_preload_length 0
		.amdhsa_user_sgpr_kernarg_preload_offset 0
		.amdhsa_user_sgpr_private_segment_size 0
		.amdhsa_uses_dynamic_stack 0
		.amdhsa_enable_private_segment 0
		.amdhsa_system_sgpr_workgroup_id_x 1
		.amdhsa_system_sgpr_workgroup_id_y 1
		.amdhsa_system_sgpr_workgroup_id_z 1
		.amdhsa_system_sgpr_workgroup_info 0
		.amdhsa_system_vgpr_workitem_id 0
		.amdhsa_next_free_vgpr 22
		.amdhsa_next_free_sgpr 32
		.amdhsa_accum_offset 24
		.amdhsa_reserve_vcc 1
		.amdhsa_float_round_mode_32 0
		.amdhsa_float_round_mode_16_64 0
		.amdhsa_float_denorm_mode_32 3
		.amdhsa_float_denorm_mode_16_64 3
		.amdhsa_dx10_clamp 1
		.amdhsa_ieee_mode 1
		.amdhsa_fp16_overflow 0
		.amdhsa_tg_split 0
		.amdhsa_exception_fp_ieee_invalid_op 0
		.amdhsa_exception_fp_denorm_src 0
		.amdhsa_exception_fp_ieee_div_zero 0
		.amdhsa_exception_fp_ieee_overflow 0
		.amdhsa_exception_fp_ieee_underflow 0
		.amdhsa_exception_fp_ieee_inexact 0
		.amdhsa_exception_int_div_zero 0
	.end_amdhsa_kernel
	.section	.text._ZL33flash_attn_stream_k_fixup_generalILi80ELi8ELi1EEvPfPK15HIP_vector_typeIfLj2EEiiiiS1_IjLj3EES5_S5_S5_,"axG",@progbits,_ZL33flash_attn_stream_k_fixup_generalILi80ELi8ELi1EEvPfPK15HIP_vector_typeIfLj2EEiiiiS1_IjLj3EES5_S5_S5_,comdat
.Lfunc_end64:
	.size	_ZL33flash_attn_stream_k_fixup_generalILi80ELi8ELi1EEvPfPK15HIP_vector_typeIfLj2EEiiiiS1_IjLj3EES5_S5_S5_, .Lfunc_end64-_ZL33flash_attn_stream_k_fixup_generalILi80ELi8ELi1EEvPfPK15HIP_vector_typeIfLj2EEiiiiS1_IjLj3EES5_S5_S5_
                                        ; -- End function
	.section	.AMDGPU.csdata,"",@progbits
; Kernel info:
; codeLenInByte = 2860
; NumSgprs: 38
; NumVgprs: 22
; NumAgprs: 0
; TotalNumVgprs: 22
; ScratchSize: 0
; MemoryBound: 0
; FloatMode: 240
; IeeeMode: 1
; LDSByteSize: 0 bytes/workgroup (compile time only)
; SGPRBlocks: 4
; VGPRBlocks: 2
; NumSGPRsForWavesPerEU: 38
; NumVGPRsForWavesPerEU: 22
; AccumOffset: 24
; Occupancy: 8
; WaveLimiterHint : 0
; COMPUTE_PGM_RSRC2:SCRATCH_EN: 0
; COMPUTE_PGM_RSRC2:USER_SGPR: 2
; COMPUTE_PGM_RSRC2:TRAP_HANDLER: 0
; COMPUTE_PGM_RSRC2:TGID_X_EN: 1
; COMPUTE_PGM_RSRC2:TGID_Y_EN: 1
; COMPUTE_PGM_RSRC2:TGID_Z_EN: 1
; COMPUTE_PGM_RSRC2:TIDIG_COMP_CNT: 0
; COMPUTE_PGM_RSRC3_GFX90A:ACCUM_OFFSET: 5
; COMPUTE_PGM_RSRC3_GFX90A:TG_SPLIT: 0
	.section	.text._ZL15flash_attn_tileILi80ELi80ELi4ELi1ELb0EEvPKcS1_S1_S1_S1_PKiPfP15HIP_vector_typeIfLj2EEffffjfiS5_IjLj3EEiiiiiiiiiiiliiliiiiil,"axG",@progbits,_ZL15flash_attn_tileILi80ELi80ELi4ELi1ELb0EEvPKcS1_S1_S1_S1_PKiPfP15HIP_vector_typeIfLj2EEffffjfiS5_IjLj3EEiiiiiiiiiiiliiliiiiil,comdat
	.globl	_ZL15flash_attn_tileILi80ELi80ELi4ELi1ELb0EEvPKcS1_S1_S1_S1_PKiPfP15HIP_vector_typeIfLj2EEffffjfiS5_IjLj3EEiiiiiiiiiiiliiliiiiil ; -- Begin function _ZL15flash_attn_tileILi80ELi80ELi4ELi1ELb0EEvPKcS1_S1_S1_S1_PKiPfP15HIP_vector_typeIfLj2EEffffjfiS5_IjLj3EEiiiiiiiiiiiliiliiiiil
	.p2align	8
	.type	_ZL15flash_attn_tileILi80ELi80ELi4ELi1ELb0EEvPKcS1_S1_S1_S1_PKiPfP15HIP_vector_typeIfLj2EEffffjfiS5_IjLj3EEiiiiiiiiiiiliiliiiiil,@function
_ZL15flash_attn_tileILi80ELi80ELi4ELi1ELb0EEvPKcS1_S1_S1_S1_PKiPfP15HIP_vector_typeIfLj2EEffffjfiS5_IjLj3EEiiiiiiiiiiiliiliiiiil: ; @_ZL15flash_attn_tileILi80ELi80ELi4ELi1ELb0EEvPKcS1_S1_S1_S1_PKiPfP15HIP_vector_typeIfLj2EEffffjfiS5_IjLj3EEiiiiiiiiiiiliiliiiiil
; %bb.0:
	s_load_dwordx4 s[28:31], s[0:1], 0x5c
	s_load_dwordx2 s[42:43], s[0:1], 0x80
	s_load_dwordx16 s[12:27], s[0:1], 0x0
	s_load_dwordx2 s[44:45], s[0:1], 0xb8
	s_mov_b64 s[40:41], 0
	s_waitcnt lgkmcnt(0)
	v_cvt_f32_u32_e32 v1, s31
	s_sub_i32 s5, 0, s31
	v_rcp_iflag_f32_e32 v1, v1
	s_nop 0
	v_mul_f32_e32 v1, 0x4f7ffffe, v1
	v_cvt_u32_f32_e32 v1, v1
	s_nop 0
	v_readfirstlane_b32 s6, v1
	s_mul_i32 s5, s5, s6
	s_mul_hi_u32 s5, s6, s5
	s_add_i32 s6, s6, s5
	s_mul_hi_u32 s5, s4, s6
	s_mul_i32 s6, s5, s31
	s_sub_i32 s6, s4, s6
	s_add_i32 s7, s5, 1
	s_sub_i32 s8, s6, s31
	s_cmp_ge_u32 s6, s31
	s_cselect_b32 s5, s7, s5
	s_cselect_b32 s6, s8, s6
	s_add_i32 s7, s5, 1
	s_cmp_ge_u32 s6, s31
	s_cselect_b32 s33, s7, s5
	s_abs_i32 s5, s43
	v_cvt_f32_u32_e32 v1, s5
	s_mul_i32 s8, s33, s31
	s_sub_i32 s9, 0, s5
	s_sub_i32 s34, s4, s8
	v_rcp_iflag_f32_e32 v1, v1
	s_abs_i32 s7, s31
	s_xor_b32 s6, s31, s43
	s_ashr_i32 s6, s6, 31
	v_mul_f32_e32 v1, 0x4f7ffffe, v1
	v_cvt_u32_f32_e32 v1, v1
	s_nop 0
	v_readfirstlane_b32 s4, v1
	s_mul_i32 s9, s9, s4
	s_mul_hi_u32 s8, s4, s9
	s_add_i32 s4, s4, s8
	s_mul_hi_u32 s4, s7, s4
	s_mul_i32 s8, s4, s5
	s_sub_i32 s7, s7, s8
	s_add_i32 s9, s4, 1
	s_sub_i32 s8, s7, s5
	s_cmp_ge_u32 s7, s5
	s_cselect_b32 s4, s9, s4
	s_cselect_b32 s7, s8, s7
	s_add_i32 s8, s4, 1
	s_cmp_ge_u32 s7, s5
	s_cselect_b32 s4, s8, s4
	s_xor_b32 s4, s4, s6
	s_sub_i32 s46, s4, s6
	s_abs_i32 s43, s46
	v_cvt_f32_u32_e32 v1, s43
	s_sub_i32 s4, 0, s43
	s_cmp_eq_u64 s[18:19], 0
	v_rcp_iflag_f32_e32 v1, v1
	s_nop 0
	v_mul_f32_e32 v1, 0x4f7ffffe, v1
	v_cvt_u32_f32_e32 v1, v1
	s_nop 0
	v_readfirstlane_b32 s10, v1
	s_mul_i32 s4, s4, s10
	s_mul_hi_u32 s4, s10, s4
	s_cbranch_scc1 .LBB65_2
; %bb.1:
	s_abs_i32 s5, s44
	v_cvt_f32_u32_e32 v1, s5
	s_sub_i32 s11, 0, s5
	s_abs_i32 s9, s33
	s_ashr_i32 s8, s33, 31
	v_rcp_iflag_f32_e32 v1, v1
	s_load_dwordx2 s[6:7], s[0:1], 0xc8
	v_mul_f32_e32 v1, 0x4f7ffffe, v1
	v_cvt_u32_f32_e32 v1, v1
	s_nop 0
	v_readfirstlane_b32 s35, v1
	s_mul_i32 s11, s11, s35
	s_mul_hi_u32 s11, s35, s11
	s_add_i32 s35, s35, s11
	s_mul_hi_u32 s11, s9, s35
	s_mul_i32 s11, s11, s5
	s_sub_i32 s9, s9, s11
	s_sub_i32 s11, s9, s5
	s_cmp_ge_u32 s9, s5
	s_cselect_b32 s9, s11, s9
	s_sub_i32 s11, s9, s5
	s_cmp_ge_u32 s9, s5
	s_cselect_b32 s5, s11, s9
	s_xor_b32 s5, s5, s8
	s_sub_i32 s5, s5, s8
	s_ashr_i32 s8, s5, 31
	s_waitcnt lgkmcnt(0)
	s_mul_i32 s7, s5, s7
	s_mul_hi_u32 s9, s5, s6
	s_add_i32 s7, s9, s7
	s_mul_i32 s8, s8, s6
	s_add_i32 s7, s7, s8
	s_mul_i32 s5, s5, s6
	s_add_u32 s40, s18, s5
	s_addc_u32 s41, s19, s7
.LBB65_2:
	s_load_dwordx4 s[36:39], s[0:1], 0x40
	s_add_i32 s10, s10, s4
	s_load_dword s4, s[0:1], 0x50
	s_abs_i32 s18, s34
	v_mov_b32_e32 v66, 1.0
	s_waitcnt lgkmcnt(0)
	v_cmp_le_f32_e64 s[6:7], s37, 0
	s_and_b64 vcc, exec, s[6:7]
	s_cbranch_vccnz .LBB65_4
; %bb.3:
	s_sub_i32 s5, s34, s4
	s_lshl_b32 s5, s5, 1
	s_add_i32 s6, s34, 1
	s_or_b32 s7, s5, 1
	s_cmp_lt_u32 s34, s4
	s_cselect_b64 vcc, -1, 0
	s_and_b64 s[4:5], vcc, exec
	v_mov_b32_e32 v1, s39
	v_mov_b32_e32 v2, s38
	s_cselect_b32 s4, s6, s7
	v_cndmask_b32_e32 v18, v1, v2, vcc
	v_cvt_f32_i32_e32 v1, s4
	v_cmp_neq_f32_e32 vcc, 1.0, v18
	s_mov_b32 s4, 0x3f2aaaab
	s_movk_i32 s6, 0x204
	v_cndmask_b32_e32 v19, 1.0, v1, vcc
	v_cmp_eq_f32_e32 vcc, 0, v19
	s_mov_b32 s8, 0x42b17218
	s_mov_b32 s7, 0x7f800000
	v_cndmask_b32_e64 v20, |v18|, 1.0, vcc
	v_frexp_mant_f32_e32 v1, v20
	v_cmp_gt_f32_e64 s[4:5], s4, v1
	s_brev_b32 s11, -2
	s_nop 0
	v_cndmask_b32_e64 v2, 1.0, 2.0, s[4:5]
	v_mul_f32_e32 v1, v1, v2
	v_add_f32_e32 v2, 1.0, v1
	v_rcp_f32_e32 v10, v2
	v_add_f32_e32 v3, -1.0, v2
	v_sub_f32_e32 v5, v1, v3
	v_add_f32_e32 v3, -1.0, v1
	v_mul_f32_e32 v1, v3, v10
	v_mul_f32_e32 v4, v2, v1
	v_fma_f32 v6, v1, v2, -v4
	v_fmac_f32_e32 v6, v1, v5
	v_add_f32_e32 v2, v4, v6
	v_sub_f32_e32 v5, v3, v2
	v_pk_add_f32 v[8:9], v[2:3], v[4:5] neg_lo:[0,1] neg_hi:[0,1]
	v_mov_b32_e32 v7, v2
	v_pk_add_f32 v[2:3], v[8:9], v[6:7] neg_lo:[0,1] neg_hi:[0,1]
	v_mov_b32_e32 v6, 0x3e91f4c4
	v_add_f32_e32 v2, v2, v3
	v_add_f32_e32 v2, v5, v2
	v_mul_f32_e32 v3, v10, v2
	v_add_f32_e32 v2, v1, v3
	v_sub_f32_e32 v1, v2, v1
	v_sub_f32_e32 v1, v3, v1
	v_mul_f32_e32 v3, v2, v2
	v_fma_f32 v5, v2, v2, -v3
	v_add_f32_e32 v4, v1, v1
	v_fmac_f32_e32 v5, v2, v4
	v_add_f32_e32 v4, v3, v5
	v_fmac_f32_e32 v6, 0x3e76c4e1, v4
	v_fmaak_f32 v6, v4, v6, 0x3ecccdef
	v_sub_f32_e32 v3, v4, v3
	v_sub_f32_e32 v12, v5, v3
	v_mul_f32_e32 v3, v4, v6
	v_fma_f32 v5, v4, v6, -v3
	v_fmac_f32_e32 v5, v12, v6
	v_add_f32_e32 v6, v3, v5
	v_add_f32_e32 v7, 0x3f2aaaaa, v6
	v_sub_f32_e32 v3, v6, v3
	v_sub_f32_e32 v3, v5, v3
	v_add_f32_e32 v5, 0xbf2aaaaa, v7
	v_add_f32_e32 v3, 0x31739010, v3
	v_sub_f32_e32 v5, v6, v5
	v_pk_mul_f32 v[8:9], v[2:3], v[4:5]
	v_pk_add_f32 v[10:11], v[2:3], v[4:5]
	v_fma_f32 v6, v4, v2, -v8
	v_fmac_f32_e32 v6, v4, v1
	v_mov_b32_e32 v9, v11
	v_fmac_f32_e32 v6, v12, v2
	v_pk_add_f32 v[4:5], v[8:9], v[6:7]
	v_ldexp_f32 v1, v1, 1
	v_sub_f32_e32 v3, v4, v8
	v_sub_f32_e32 v3, v6, v3
	;; [unrolled: 1-line block ×3, first 2 shown]
	v_add_f32_e32 v9, v11, v6
	v_mov_b32_e32 v6, v5
	v_pk_mul_f32 v[6:7], v[4:5], v[6:7]
	v_cvt_f64_f32_e32 v[10:11], v20
	v_frexp_exp_i32_f64_e32 v7, v[10:11]
	v_subbrev_co_u32_e64 v7, s[4:5], 0, v7, s[4:5]
	v_cvt_f32_i32_e32 v7, v7
	v_fma_f32 v8, v4, v5, -v6
	v_fmac_f32_e32 v8, v4, v9
	s_mov_b32 s4, 0x3f317218
	v_mul_f32_e32 v4, 0x3f317218, v7
	v_fmac_f32_e32 v8, v3, v5
	v_fma_f32 v3, v7, s4, -v4
	v_fmamk_f32 v10, v7, 0xb102e308, v3
	v_ldexp_f32 v11, v2, 1
	v_add_f32_e32 v5, v6, v8
	v_pk_add_f32 v[2:3], v[4:5], v[10:11]
	v_mov_b32_e32 v12, v5
	v_mov_b32_e32 v13, v3
	;; [unrolled: 1-line block ×3, first 2 shown]
	v_pk_add_f32 v[6:7], v[12:13], v[6:7] neg_lo:[0,1] neg_hi:[0,1]
	v_mov_b32_e32 v9, v5
	v_pk_add_f32 v[6:7], v[8:9], v[6:7] neg_lo:[0,1] neg_hi:[0,1]
	v_mov_b32_e32 v11, v2
	v_add_f32_e32 v1, v1, v6
	v_add_f32_e32 v5, v1, v7
	v_pk_add_f32 v[6:7], v[2:3], v[4:5] neg_lo:[0,1] neg_hi:[0,1]
	v_pk_add_f32 v[8:9], v[2:3], v[4:5]
	v_mov_b32_e32 v12, v6
	v_mov_b32_e32 v13, v9
	v_pk_add_f32 v[12:13], v[10:11], v[12:13]
	v_pk_add_f32 v[6:7], v[10:11], v[6:7] neg_lo:[0,1] neg_hi:[0,1]
	v_mov_b32_e32 v4, v13
	v_pk_add_f32 v[14:15], v[4:5], v[2:3] neg_lo:[0,1] neg_hi:[0,1]
	v_mov_b32_e32 v12, v9
	v_mov_b32_e32 v1, v14
	;; [unrolled: 1-line block ×4, first 2 shown]
	v_pk_add_f32 v[16:17], v[8:9], v[0:1] neg_lo:[0,1] neg_hi:[0,1]
	v_pk_add_f32 v[2:3], v[12:13], v[2:3] neg_lo:[0,1] neg_hi:[0,1]
	v_mov_b32_e32 v10, v5
	v_pk_add_f32 v[2:3], v[10:11], v[2:3] neg_lo:[0,1] neg_hi:[0,1]
	v_mov_b32_e32 v16, v6
	v_pk_add_f32 v[8:9], v[16:17], v[2:3]
	v_mov_b32_e32 v7, v13
	v_mov_b32_e32 v10, v9
	v_pk_add_f32 v[10:11], v[8:9], v[10:11]
	s_nop 0
	v_pk_add_f32 v[4:5], v[4:5], v[10:11]
	v_mov_b32_e32 v3, v10
	v_mov_b32_e32 v9, v4
	v_pk_add_f32 v[12:13], v[8:9], v[6:7] neg_lo:[0,1] neg_hi:[0,1]
	s_nop 0
	v_sub_f32_e32 v1, v8, v12
	v_pk_add_f32 v[2:3], v[2:3], v[12:13] neg_lo:[0,1] neg_hi:[0,1]
	v_sub_f32_e32 v1, v6, v1
	v_add_f32_e32 v1, v2, v1
	v_add_f32_e32 v1, v1, v3
	;; [unrolled: 1-line block ×3, first 2 shown]
	v_sub_f32_e32 v3, v2, v4
	v_sub_f32_e32 v1, v1, v3
	v_mul_f32_e32 v3, v19, v2
	v_fma_f32 v2, v19, v2, -v3
	v_fmac_f32_e32 v2, v19, v1
	v_add_f32_e32 v1, v3, v2
	v_cmp_class_f32_e64 s[4:5], v3, s6
	v_sub_f32_e32 v4, v1, v3
	v_sub_f32_e32 v2, v2, v4
	v_cndmask_b32_e64 v1, v1, v3, s[4:5]
	v_mov_b32_e32 v3, 0x37000000
	v_cmp_eq_f32_e64 s[4:5], s8, v1
	s_nop 1
	v_cndmask_b32_e64 v3, 0, v3, s[4:5]
	v_sub_f32_e32 v4, v1, v3
	s_mov_b32 s4, 0x3fb8aa3b
	v_mul_f32_e32 v5, 0x3fb8aa3b, v4
	v_fma_f32 v6, v4, s4, -v5
	v_rndne_f32_e32 v7, v5
	v_fmamk_f32 v6, v4, 0x32a5705f, v6
	v_sub_f32_e32 v5, v5, v7
	v_add_f32_e32 v5, v5, v6
	v_exp_f32_e32 v5, v5
	v_cvt_i32_f32_e32 v6, v7
	v_cmp_neq_f32_e64 s[4:5], |v1|, s7
	s_nop 1
	v_cndmask_b32_e64 v1, 0, v2, s[4:5]
	s_mov_b32 s4, 0xc2ce8ed0
	v_ldexp_f32 v2, v5, v6
	v_cmp_ngt_f32_e64 s[4:5], s4, v4
	v_add_f32_e32 v1, v3, v1
	v_mov_b32_e32 v3, 0x7f800000
	v_cndmask_b32_e64 v2, 0, v2, s[4:5]
	v_cmp_nlt_f32_e64 s[4:5], s8, v4
	v_trunc_f32_e32 v4, v19
	v_mov_b32_e32 v5, 0x7fc00000
	v_cndmask_b32_e64 v2, v3, v2, s[4:5]
	v_fma_f32 v1, v2, v1, v2
	v_cmp_class_f32_e64 s[4:5], v2, s6
	v_cmp_gt_f32_e64 s[8:9], 0, v19
	s_nop 0
	v_cndmask_b32_e64 v1, v1, v2, s[4:5]
	v_cndmask_b32_e64 v2, v18, 1.0, vcc
	v_cmp_eq_f32_e32 vcc, v4, v19
	v_mul_f32_e32 v4, 0.5, v19
	v_trunc_f32_e32 v6, v4
	v_cmp_neq_f32_e64 s[4:5], v6, v4
	s_and_b64 s[4:5], vcc, s[4:5]
	s_nop 0
	v_cndmask_b32_e64 v4, 1.0, v2, s[4:5]
	v_bfi_b32 v1, s11, v1, v4
	v_cndmask_b32_e32 v4, v5, v1, vcc
	v_cmp_gt_f32_e32 vcc, 0, v2
	s_nop 1
	v_cndmask_b32_e32 v1, v1, v4, vcc
	v_cmp_eq_f32_e32 vcc, s7, v20
	v_cmp_eq_f32_e64 s[6:7], 0, v2
	s_xor_b64 s[8:9], s[8:9], s[6:7]
	v_cndmask_b32_e64 v3, v3, 0, s[8:9]
	v_cndmask_b32_e64 v4, 0, v2, s[4:5]
	v_bfi_b32 v3, s11, v3, v4
	s_or_b64 vcc, vcc, s[6:7]
	v_cndmask_b32_e32 v1, v1, v3, vcc
	v_cmp_o_f32_e32 vcc, v2, v2
	s_nop 1
	v_cndmask_b32_e32 v66, v5, v1, vcc
.LBB65_4:
	s_lshl_b32 s4, s2, 2
	v_bfe_u32 v55, v0, 10, 10
	v_and_b32_e32 v44, 0x3ff, v0
	s_mul_hi_u32 s6, s18, s10
	v_cmp_gt_u32_e64 s[10:11], 20, v44
	v_add_u32_e32 v45, s4, v55
	v_lshlrev_b32_e32 v40, 4, v44
	s_and_saveexec_b64 s[4:5], s[10:11]
	s_cbranch_execz .LBB65_6
; %bb.5:
	s_load_dwordx4 s[48:51], s[0:1], 0x70
	v_mul_hi_u32 v0, s28, v45
	v_add_u32_e32 v0, v45, v0
	v_lshrrev_b32_e32 v0, s29, v0
	v_mul_lo_u32 v0, v0, s30
	s_waitcnt lgkmcnt(0)
	s_mul_i32 s7, s33, s50
	s_ashr_i32 s9, s7, 31
	s_mul_i32 s8, s34, s49
	s_add_u32 s7, s12, s7
	s_addc_u32 s9, s13, s9
	s_ashr_i32 s12, s8, 31
	s_add_u32 s8, s7, s8
	s_addc_u32 s9, s9, s12
	v_sub_u32_e32 v3, v45, v0
	s_ashr_i32 s7, s48, 31
	v_mov_b32_e32 v0, s48
	v_alignbit_b32 v0, s7, v0, 2
	v_mad_u64_u32 v[0:1], s[12:13], v0, v3, 0
	v_mov_b32_e32 v2, v1
	s_lshr_b32 s7, s7, 2
	v_mad_u64_u32 v[2:3], s[12:13], s7, v3, v[2:3]
	v_mov_b32_e32 v1, v2
	v_lshl_add_u64 v[0:1], v[0:1], 2, s[8:9]
	v_mov_b32_e32 v41, 0
	v_lshl_add_u64 v[0:1], v[0:1], 0, v[40:41]
	global_load_dwordx4 v[0:3], v[0:1], off
	v_mul_u32_u24_e32 v4, 40, v55
	s_waitcnt vmcnt(0)
	v_pk_mul_f32 v[0:1], v[0:1], s[36:37] op_sel_hi:[1,0]
	v_pk_mul_f32 v[2:3], v[2:3], s[36:37] op_sel_hi:[1,0]
	v_cvt_f16_f32_e32 v5, v1
	v_cvt_f16_f32_e32 v1, v3
	;; [unrolled: 1-line block ×4, first 2 shown]
	v_lshlrev_b32_e32 v3, 1, v44
	v_add_lshl_u32 v3, v4, v3, 2
	v_pack_b32_f16 v1, v2, v1
	v_pack_b32_f16 v0, v0, v5
	ds_write_b64 v3, v[0:1] offset:3264
.LBB65_6:
	s_or_b64 exec, exec, s[4:5]
	s_ashr_i32 s35, s34, 31
	s_ashr_i32 s4, s46, 31
	s_cmp_eq_u64 s[22:23], 0
	s_waitcnt lgkmcnt(0)
	s_barrier
	s_cbranch_scc1 .LBB65_8
; %bb.7:
	s_load_dword s5, s[0:1], 0xd0
	s_mov_b32 s9, 0
	s_waitcnt lgkmcnt(0)
	s_mul_i32 s5, s5, s33
	s_add_i32 s8, s5, s2
	s_lshl_b64 s[8:9], s[8:9], 2
	s_add_u32 s8, s22, s8
	s_addc_u32 s9, s23, s9
	s_load_dword s42, s[8:9], 0x0
.LBB65_8:
	s_nop 0
	s_load_dwordx2 s[8:9], s[0:1], 0x8c
	s_load_dwordx4 s[48:51], s[0:1], 0x98
	s_load_dwordx2 s[12:13], s[0:1], 0xa8
	s_ashr_i32 s5, s33, 31
	s_ashr_i32 s37, s45, 1
	s_waitcnt lgkmcnt(0)
	s_ashr_i32 s38, s8, 2
	s_mul_i32 s7, s33, s49
	s_mul_hi_u32 s8, s33, s48
	s_add_i32 s7, s8, s7
	s_mul_i32 s8, s5, s48
	s_ashr_i32 s2, s50, 2
	s_add_i32 s7, s7, s8
	s_mul_i32 s8, s33, s48
	s_add_u32 s8, s14, s8
	s_mul_i32 s14, s6, s43
	s_addc_u32 s7, s15, s7
	s_sub_i32 s14, s18, s14
	s_xor_b32 s4, s35, s4
	s_add_i32 s15, s6, 1
	s_sub_i32 s18, s14, s43
	s_cmp_ge_u32 s14, s43
	s_cselect_b32 s6, s15, s6
	s_cselect_b32 s14, s18, s14
	s_add_i32 s15, s6, 1
	s_cmp_ge_u32 s14, s43
	s_cselect_b32 s6, s15, s6
	s_xor_b32 s6, s6, s4
	s_sub_i32 s4, s6, s4
	s_mul_i32 s6, s4, s9
	s_ashr_i32 s9, s6, 31
	s_add_u32 s39, s8, s6
	s_addc_u32 s43, s7, s9
	s_mul_i32 s6, s33, s13
	s_mul_hi_u32 s7, s33, s12
	s_add_i32 s6, s7, s6
	s_mul_i32 s5, s5, s12
	s_add_i32 s6, s6, s5
	s_mul_i32 s5, s33, s12
	s_add_u32 s5, s16, s5
	s_mul_i32 s4, s4, s51
	s_addc_u32 s6, s17, s6
	s_ashr_i32 s7, s4, 31
	s_add_u32 s22, s5, s4
	s_addc_u32 s23, s6, s7
	s_lshl_b32 s36, s3, 5
	s_sub_i32 s44, s42, 32
	s_cmp_ge_i32 s36, s44
	v_mov_b32_e32 v63, 0
	v_lshl_add_u32 v72, v55, 5, v44
	v_lshrrev_b32_e32 v71, 2, v44
	v_lshlrev_b32_e32 v65, 2, v44
	v_lshrrev_b32_e32 v67, 1, v44
	v_lshrrev_b32_e32 v41, 3, v44
	v_lshlrev_b32_e32 v62, 3, v44
	v_mbcnt_lo_u32_b32 v68, -1, 0
	s_cbranch_scc1 .LBB65_23
; %bb.9:
	v_and_b32_e32 v0, 12, v65
	v_lshl_add_u32 v1, v55, 3, v71
	v_lshlrev_b32_e32 v2, 2, v0
	s_movk_i32 s6, 0x60
	v_mad_u32_u24 v73, v1, s6, v2
	v_mul_lo_u32 v46, s38, v1
	v_mul_hi_u32 v1, s28, v45
	v_add_u32_e32 v1, v45, v1
	v_lshrrev_b32_e32 v1, s29, v1
	v_mul_lo_u32 v1, v1, s30
	v_sub_u32_e32 v1, v45, v1
	v_mad_u32_u24 v76, v72, s6, 64
	v_mad_u64_u32 v[50:51], s[6:7], v1, s37, v[44:45]
	v_mov_b32_e32 v1, 0xf40
	v_lshl_add_u32 v51, v55, 6, v1
	v_lshl_add_u32 v1, v55, 4, v67
	v_and_b32_e32 v54, 4, v65
	v_mul_u32_u24_e32 v2, 0xa0, v1
	v_lshl_or_b32 v2, v54, 2, v2
	s_cmp_lg_u64 s[40:41], 0
	v_lshl_add_u32 v3, v55, 2, v41
	v_add_u32_e32 v78, 0x80, v2
	v_and_b32_e32 v2, 28, v65
	v_mov_b32_e32 v43, 0
	s_movk_i32 s8, 0xa0
	v_mul_lo_u32 v48, s38, v72
	s_cselect_b64 s[12:13], -1, 0
	v_cmp_gt_u32_e64 s[6:7], 16, v1
	v_mul_lo_u32 v52, s2, v3
	v_mul_lo_u32 v56, s2, v1
	v_lshlrev_b32_e32 v1, 2, v2
	s_add_u32 s14, s0, 0xd0
	v_cmp_gt_u32_e64 s[4:5], 32, v72
	v_ashrrev_i32_e32 v47, 31, v46
	v_mul_u32_u24_e32 v74, 0x60, v44
	v_mul_u32_u24_e32 v75, 0xa0, v55
	v_ashrrev_i32_e32 v49, 31, v48
	v_lshl_add_u32 v77, v44, 1, v51
	v_ashrrev_i32_e32 v53, 31, v52
	v_ashrrev_i32_e32 v57, 31, v56
	v_mad_u32_u24 v79, v3, s8, v1
	s_addc_u32 s15, s1, 0
	v_mov_b32_e32 v4, 0xfeffffff
	v_lshlrev_b32_e32 v58, 2, v0
	v_mov_b32_e32 v59, v43
	v_mbcnt_hi_u32_b32 v80, -1, v68
	s_mov_b32 s45, 0x3fb8aa3b
	s_mov_b32 s46, 0xc2ce8ed0
	;; [unrolled: 1-line block ×3, first 2 shown]
	v_lshlrev_b32_e32 v42, 2, v2
	v_mov_b32_e32 v81, 0x7f800000
	v_mov_b32_e32 v64, v43
	;; [unrolled: 1-line block ×4, first 2 shown]
.LBB65_10:                              ; =>This Inner Loop Header: Depth=1
	s_mul_hi_i32 s9, s36, s38
	s_mul_i32 s8, s36, s38
	s_lshl_b64 s[8:9], s[8:9], 2
	s_add_u32 s8, s39, s8
	s_addc_u32 s9, s43, s9
	v_lshl_add_u64 v[0:1], v[48:49], 2, s[8:9]
	s_and_saveexec_b64 s[16:17], s[4:5]
	s_cbranch_execz .LBB65_12
; %bb.11:                               ;   in Loop: Header=BB65_10 Depth=1
	global_load_dwordx4 v[6:9], v[0:1], off offset:64
	s_waitcnt vmcnt(0)
	ds_write_b128 v76, v[6:9]
.LBB65_12:                              ;   in Loop: Header=BB65_10 Depth=1
	s_or_b64 exec, exec, s[16:17]
	v_lshl_add_u64 v[2:3], v[46:47], 2, s[8:9]
	v_lshl_add_u64 v[2:3], v[2:3], 0, v[58:59]
	global_load_dwordx4 v[6:9], v[2:3], off
	v_mov_b32_e32 v5, v43
	s_waitcnt vmcnt(0)
	ds_write_b128 v73, v[6:9]
	s_waitcnt lgkmcnt(0)
	s_barrier
	ds_read_b128 v[6:9], v74
	ds_read_b128 v[10:13], v75 offset:3264
	s_waitcnt lgkmcnt(0)
	;;#ASMSTART
	v_dot2_f32_f16 v5, v6, v10, v5
	;;#ASMEND
	s_nop 0
	;;#ASMSTART
	v_dot2_f32_f16 v5, v7, v11, v5
	;;#ASMEND
	s_nop 0
	;;#ASMSTART
	v_dot2_f32_f16 v5, v8, v12, v5
	;;#ASMEND
	s_nop 0
	;;#ASMSTART
	v_dot2_f32_f16 v5, v9, v13, v5
	;;#ASMEND
	ds_read_b128 v[6:9], v74 offset:16
	ds_read_b128 v[10:13], v75 offset:3280
	s_waitcnt lgkmcnt(0)
	;;#ASMSTART
	v_dot2_f32_f16 v5, v6, v10, v5
	;;#ASMEND
	s_nop 0
	;;#ASMSTART
	v_dot2_f32_f16 v5, v7, v11, v5
	;;#ASMEND
	s_nop 0
	;;#ASMSTART
	v_dot2_f32_f16 v5, v8, v12, v5
	;;#ASMEND
	s_nop 0
	;;#ASMSTART
	v_dot2_f32_f16 v5, v9, v13, v5
	;;#ASMEND
	ds_read_b128 v[6:9], v74 offset:32
	;; [unrolled: 18-line block ×4, first 2 shown]
	ds_read_b128 v[10:13], v75 offset:3328
	s_waitcnt lgkmcnt(0)
	;;#ASMSTART
	v_dot2_f32_f16 v5, v6, v10, v5
	;;#ASMEND
	s_nop 0
	;;#ASMSTART
	v_dot2_f32_f16 v5, v7, v11, v5
	;;#ASMEND
	s_nop 0
	;; [unrolled: 4-line block ×3, first 2 shown]
	;;#ASMSTART
	v_dot2_f32_f16 v5, v9, v13, v5
	;;#ASMEND
	s_barrier
	s_and_saveexec_b64 s[8:9], s[4:5]
	s_cbranch_execz .LBB65_14
; %bb.13:                               ;   in Loop: Header=BB65_10 Depth=1
	global_load_dwordx4 v[6:9], v[0:1], off offset:144
	s_waitcnt vmcnt(0)
	ds_write_b128 v76, v[6:9]
.LBB65_14:                              ;   in Loop: Header=BB65_10 Depth=1
	s_or_b64 exec, exec, s[8:9]
	global_load_dwordx4 v[0:3], v[2:3], off offset:80
	s_andn2_b64 vcc, exec, s[12:13]
	s_waitcnt vmcnt(0)
	ds_write_b128 v73, v[0:3]
	s_waitcnt lgkmcnt(0)
	s_barrier
	ds_read_b128 v[0:3], v74
	ds_read_b128 v[6:9], v75 offset:3344
	s_waitcnt lgkmcnt(0)
	;;#ASMSTART
	v_dot2_f32_f16 v5, v0, v6, v5
	;;#ASMEND
	s_nop 0
	;;#ASMSTART
	v_dot2_f32_f16 v5, v1, v7, v5
	;;#ASMEND
	s_nop 0
	;;#ASMSTART
	v_dot2_f32_f16 v5, v2, v8, v5
	;;#ASMEND
	s_nop 0
	;;#ASMSTART
	v_dot2_f32_f16 v5, v3, v9, v5
	;;#ASMEND
	ds_read_b128 v[0:3], v74 offset:16
	ds_read_b128 v[6:9], v75 offset:3360
	s_waitcnt lgkmcnt(0)
	;;#ASMSTART
	v_dot2_f32_f16 v5, v0, v6, v5
	;;#ASMEND
	s_nop 0
	;;#ASMSTART
	v_dot2_f32_f16 v5, v1, v7, v5
	;;#ASMEND
	s_nop 0
	;;#ASMSTART
	v_dot2_f32_f16 v5, v2, v8, v5
	;;#ASMEND
	s_nop 0
	;;#ASMSTART
	v_dot2_f32_f16 v5, v3, v9, v5
	;;#ASMEND
	ds_read_b128 v[0:3], v74 offset:32
	;; [unrolled: 18-line block ×4, first 2 shown]
	ds_read_b128 v[6:9], v75 offset:3408
	s_waitcnt lgkmcnt(0)
	;;#ASMSTART
	v_dot2_f32_f16 v5, v0, v6, v5
	;;#ASMEND
	s_nop 0
	;;#ASMSTART
	v_dot2_f32_f16 v5, v1, v7, v5
	;;#ASMEND
	s_nop 0
	;; [unrolled: 4-line block ×3, first 2 shown]
	;;#ASMSTART
	v_dot2_f32_f16 v5, v3, v9, v5
	;;#ASMEND
	s_cbranch_vccnz .LBB65_16
; %bb.15:                               ;   in Loop: Header=BB65_10 Depth=1
	v_add_u32_e32 v0, s36, v50
	v_ashrrev_i32_e32 v1, 31, v0
	v_lshl_add_u64 v[0:1], v[0:1], 1, s[40:41]
	flat_load_ushort v0, v[0:1]
	s_waitcnt vmcnt(0) lgkmcnt(0)
	v_cvt_f32_f16_e32 v0, v0
	v_mul_f32_e32 v0, v66, v0
	s_branch .LBB65_17
.LBB65_16:                              ;   in Loop: Header=BB65_10 Depth=1
	v_mov_b32_e32 v0, 0
.LBB65_17:                              ;   in Loop: Header=BB65_10 Depth=1
	v_add_f32_e32 v0, v5, v0
	v_add_f32_e32 v1, 0x40051340, v0
	v_max_f32_e32 v2, v4, v4
	v_max_f32_e32 v1, v2, v1
	v_and_b32_e32 v2, 0x60, v80
	v_add_u32_e32 v2, 32, v2
	v_xor_b32_e32 v3, 16, v80
	v_cmp_lt_i32_e32 vcc, v3, v2
	s_mul_hi_i32 s9, s36, s2
	s_mul_i32 s8, s36, s2
	v_cndmask_b32_e32 v3, v80, v3, vcc
	v_lshlrev_b32_e32 v3, 2, v3
	ds_bpermute_b32 v3, v3, v1
	s_lshl_b64 s[8:9], s[8:9], 2
	s_add_u32 s8, s22, s8
	s_addc_u32 s9, s23, s9
	v_lshlrev_b32_e32 v60, 2, v54
	s_waitcnt lgkmcnt(0)
	v_max_f32_e32 v3, v3, v3
	v_max_f32_e32 v1, v1, v3
	v_xor_b32_e32 v3, 8, v80
	v_cmp_lt_i32_e32 vcc, v3, v2
	s_barrier
	s_nop 0
	v_cndmask_b32_e32 v3, v80, v3, vcc
	v_lshlrev_b32_e32 v3, 2, v3
	ds_bpermute_b32 v3, v3, v1
	s_waitcnt lgkmcnt(0)
	v_max_f32_e32 v3, v3, v3
	v_max_f32_e32 v1, v1, v3
	v_xor_b32_e32 v3, 4, v80
	v_cmp_lt_i32_e32 vcc, v3, v2
	s_nop 1
	v_cndmask_b32_e32 v3, v80, v3, vcc
	v_lshlrev_b32_e32 v3, 2, v3
	ds_bpermute_b32 v3, v3, v1
	s_waitcnt lgkmcnt(0)
	v_max_f32_e32 v3, v3, v3
	v_max_f32_e32 v1, v1, v3
	v_xor_b32_e32 v3, 2, v80
	v_cmp_lt_i32_e32 vcc, v3, v2
	;; [unrolled: 9-line block ×3, first 2 shown]
	s_nop 1
	v_cndmask_b32_e32 v2, v80, v3, vcc
	v_lshlrev_b32_e32 v2, 2, v2
	ds_bpermute_b32 v2, v2, v1
	s_waitcnt lgkmcnt(0)
	v_max_f32_e32 v2, v2, v2
	v_max_f32_e32 v70, v1, v2
	v_sub_f32_e32 v0, v0, v70
	v_mul_f32_e32 v1, 0x3fb8aa3b, v0
	v_fma_f32 v2, v0, s45, -v1
	v_rndne_f32_e32 v3, v1
	v_fmac_f32_e32 v2, 0x32a5705f, v0
	v_sub_f32_e32 v1, v1, v3
	v_add_f32_e32 v1, v1, v2
	v_exp_f32_e32 v1, v1
	v_cvt_i32_f32_e32 v2, v3
	v_cmp_ngt_f32_e32 vcc, s46, v0
	v_ldexp_f32 v1, v1, v2
	s_nop 0
	v_cndmask_b32_e32 v1, 0, v1, vcc
	v_cmp_nlt_f32_e32 vcc, s47, v0
	s_nop 1
	v_cndmask_b32_e32 v69, v81, v1, vcc
	v_cvt_f16_f32_e32 v0, v69
	ds_write_b16 v77, v0
	s_and_saveexec_b64 s[16:17], s[6:7]
	s_cbranch_execz .LBB65_19
; %bb.18:                               ;   in Loop: Header=BB65_10 Depth=1
	v_lshl_add_u64 v[0:1], v[56:57], 2, s[8:9]
	v_mov_b32_e32 v61, v43
	v_lshl_add_u64 v[0:1], v[0:1], 0, v[60:61]
	global_load_dwordx4 v[0:3], v[0:1], off offset:128
	s_waitcnt vmcnt(0)
	ds_write_b128 v78, v[0:3]
.LBB65_19:                              ;   in Loop: Header=BB65_10 Depth=1
	s_or_b64 exec, exec, s[16:17]
	v_lshl_add_u64 v[0:1], v[52:53], 2, s[8:9]
	v_lshl_add_u64 v[0:1], v[0:1], 0, v[42:43]
	global_load_dwordx4 v[0:3], v[0:1], off
	v_sub_f32_e32 v85, v4, v70
	v_add_u32_e32 v84, 0x400, v62
	v_add_u32_e32 v83, 0x800, v62
	s_or_b32 s16, s36, 16
	s_mul_hi_i32 s17, s16, s2
	s_mul_i32 s16, s16, s2
	s_lshl_b64 s[16:17], s[16:17], 2
	s_add_u32 s16, s22, s16
	v_cmp_ngt_f32_e32 vcc, s46, v85
	v_cmp_nlt_f32_e64 s[8:9], s47, v85
	s_addc_u32 s17, s23, s17
	s_waitcnt vmcnt(0)
	ds_write_b128 v79, v[0:3]
	s_waitcnt lgkmcnt(0)
	s_barrier
	ds_read2_b64 v[36:39], v62 offset1:20
	ds_read_b128 v[16:19], v51
	ds_read_b128 v[0:3], v51 offset:16
	ds_read2_b64 v[32:35], v62 offset0:40 offset1:60
	ds_read2_b64 v[28:31], v62 offset0:80 offset1:100
	;; [unrolled: 1-line block ×7, first 2 shown]
	s_waitcnt lgkmcnt(0)
	s_barrier
	s_and_saveexec_b64 s[18:19], s[6:7]
	s_cbranch_execz .LBB65_21
; %bb.20:                               ;   in Loop: Header=BB65_10 Depth=1
	v_lshl_add_u64 v[86:87], v[56:57], 2, s[16:17]
	v_mov_b32_e32 v61, v43
	v_lshl_add_u64 v[60:61], v[86:87], 0, v[60:61]
	global_load_dwordx4 v[86:89], v[60:61], off offset:128
	s_waitcnt vmcnt(0)
	ds_write_b128 v78, v[86:89]
.LBB65_21:                              ;   in Loop: Header=BB65_10 Depth=1
	s_or_b64 exec, exec, s[18:19]
	v_lshl_add_u64 v[60:61], v[52:53], 2, s[16:17]
	v_lshl_add_u64 v[60:61], v[60:61], 0, v[42:43]
	global_load_dwordx4 v[86:89], v[60:61], off
	v_mul_f32_e32 v60, 0x3fb8aa3b, v85
	v_fma_f32 v61, v85, s45, -v60
	v_rndne_f32_e32 v90, v60
	v_fmac_f32_e32 v61, 0x32a5705f, v85
	v_sub_f32_e32 v60, v60, v90
	v_add_f32_e32 v60, v60, v61
	v_cvt_i32_f32_e32 v85, v90
	v_exp_f32_e32 v60, v60
	v_pk_mul_f16 v36, v36, v16 op_sel_hi:[1,0]
	v_pk_mul_f16 v37, v37, v16 op_sel_hi:[1,0]
	v_ldexp_f32 v60, v60, v85
	v_cndmask_b32_e32 v60, 0, v60, vcc
	v_cndmask_b32_e64 v60, v81, v60, s[8:9]
	v_cvt_f16_f32_e32 v61, v60
	v_fmac_f32_e32 v69, v82, v60
	v_pk_fma_f16 v36, v64, v61, v36 op_sel_hi:[1,0,1]
	v_pk_fma_f16 v37, v63, v61, v37 op_sel_hi:[1,0,1]
	v_pk_fma_f16 v36, v38, v16, v36 op_sel:[0,1,0]
	v_pk_fma_f16 v16, v39, v16, v37 op_sel:[0,1,0]
	v_pk_fma_f16 v32, v32, v17, v36 op_sel_hi:[1,0,1]
	v_pk_fma_f16 v16, v33, v17, v16 op_sel_hi:[1,0,1]
	v_pk_fma_f16 v32, v34, v17, v32 op_sel:[0,1,0]
	v_pk_fma_f16 v16, v35, v17, v16 op_sel:[0,1,0]
	;; [unrolled: 4-line block ×8, first 2 shown]
	s_waitcnt vmcnt(0)
	ds_write_b128 v79, v[86:89]
	s_waitcnt lgkmcnt(0)
	s_barrier
	ds_read2_b64 v[8:11], v62 offset1:20
	ds_read_b128 v[12:15], v51 offset:32
	ds_read_b128 v[16:19], v51 offset:48
	ds_read2_b64 v[20:23], v62 offset0:40 offset1:60
	ds_read2_b64 v[24:27], v62 offset0:80 offset1:100
	;; [unrolled: 1-line block ×7, first 2 shown]
	s_waitcnt lgkmcnt(8)
	v_pk_fma_f16 v1, v8, v12, v1 op_sel_hi:[1,0,1]
	v_pk_fma_f16 v0, v9, v12, v0 op_sel_hi:[1,0,1]
	v_pk_fma_f16 v1, v10, v12, v1 op_sel:[0,1,0]
	v_pk_fma_f16 v0, v11, v12, v0 op_sel:[0,1,0]
	s_waitcnt lgkmcnt(6)
	v_pk_fma_f16 v1, v20, v13, v1 op_sel_hi:[1,0,1]
	v_pk_fma_f16 v0, v21, v13, v0 op_sel_hi:[1,0,1]
	v_pk_fma_f16 v1, v22, v13, v1 op_sel:[0,1,0]
	v_pk_fma_f16 v0, v23, v13, v0 op_sel:[0,1,0]
	;; [unrolled: 5-line block ×4, first 2 shown]
	s_waitcnt lgkmcnt(0)
	s_barrier
	s_load_dword s8, s[14:15], 0x4
	v_pk_fma_f16 v1, v32, v16, v1 op_sel_hi:[1,0,1]
	v_pk_fma_f16 v0, v33, v16, v0 op_sel_hi:[1,0,1]
	v_pk_fma_f16 v1, v34, v16, v1 op_sel:[0,1,0]
	v_pk_fma_f16 v0, v35, v16, v0 op_sel:[0,1,0]
	v_pk_fma_f16 v1, v36, v17, v1 op_sel_hi:[1,0,1]
	v_pk_fma_f16 v0, v37, v17, v0 op_sel_hi:[1,0,1]
	v_pk_fma_f16 v1, v38, v17, v1 op_sel:[0,1,0]
	v_pk_fma_f16 v0, v39, v17, v0 op_sel:[0,1,0]
	v_pk_fma_f16 v1, v84, v18, v1 op_sel_hi:[1,0,1]
	v_pk_fma_f16 v0, v85, v18, v0 op_sel_hi:[1,0,1]
	s_waitcnt lgkmcnt(0)
	s_lshl_b32 s8, s8, 5
	v_pk_fma_f16 v1, v86, v18, v1 op_sel:[0,1,0]
	v_pk_fma_f16 v0, v87, v18, v0 op_sel:[0,1,0]
	s_add_i32 s36, s8, s36
	v_pk_fma_f16 v1, v88, v19, v1 op_sel_hi:[1,0,1]
	v_pk_fma_f16 v0, v89, v19, v0 op_sel_hi:[1,0,1]
	s_cmp_lt_i32 s36, s44
	v_pk_fma_f16 v64, v90, v19, v1 op_sel:[0,1,0]
	v_pk_fma_f16 v63, v91, v19, v0 op_sel:[0,1,0]
	s_cbranch_scc0 .LBB65_24
; %bb.22:                               ;   in Loop: Header=BB65_10 Depth=1
	v_mov_b32_e32 v4, v70
	v_mov_b32_e32 v82, v69
	s_branch .LBB65_10
.LBB65_23:
	v_mov_b32_e32 v70, 0xfeffffff
	v_mov_b32_e32 v69, 0
	;; [unrolled: 1-line block ×3, first 2 shown]
.LBB65_24:
	s_cmp_gt_i32 s42, s36
	s_cbranch_scc1 .LBB65_26
; %bb.25:
	v_mbcnt_hi_u32_b32 v43, -1, v68
	v_and_b32_e32 v0, 0x60, v43
	v_add_u32_e32 v47, 32, v0
	v_xor_b32_e32 v56, 16, v43
	v_xor_b32_e32 v57, 8, v43
	;; [unrolled: 1-line block ×5, first 2 shown]
	v_mov_b32_e32 v46, v70
	s_cbranch_execz .LBB65_27
	s_branch .LBB65_41
.LBB65_26:
                                        ; implicit-def: $vgpr43
                                        ; implicit-def: $vgpr47
                                        ; implicit-def: $vgpr56
                                        ; implicit-def: $vgpr57
                                        ; implicit-def: $vgpr58
                                        ; implicit-def: $vgpr59
                                        ; implicit-def: $vgpr60
	v_mov_b32_e32 v46, v70
.LBB65_27:
	s_mul_hi_i32 s5, s36, s38
	s_mul_i32 s4, s36, s38
	s_sub_i32 s14, s42, s36
	s_lshl_b64 s[4:5], s[4:5], 2
	s_add_u32 s6, s39, s4
	s_mov_b64 s[8:9], src_private_base
	v_mul_lo_u32 v0, s38, v72
	s_addc_u32 s7, s43, s5
	s_movk_i32 s8, 0x60
	v_ashrrev_i32_e32 v1, 31, v0
	v_cmp_gt_u32_e64 s[4:5], 32, v72
	v_mad_u32_u24 v10, v72, s8, 64
	v_cmp_gt_i32_e32 vcc, s14, v72
	v_lshl_add_u64 v[4:5], v[0:1], 2, s[6:7]
	s_and_saveexec_b64 s[12:13], s[4:5]
	s_cbranch_execz .LBB65_29
; %bb.28:
	v_mov_b32_e32 v0, 0
	v_mov_b32_e32 v1, v0
	;; [unrolled: 1-line block ×3, first 2 shown]
	scratch_store_dword off, v0, off
	scratch_store_dwordx3 off, v[0:2], off offset:4
	s_nop 1
	v_lshl_add_u64 v[0:1], v[4:5], 0, 64
	v_mov_b32_e32 v2, s9
	v_cndmask_b32_e32 v1, v2, v1, vcc
	v_mov_b32_e32 v2, 0
	v_cndmask_b32_e32 v0, v2, v0, vcc
	flat_load_dwordx4 v[0:3], v[0:1]
	s_waitcnt vmcnt(0) lgkmcnt(0)
	ds_write_b128 v10, v[0:3]
.LBB65_29:
	s_or_b64 exec, exec, s[12:13]
	v_lshl_add_u32 v3, v55, 3, v71
	v_mul_lo_u32 v6, s38, v3
	v_ashrrev_i32_e32 v7, 31, v6
	v_mov_b32_e32 v0, 0
	v_and_b32_e32 v12, 48, v40
	v_lshl_add_u64 v[6:7], v[6:7], 2, s[6:7]
	v_mov_b32_e32 v13, v0
	v_mov_b32_e32 v11, 0
	;; [unrolled: 1-line block ×4, first 2 shown]
	v_lshl_add_u64 v[6:7], v[6:7], 0, v[12:13]
	v_mov_b32_e32 v8, s9
	v_cmp_gt_i32_e64 s[6:7], s14, v3
	scratch_store_dword off, v0, off
	scratch_store_dwordx3 off, v[0:2], off offset:4
	v_cndmask_b32_e64 v9, v8, v7, s[6:7]
	v_cndmask_b32_e64 v8, v11, v6, s[6:7]
	flat_load_dwordx4 v[14:17], v[8:9]
	v_mul_u32_u24_e32 v9, 0x60, v44
	v_mad_u32_u24 v12, v3, s8, v12
	v_mul_u32_u24_e32 v8, 0xa0, v55
	v_mov_b32_e32 v3, v0
	s_waitcnt vmcnt(0) lgkmcnt(0)
	ds_write_b128 v12, v[14:17]
	s_waitcnt lgkmcnt(0)
	s_barrier
	ds_read_b128 v[14:17], v9
	ds_read_b128 v[18:21], v8 offset:3264
	s_waitcnt lgkmcnt(0)
	;;#ASMSTART
	v_dot2_f32_f16 v3, v14, v18, v3
	;;#ASMEND
	s_nop 0
	;;#ASMSTART
	v_dot2_f32_f16 v3, v15, v19, v3
	;;#ASMEND
	s_nop 0
	;;#ASMSTART
	v_dot2_f32_f16 v3, v16, v20, v3
	;;#ASMEND
	s_nop 0
	;;#ASMSTART
	v_dot2_f32_f16 v3, v17, v21, v3
	;;#ASMEND
	ds_read_b128 v[14:17], v9 offset:16
	ds_read_b128 v[18:21], v8 offset:3280
	s_waitcnt lgkmcnt(0)
	;;#ASMSTART
	v_dot2_f32_f16 v3, v14, v18, v3
	;;#ASMEND
	s_nop 0
	;;#ASMSTART
	v_dot2_f32_f16 v3, v15, v19, v3
	;;#ASMEND
	s_nop 0
	;;#ASMSTART
	v_dot2_f32_f16 v3, v16, v20, v3
	;;#ASMEND
	s_nop 0
	;;#ASMSTART
	v_dot2_f32_f16 v3, v17, v21, v3
	;;#ASMEND
	ds_read_b128 v[14:17], v9 offset:32
	;; [unrolled: 18-line block ×4, first 2 shown]
	ds_read_b128 v[18:21], v8 offset:3328
	s_waitcnt lgkmcnt(0)
	;;#ASMSTART
	v_dot2_f32_f16 v3, v14, v18, v3
	;;#ASMEND
	s_nop 0
	;;#ASMSTART
	v_dot2_f32_f16 v3, v15, v19, v3
	;;#ASMEND
	s_nop 0
	;;#ASMSTART
	v_dot2_f32_f16 v3, v16, v20, v3
	;;#ASMEND
	s_nop 0
	;;#ASMSTART
	v_dot2_f32_f16 v3, v17, v21, v3
	;;#ASMEND
	s_barrier
	s_and_saveexec_b64 s[12:13], s[4:5]
	s_cbranch_execz .LBB65_31
; %bb.30:
	s_mov_b64 s[4:5], 0x90
	v_lshl_add_u64 v[4:5], v[4:5], 0, s[4:5]
	v_mov_b32_e32 v13, s9
	scratch_store_dword off, v0, off
	scratch_store_dwordx3 off, v[0:2], off offset:4
	v_cndmask_b32_e32 v5, v13, v5, vcc
	v_cndmask_b32_e32 v4, v11, v4, vcc
	flat_load_dwordx4 v[14:17], v[4:5]
	s_waitcnt vmcnt(0) lgkmcnt(0)
	ds_write_b128 v10, v[14:17]
.LBB65_31:
	s_or_b64 exec, exec, s[12:13]
	s_mov_b64 s[4:5], 0x50
	scratch_store_dword off, v0, off
	scratch_store_dwordx3 off, v[0:2], off offset:4
	v_cmp_gt_i32_e32 vcc, s14, v44
	s_nop 0
	v_lshl_add_u64 v[0:1], v[6:7], 0, s[4:5]
	v_mov_b32_e32 v2, s9
	v_cndmask_b32_e64 v1, v2, v1, s[6:7]
	v_cndmask_b32_e64 v0, v11, v0, s[6:7]
	flat_load_dwordx4 v[4:7], v[0:1]
	v_mov_b32_e32 v0, v70
	s_waitcnt vmcnt(0) lgkmcnt(0)
	ds_write_b128 v12, v[4:7]
	s_waitcnt lgkmcnt(0)
	s_barrier
	ds_read_b128 v[4:7], v9
	ds_read_b128 v[10:13], v8 offset:3344
	s_waitcnt lgkmcnt(0)
	;;#ASMSTART
	v_dot2_f32_f16 v3, v4, v10, v3
	;;#ASMEND
	s_nop 0
	;;#ASMSTART
	v_dot2_f32_f16 v3, v5, v11, v3
	;;#ASMEND
	s_nop 0
	;;#ASMSTART
	v_dot2_f32_f16 v3, v6, v12, v3
	;;#ASMEND
	s_nop 0
	;;#ASMSTART
	v_dot2_f32_f16 v3, v7, v13, v3
	;;#ASMEND
	ds_read_b128 v[4:7], v9 offset:16
	ds_read_b128 v[10:13], v8 offset:3360
	s_waitcnt lgkmcnt(0)
	;;#ASMSTART
	v_dot2_f32_f16 v3, v4, v10, v3
	;;#ASMEND
	s_nop 0
	;;#ASMSTART
	v_dot2_f32_f16 v3, v5, v11, v3
	;;#ASMEND
	s_nop 0
	;;#ASMSTART
	v_dot2_f32_f16 v3, v6, v12, v3
	;;#ASMEND
	s_nop 0
	;;#ASMSTART
	v_dot2_f32_f16 v3, v7, v13, v3
	;;#ASMEND
	ds_read_b128 v[4:7], v9 offset:32
	;; [unrolled: 18-line block ×4, first 2 shown]
	ds_read_b128 v[8:11], v8 offset:3408
	s_waitcnt lgkmcnt(0)
	;;#ASMSTART
	v_dot2_f32_f16 v3, v4, v8, v3
	;;#ASMEND
	s_nop 0
	;;#ASMSTART
	v_dot2_f32_f16 v3, v5, v9, v3
	;;#ASMEND
	s_nop 0
	;;#ASMSTART
	v_dot2_f32_f16 v3, v6, v10, v3
	;;#ASMEND
	s_nop 0
	;;#ASMSTART
	v_dot2_f32_f16 v3, v7, v11, v3
	;;#ASMEND
	s_and_saveexec_b64 s[4:5], vcc
	s_cbranch_execz .LBB65_36
; %bb.32:
	s_cmp_eq_u64 s[40:41], 0
	s_cbranch_scc1 .LBB65_34
; %bb.33:
	v_mul_hi_u32 v0, s28, v45
	v_add_u32_e32 v0, v45, v0
	v_lshrrev_b32_e32 v0, s29, v0
	v_mul_lo_u32 v0, v0, s30
	v_sub_u32_e32 v0, v45, v0
	v_mul_lo_u32 v0, v0, s37
	v_add3_u32 v0, v0, v44, s36
	v_ashrrev_i32_e32 v1, 31, v0
	v_lshl_add_u64 v[0:1], v[0:1], 1, s[40:41]
	flat_load_ushort v0, v[0:1]
	s_waitcnt vmcnt(0) lgkmcnt(0)
	v_cvt_f32_f16_e32 v0, v0
	v_mul_f32_e32 v0, v66, v0
	s_branch .LBB65_35
.LBB65_34:
	v_mov_b32_e32 v0, 0
.LBB65_35:
	v_add_f32_e32 v3, v3, v0
	v_add_f32_e32 v0, 0x40051340, v3
	v_max_f32_e32 v1, v70, v70
	v_max_f32_e32 v0, v1, v0
.LBB65_36:
	s_or_b64 exec, exec, s[4:5]
	v_mbcnt_hi_u32_b32 v43, -1, v68
	v_and_b32_e32 v1, 0x60, v43
	v_add_u32_e32 v47, 32, v1
	v_xor_b32_e32 v56, 16, v43
	v_cmp_lt_i32_e32 vcc, v56, v47
	v_xor_b32_e32 v57, 8, v43
	v_xor_b32_e32 v58, 4, v43
	v_cndmask_b32_e32 v1, v43, v56, vcc
	v_lshlrev_b32_e32 v1, 2, v1
	ds_bpermute_b32 v1, v1, v0
	v_max_f32_e32 v0, v0, v0
	v_cmp_lt_i32_e32 vcc, v57, v47
	v_xor_b32_e32 v59, 2, v43
	v_xor_b32_e32 v60, 1, v43
	s_waitcnt lgkmcnt(0)
	v_max_f32_e32 v1, v1, v1
	v_max_f32_e32 v0, v0, v1
	v_cndmask_b32_e32 v1, v43, v57, vcc
	v_lshlrev_b32_e32 v1, 2, v1
	ds_bpermute_b32 v1, v1, v0
	v_cmp_lt_i32_e32 vcc, v58, v47
	s_mov_b32 s15, 0x3fb8aa3b
	s_mov_b32 s16, 0xc2ce8ed0
	;; [unrolled: 1-line block ×3, first 2 shown]
	s_waitcnt lgkmcnt(0)
	v_max_f32_e32 v1, v1, v1
	v_max_f32_e32 v0, v0, v1
	v_cndmask_b32_e32 v1, v43, v58, vcc
	v_lshlrev_b32_e32 v1, 2, v1
	ds_bpermute_b32 v1, v1, v0
	v_cmp_lt_i32_e32 vcc, v59, v47
	v_lshl_add_u32 v68, v55, 4, v67
	s_mul_hi_i32 s5, s36, s2
	s_mul_i32 s4, s36, s2
	s_waitcnt lgkmcnt(0)
	v_max_f32_e32 v1, v1, v1
	v_max_f32_e32 v0, v0, v1
	v_cndmask_b32_e32 v1, v43, v59, vcc
	v_lshlrev_b32_e32 v1, 2, v1
	ds_bpermute_b32 v1, v1, v0
	v_cmp_lt_i32_e32 vcc, v60, v47
	s_waitcnt lgkmcnt(0)
	s_barrier
	v_max_f32_e32 v1, v1, v1
	v_max_f32_e32 v0, v0, v1
	v_cndmask_b32_e32 v1, v43, v60, vcc
	v_lshlrev_b32_e32 v1, 2, v1
	ds_bpermute_b32 v1, v1, v0
	s_lshl_b64 s[4:5], s[4:5], 2
	s_mov_b64 s[6:7], src_private_base
	v_mul_lo_u32 v48, s2, v68
	s_add_u32 s8, s22, s4
	s_waitcnt lgkmcnt(0)
	v_max_f32_e32 v1, v1, v1
	v_max_f32_e32 v46, v0, v1
	v_sub_f32_e32 v1, v3, v46
	v_mul_f32_e32 v0, 0x3fb8aa3b, v1
	v_fma_f32 v2, v1, s15, -v0
	v_rndne_f32_e32 v3, v0
	v_fmac_f32_e32 v2, 0x32a5705f, v1
	v_sub_f32_e32 v0, v0, v3
	v_add_f32_e32 v0, v0, v2
	v_exp_f32_e32 v0, v0
	v_cvt_i32_f32_e32 v2, v3
	v_cmp_ngt_f32_e32 vcc, s16, v1
	s_movk_i32 s6, 0xa0
	v_ashrrev_i32_e32 v49, 31, v48
	v_ldexp_f32 v0, v0, v2
	v_cndmask_b32_e32 v2, 0, v0, vcc
	v_mov_b32_e32 v0, 0x7f800000
	v_cmp_nlt_f32_e32 vcc, s17, v1
	s_addc_u32 s9, s23, s5
	s_nop 0
	v_cndmask_b32_e32 v1, v0, v2, vcc
	v_cmp_gt_u32_e32 vcc, s14, v44
	v_mov_b32_e32 v2, 0xf40
	v_lshl_add_u32 v66, v55, 6, v2
	v_cndmask_b32_e32 v61, 0, v1, vcc
	v_cvt_f16_f32_e32 v1, v61
	v_lshl_add_u32 v2, v44, 1, v66
	v_cmp_gt_u32_e32 vcc, 16, v68
	ds_write_b16 v2, v1
	v_and_b32_e32 v1, 4, v65
	v_mul_u32_u24_e32 v2, 0xa0, v68
	v_lshl_or_b32 v2, v1, 2, v2
	v_add_u32_e32 v71, 0x80, v2
	v_lshlrev_b32_e32 v52, 2, v1
	s_and_saveexec_b64 s[12:13], vcc
	s_cbranch_execz .LBB65_38
; %bb.37:
	v_mov_b32_e32 v2, 0
	v_mov_b32_e32 v3, v2
	;; [unrolled: 1-line block ×3, first 2 shown]
	scratch_store_dwordx3 off, v[2:4], off offset:4
	v_mov_b32_e32 v53, v2
	scratch_store_dword off, v2, off
	v_lshl_add_u64 v[4:5], v[48:49], 2, s[8:9]
	v_lshl_add_u64 v[2:3], v[4:5], 0, v[52:53]
	s_mov_b64 s[4:5], 0x80
	v_lshl_add_u64 v[2:3], v[2:3], 0, s[4:5]
	v_mov_b32_e32 v1, s7
	v_cmp_gt_i32_e64 s[4:5], s14, v68
	s_nop 1
	v_cndmask_b32_e64 v3, v1, v3, s[4:5]
	v_mov_b32_e32 v1, 0
	v_cndmask_b32_e64 v2, v1, v2, s[4:5]
	flat_load_dwordx4 v[2:5], v[2:3]
	s_waitcnt vmcnt(0) lgkmcnt(0)
	ds_write_b128 v71, v[2:5]
.LBB65_38:
	s_or_b64 exec, exec, s[12:13]
	v_lshl_add_u32 v73, v55, 2, v41
	v_mul_lo_u32 v50, s2, v73
	v_ashrrev_i32_e32 v51, 31, v50
	v_mov_b32_e32 v40, 0
	v_and_b32_e32 v1, 28, v65
	v_lshl_add_u64 v[2:3], v[50:51], 2, s[8:9]
	v_lshlrev_b32_e32 v54, 2, v1
	v_mov_b32_e32 v55, v40
	v_mov_b32_e32 v72, 0
	;; [unrolled: 1-line block ×4, first 2 shown]
	v_lshl_add_u64 v[2:3], v[2:3], 0, v[54:55]
	v_mov_b32_e32 v1, s7
	v_cmp_gt_i32_e64 s[4:5], s14, v73
	scratch_store_dword off, v40, off
	scratch_store_dwordx3 off, v[40:42], off offset:4
	v_cndmask_b32_e64 v3, v1, v3, s[4:5]
	v_cndmask_b32_e64 v2, v72, v2, s[4:5]
	flat_load_dwordx4 v[2:5], v[2:3]
	v_sub_f32_e32 v1, v70, v46
	v_mul_f32_e32 v6, 0x3fb8aa3b, v1
	v_fma_f32 v7, v1, s15, -v6
	v_rndne_f32_e32 v8, v6
	v_fmac_f32_e32 v7, 0x32a5705f, v1
	v_sub_f32_e32 v6, v6, v8
	v_add_f32_e32 v6, v6, v7
	v_cvt_i32_f32_e32 v8, v8
	v_exp_f32_e32 v6, v6
	v_cmp_ngt_f32_e64 s[4:5], s16, v1
	v_mad_u32_u24 v70, v73, s6, v54
	v_add_u32_e32 v67, 0x400, v62
	v_ldexp_f32 v6, v6, v8
	v_cndmask_b32_e64 v6, 0, v6, s[4:5]
	v_cmp_nlt_f32_e64 s[4:5], s17, v1
	v_add_u32_e32 v65, 0x800, v62
	s_or_b32 s8, s36, 16
	v_cndmask_b32_e64 v74, v0, v6, s[4:5]
	s_mul_hi_i32 s9, s8, s2
	s_mul_i32 s8, s8, s2
	s_lshl_b64 s[4:5], s[8:9], 2
	s_add_u32 s4, s22, s4
	s_addc_u32 s5, s23, s5
	s_add_i32 s14, s14, -16
	s_waitcnt vmcnt(0) lgkmcnt(0)
	ds_write_b128 v70, v[2:5]
	s_waitcnt lgkmcnt(0)
	s_barrier
	ds_read2_b64 v[36:39], v62 offset1:20
	ds_read_b128 v[16:19], v66
	ds_read_b128 v[0:3], v66 offset:16
	ds_read2_b64 v[32:35], v62 offset0:40 offset1:60
	ds_read2_b64 v[28:31], v62 offset0:80 offset1:100
	;; [unrolled: 1-line block ×7, first 2 shown]
	s_waitcnt lgkmcnt(0)
	s_barrier
	s_and_saveexec_b64 s[8:9], vcc
	s_cbranch_execz .LBB65_40
; %bb.39:
	v_lshl_add_u64 v[48:49], v[48:49], 2, s[4:5]
	v_mov_b32_e32 v53, v40
	v_lshl_add_u64 v[48:49], v[48:49], 0, v[52:53]
	s_mov_b64 s[12:13], 0x80
	v_lshl_add_u64 v[48:49], v[48:49], 0, s[12:13]
	v_mov_b32_e32 v52, s7
	v_cmp_gt_i32_e32 vcc, s14, v68
	scratch_store_dword off, v40, off
	scratch_store_dwordx3 off, v[40:42], off offset:4
	v_cndmask_b32_e32 v49, v52, v49, vcc
	v_cndmask_b32_e32 v48, v72, v48, vcc
	flat_load_dwordx4 v[76:79], v[48:49]
	s_waitcnt vmcnt(0) lgkmcnt(0)
	ds_write_b128 v71, v[76:79]
.LBB65_40:
	s_or_b64 exec, exec, s[8:9]
	scratch_store_dword off, v40, off
	scratch_store_dwordx3 off, v[40:42], off offset:4
	v_cmp_gt_i32_e32 vcc, s14, v73
	v_pk_mul_f16 v36, v36, v16 op_sel_hi:[1,0]
	v_lshl_add_u64 v[40:41], v[50:51], 2, s[4:5]
	v_lshl_add_u64 v[40:41], v[40:41], 0, v[54:55]
	v_mov_b32_e32 v42, s7
	v_cndmask_b32_e32 v41, v42, v41, vcc
	v_cndmask_b32_e32 v40, v72, v40, vcc
	flat_load_dwordx4 v[48:51], v[40:41]
	v_cvt_f16_f32_e32 v40, v74
	v_pk_mul_f16 v37, v37, v16 op_sel_hi:[1,0]
	v_fmac_f32_e32 v61, v69, v74
	v_mov_b32_e32 v69, v61
	v_pk_fma_f16 v36, v64, v40, v36 op_sel_hi:[1,0,1]
	v_pk_fma_f16 v37, v63, v40, v37 op_sel_hi:[1,0,1]
	v_pk_fma_f16 v36, v38, v16, v36 op_sel:[0,1,0]
	v_pk_fma_f16 v16, v39, v16, v37 op_sel:[0,1,0]
	v_pk_fma_f16 v32, v32, v17, v36 op_sel_hi:[1,0,1]
	v_pk_fma_f16 v16, v33, v17, v16 op_sel_hi:[1,0,1]
	v_pk_fma_f16 v32, v34, v17, v32 op_sel:[0,1,0]
	v_pk_fma_f16 v16, v35, v17, v16 op_sel:[0,1,0]
	;; [unrolled: 4-line block ×8, first 2 shown]
	s_waitcnt vmcnt(0) lgkmcnt(0)
	ds_write_b128 v70, v[48:51]
	s_waitcnt lgkmcnt(0)
	s_barrier
	ds_read2_b64 v[0:3], v62 offset1:20
	ds_read_b128 v[4:7], v66 offset:32
	ds_read_b128 v[8:11], v66 offset:48
	ds_read2_b64 v[12:15], v62 offset0:40 offset1:60
	ds_read2_b64 v[16:19], v62 offset0:80 offset1:100
	;; [unrolled: 1-line block ×7, first 2 shown]
	s_waitcnt lgkmcnt(8)
	v_pk_fma_f16 v0, v0, v4, v40 op_sel_hi:[1,0,1]
	v_pk_fma_f16 v1, v1, v4, v41 op_sel_hi:[1,0,1]
	v_pk_fma_f16 v0, v2, v4, v0 op_sel:[0,1,0]
	v_pk_fma_f16 v1, v3, v4, v1 op_sel:[0,1,0]
	s_waitcnt lgkmcnt(6)
	v_pk_fma_f16 v0, v12, v5, v0 op_sel_hi:[1,0,1]
	v_pk_fma_f16 v1, v13, v5, v1 op_sel_hi:[1,0,1]
	v_pk_fma_f16 v0, v14, v5, v0 op_sel:[0,1,0]
	v_pk_fma_f16 v1, v15, v5, v1 op_sel:[0,1,0]
	;; [unrolled: 5-line block ×8, first 2 shown]
	s_barrier
.LBB65_41:
	v_cmp_lt_i32_e32 vcc, v56, v47
	s_cmp_eq_u64 s[20:21], 0
	s_cselect_b64 s[4:5], -1, 0
	v_cndmask_b32_e32 v0, v43, v56, vcc
	v_lshlrev_b32_e32 v0, 2, v0
	ds_bpermute_b32 v0, v0, v69
	v_cmp_lt_i32_e32 vcc, v57, v47
	s_cmp_lg_u32 s3, 0
	s_cselect_b64 s[6:7], -1, 0
	v_cndmask_b32_e32 v1, v43, v57, vcc
	v_lshlrev_b32_e32 v1, 2, v1
	s_waitcnt lgkmcnt(0)
	v_add_f32_e32 v0, v69, v0
	ds_bpermute_b32 v1, v1, v0
	v_cmp_lt_i32_e32 vcc, v58, v47
	s_or_b64 s[4:5], s[6:7], s[4:5]
	s_waitcnt lgkmcnt(0)
	v_add_f32_e32 v0, v0, v1
	v_cndmask_b32_e32 v2, v43, v58, vcc
	v_lshlrev_b32_e32 v2, 2, v2
	ds_bpermute_b32 v1, v2, v0
	v_cmp_lt_i32_e32 vcc, v59, v47
	s_waitcnt lgkmcnt(0)
	v_add_f32_e32 v0, v0, v1
	v_cndmask_b32_e32 v2, v43, v59, vcc
	v_lshlrev_b32_e32 v2, 2, v2
	ds_bpermute_b32 v1, v2, v0
	v_cmp_lt_i32_e32 vcc, v60, v47
	s_waitcnt lgkmcnt(0)
	v_add_f32_e32 v0, v0, v1
	v_cndmask_b32_e32 v2, v43, v60, vcc
	v_lshlrev_b32_e32 v2, 2, v2
	ds_bpermute_b32 v1, v2, v0
	s_and_b64 vcc, exec, s[4:5]
	s_waitcnt lgkmcnt(0)
	v_add_f32_e32 v47, v0, v1
	s_cbranch_vccnz .LBB65_44
; %bb.42:
	s_lshl_b64 s[4:5], s[34:35], 2
	s_add_u32 s4, s20, s4
	s_addc_u32 s5, s21, s5
	v_mov_b32_e32 v0, 0
	global_load_dword v1, v0, s[4:5]
	v_max_f32_e32 v0, v46, v46
	s_mov_b32 s2, 0x3fb8aa3b
	s_mov_b32 s4, 0xc2ce8ed0
	s_waitcnt vmcnt(0)
	v_max_f32_e32 v2, v1, v1
	v_max_f32_e32 v0, v0, v2
	v_sub_f32_e32 v2, v46, v0
	v_sub_f32_e32 v1, v1, v0
	v_mul_f32_e32 v3, 0x3fb8aa3b, v2
	v_mul_f32_e32 v4, 0x3fb8aa3b, v1
	v_fma_f32 v5, v2, s2, -v3
	v_rndne_f32_e32 v6, v3
	v_fma_f32 v7, v1, s2, -v4
	v_rndne_f32_e32 v8, v4
	v_fmac_f32_e32 v5, 0x32a5705f, v2
	v_sub_f32_e32 v3, v3, v6
	v_fmac_f32_e32 v7, 0x32a5705f, v1
	v_sub_f32_e32 v4, v4, v8
	v_add_f32_e32 v3, v3, v5
	v_cvt_i32_f32_e32 v6, v6
	v_add_f32_e32 v4, v4, v7
	v_exp_f32_e32 v3, v3
	v_cvt_i32_f32_e32 v8, v8
	v_exp_f32_e32 v4, v4
	v_cmp_ngt_f32_e32 vcc, s4, v2
	v_ldexp_f32 v3, v3, v6
	s_mov_b32 s2, 0x42b17218
	v_ldexp_f32 v4, v4, v8
	v_cndmask_b32_e32 v3, 0, v3, vcc
	v_cmp_ngt_f32_e32 vcc, s4, v1
	v_mov_b32_e32 v5, 0x7f800000
	s_nop 0
	v_cndmask_b32_e32 v4, 0, v4, vcc
	v_cmp_nlt_f32_e32 vcc, s2, v2
	s_nop 1
	v_cndmask_b32_e32 v2, v5, v3, vcc
	v_cvt_f16_f32_e32 v3, v2
	v_cmp_nlt_f32_e32 vcc, s2, v1
	v_pk_mul_f16 v64, v3, v64 op_sel_hi:[0,1]
	s_nop 0
	v_cndmask_b32_e32 v1, v5, v4, vcc
	v_fmac_f32_e32 v1, v47, v2
	v_pk_mul_f16 v63, v3, v63 op_sel_hi:[0,1]
	v_mov_b64_e32 v[46:47], v[0:1]
	v_cmp_gt_i32_e32 vcc, s30, v45
	s_and_saveexec_b64 s[4:5], vcc
	s_cbranch_execnz .LBB65_45
.LBB65_43:
	s_endpgm
.LBB65_44:
	v_mov_b32_e32 v1, v47
	v_cmp_gt_i32_e32 vcc, s30, v45
	s_and_saveexec_b64 s[4:5], vcc
	s_cbranch_execz .LBB65_43
.LBB65_45:
	s_load_dword s2, s[0:1], 0xd4
	s_mul_i32 s33, s33, s30
	v_add_u32_e32 v0, s33, v45
	v_mul_lo_u32 v0, v0, s31
	v_add_u32_e32 v0, s34, v0
	s_waitcnt lgkmcnt(0)
	s_cmp_lg_u32 s2, 1
	v_mul_lo_u32 v0, s2, v0
	s_cselect_b64 s[0:1], -1, 0
	v_add_u32_e32 v0, s3, v0
	s_and_saveexec_b64 s[2:3], s[10:11]
	s_cbranch_execz .LBB65_47
; %bb.46:
	v_div_scale_f32 v4, s[4:5], v1, v1, 1.0
	v_rcp_f32_e32 v5, v4
	v_cvt_f32_f16_sdwa v9, v64 dst_sel:DWORD dst_unused:UNUSED_PAD src0_sel:WORD_1
	v_cvt_f32_f16_sdwa v11, v63 dst_sel:DWORD dst_unused:UNUSED_PAD src0_sel:WORD_1
	v_cvt_f32_f16_e32 v10, v63
	v_fma_f32 v6, -v4, v5, 1.0
	v_fmac_f32_e32 v5, v6, v5
	v_div_scale_f32 v6, vcc, 1.0, v1, 1.0
	v_mul_f32_e32 v7, v6, v5
	v_fma_f32 v8, -v4, v7, v6
	v_fmac_f32_e32 v7, v8, v5
	v_fma_f32 v4, -v4, v7, v6
	v_div_fmas_f32 v4, v4, v5, v7
	v_cvt_f32_f16_e32 v8, v64
	v_div_fixup_f32 v1, v4, v1, 1.0
	s_movk_i32 s4, 0x50
	v_cndmask_b32_e64 v4, v1, 1.0, s[0:1]
	v_mul_lo_u32 v1, v0, s4
	v_mov_b32_e32 v2, s24
	v_mov_b32_e32 v3, s25
	v_lshl_add_u32 v6, v44, 2, v1
	v_mov_b32_e32 v7, 0
	v_lshl_add_u64 v[6:7], v[6:7], 2, v[2:3]
	v_pk_mul_f32 v[2:3], v[4:5], v[8:9] op_sel_hi:[0,1]
	v_pk_mul_f32 v[4:5], v[4:5], v[10:11] op_sel_hi:[0,1]
	global_store_dwordx4 v[6:7], v[2:5], off
.LBB65_47:
	s_or_b64 exec, exec, s[2:3]
	v_cmp_eq_u32_e32 vcc, 0, v44
	s_and_b64 s[0:1], vcc, s[0:1]
	s_and_b64 exec, exec, s[0:1]
	s_cbranch_execz .LBB65_43
; %bb.48:
	v_mov_b32_e32 v2, s26
	v_mov_b32_e32 v3, s27
	v_ashrrev_i32_e32 v1, 31, v0
	v_lshl_add_u64 v[0:1], v[0:1], 3, v[2:3]
	global_store_dwordx2 v[0:1], v[46:47], off
	s_endpgm
	.section	.rodata,"a",@progbits
	.p2align	6, 0x0
	.amdhsa_kernel _ZL15flash_attn_tileILi80ELi80ELi4ELi1ELb0EEvPKcS1_S1_S1_S1_PKiPfP15HIP_vector_typeIfLj2EEffffjfiS5_IjLj3EEiiiiiiiiiiiliiliiiiil
		.amdhsa_group_segment_fixed_size 4160
		.amdhsa_private_segment_fixed_size 32
		.amdhsa_kernarg_size 464
		.amdhsa_user_sgpr_count 2
		.amdhsa_user_sgpr_dispatch_ptr 0
		.amdhsa_user_sgpr_queue_ptr 0
		.amdhsa_user_sgpr_kernarg_segment_ptr 1
		.amdhsa_user_sgpr_dispatch_id 0
		.amdhsa_user_sgpr_kernarg_preload_length 0
		.amdhsa_user_sgpr_kernarg_preload_offset 0
		.amdhsa_user_sgpr_private_segment_size 0
		.amdhsa_uses_dynamic_stack 0
		.amdhsa_enable_private_segment 1
		.amdhsa_system_sgpr_workgroup_id_x 1
		.amdhsa_system_sgpr_workgroup_id_y 1
		.amdhsa_system_sgpr_workgroup_id_z 1
		.amdhsa_system_sgpr_workgroup_info 0
		.amdhsa_system_vgpr_workitem_id 1
		.amdhsa_next_free_vgpr 92
		.amdhsa_next_free_sgpr 52
		.amdhsa_accum_offset 92
		.amdhsa_reserve_vcc 1
		.amdhsa_float_round_mode_32 0
		.amdhsa_float_round_mode_16_64 0
		.amdhsa_float_denorm_mode_32 3
		.amdhsa_float_denorm_mode_16_64 3
		.amdhsa_dx10_clamp 1
		.amdhsa_ieee_mode 1
		.amdhsa_fp16_overflow 0
		.amdhsa_tg_split 0
		.amdhsa_exception_fp_ieee_invalid_op 0
		.amdhsa_exception_fp_denorm_src 0
		.amdhsa_exception_fp_ieee_div_zero 0
		.amdhsa_exception_fp_ieee_overflow 0
		.amdhsa_exception_fp_ieee_underflow 0
		.amdhsa_exception_fp_ieee_inexact 0
		.amdhsa_exception_int_div_zero 0
	.end_amdhsa_kernel
	.section	.text._ZL15flash_attn_tileILi80ELi80ELi4ELi1ELb0EEvPKcS1_S1_S1_S1_PKiPfP15HIP_vector_typeIfLj2EEffffjfiS5_IjLj3EEiiiiiiiiiiiliiliiiiil,"axG",@progbits,_ZL15flash_attn_tileILi80ELi80ELi4ELi1ELb0EEvPKcS1_S1_S1_S1_PKiPfP15HIP_vector_typeIfLj2EEffffjfiS5_IjLj3EEiiiiiiiiiiiliiliiiiil,comdat
.Lfunc_end65:
	.size	_ZL15flash_attn_tileILi80ELi80ELi4ELi1ELb0EEvPKcS1_S1_S1_S1_PKiPfP15HIP_vector_typeIfLj2EEffffjfiS5_IjLj3EEiiiiiiiiiiiliiliiiiil, .Lfunc_end65-_ZL15flash_attn_tileILi80ELi80ELi4ELi1ELb0EEvPKcS1_S1_S1_S1_PKiPfP15HIP_vector_typeIfLj2EEffffjfiS5_IjLj3EEiiiiiiiiiiiliiliiiiil
                                        ; -- End function
	.section	.AMDGPU.csdata,"",@progbits
; Kernel info:
; codeLenInByte = 8688
; NumSgprs: 58
; NumVgprs: 92
; NumAgprs: 0
; TotalNumVgprs: 92
; ScratchSize: 32
; MemoryBound: 0
; FloatMode: 240
; IeeeMode: 1
; LDSByteSize: 4160 bytes/workgroup (compile time only)
; SGPRBlocks: 7
; VGPRBlocks: 11
; NumSGPRsForWavesPerEU: 58
; NumVGPRsForWavesPerEU: 92
; AccumOffset: 92
; Occupancy: 5
; WaveLimiterHint : 1
; COMPUTE_PGM_RSRC2:SCRATCH_EN: 1
; COMPUTE_PGM_RSRC2:USER_SGPR: 2
; COMPUTE_PGM_RSRC2:TRAP_HANDLER: 0
; COMPUTE_PGM_RSRC2:TGID_X_EN: 1
; COMPUTE_PGM_RSRC2:TGID_Y_EN: 1
; COMPUTE_PGM_RSRC2:TGID_Z_EN: 1
; COMPUTE_PGM_RSRC2:TIDIG_COMP_CNT: 1
; COMPUTE_PGM_RSRC3_GFX90A:ACCUM_OFFSET: 22
; COMPUTE_PGM_RSRC3_GFX90A:TG_SPLIT: 0
	.section	.text._ZL33flash_attn_stream_k_fixup_uniformILi80ELi4ELi1EEvPfPK15HIP_vector_typeIfLj2EEiiiiiiS1_IjLj3EES5_S5_,"axG",@progbits,_ZL33flash_attn_stream_k_fixup_uniformILi80ELi4ELi1EEvPfPK15HIP_vector_typeIfLj2EEiiiiiiS1_IjLj3EES5_S5_,comdat
	.globl	_ZL33flash_attn_stream_k_fixup_uniformILi80ELi4ELi1EEvPfPK15HIP_vector_typeIfLj2EEiiiiiiS1_IjLj3EES5_S5_ ; -- Begin function _ZL33flash_attn_stream_k_fixup_uniformILi80ELi4ELi1EEvPfPK15HIP_vector_typeIfLj2EEiiiiiiS1_IjLj3EES5_S5_
	.p2align	8
	.type	_ZL33flash_attn_stream_k_fixup_uniformILi80ELi4ELi1EEvPfPK15HIP_vector_typeIfLj2EEiiiiiiS1_IjLj3EES5_S5_,@function
_ZL33flash_attn_stream_k_fixup_uniformILi80ELi4ELi1EEvPfPK15HIP_vector_typeIfLj2EEiiiiiiS1_IjLj3EES5_S5_: ; @_ZL33flash_attn_stream_k_fixup_uniformILi80ELi4ELi1EEvPfPK15HIP_vector_typeIfLj2EEiiiiiiS1_IjLj3EES5_S5_
; %bb.0:
	s_load_dwordx8 s[8:15], s[0:1], 0x1c
	s_load_dwordx2 s[6:7], s[0:1], 0x10
	s_load_dwordx4 s[16:19], s[0:1], 0x3c
	s_waitcnt lgkmcnt(0)
	s_mul_hi_u32 s5, s11, s2
	s_add_i32 s5, s2, s5
	s_lshr_b32 s5, s5, s12
	s_mul_i32 s11, s5, s13
	s_sub_i32 s12, s2, s11
	s_mul_hi_u32 s11, s12, s14
	s_add_i32 s11, s12, s11
	s_lshr_b32 s11, s11, s15
	s_mul_i32 s13, s11, s16
	s_sub_i32 s12, s12, s13
	;; [unrolled: 5-line block ×3, first 2 shown]
	s_lshl_b32 s12, s17, 2
	s_add_i32 s12, s12, s3
	s_cmp_lt_i32 s12, s6
	s_cselect_b64 s[12:13], -1, 0
	s_add_i32 s16, s16, s4
	s_cmp_lt_i32 s16, s9
	s_cselect_b64 s[14:15], -1, 0
	s_and_b64 s[12:13], s[12:13], s[14:15]
	s_andn2_b64 vcc, exec, s[12:13]
	s_cbranch_vccnz .LBB66_6
; %bb.1:
	s_load_dwordx4 s[12:15], s[0:1], 0x0
	s_mul_i32 s0, s5, s6
	s_mul_i32 s11, s11, s9
	s_add_i32 s0, s0, s3
	s_mul_i32 s0, s0, s7
	s_add_i32 s5, s16, s11
	;; [unrolled: 2-line block ×3, first 2 shown]
	s_mulk_i32 s1, 0x140
	s_mulk_i32 s0, 0x50
	s_add_i32 s0, s0, s1
	v_add_u32_e32 v4, s0, v0
	s_waitcnt lgkmcnt(0)
	v_mov_b32_e32 v2, s12
	v_mov_b32_e32 v3, s13
	v_ashrrev_i32_e32 v5, 31, v4
	v_lshl_add_u64 v[2:3], v[4:5], 2, v[2:3]
	global_load_dword v7, v[2:3], off
	s_mul_i32 s6, s2, s10
	s_add_i32 s7, s6, s10
	s_add_i32 s3, s3, s4
	s_lshl_b32 s0, s7, 2
	s_add_i32 s0, s3, s0
	s_add_i32 s0, s0, -4
	s_ashr_i32 s1, s0, 31
	s_lshl_b64 s[0:1], s[0:1], 3
	s_add_u32 s0, s14, s0
	s_addc_u32 s1, s15, s1
	s_load_dword s9, s[0:1], 0x4
	s_add_i32 s4, s7, -2
	s_cmp_lt_i32 s4, s6
	s_cbranch_scc1 .LBB66_4
; %bb.2:
	s_lshl_b32 s4, s8, 4
	s_ashr_i32 s5, s4, 31
	s_lshl_b64 s[4:5], s[4:5], 2
	s_add_u32 s4, s14, s4
	s_addc_u32 s5, s15, s5
	s_load_dword s0, s[0:1], 0x0
	s_add_i32 s2, s2, 1
	s_mul_i32 s10, s10, s2
	s_mul_i32 s1, s3, 0x50
	s_lshl_b32 s2, s10, 2
	s_mulk_i32 s10, 0x140
	s_add_i32 s2, s3, s2
	s_lshl_b32 s3, s8, 2
	s_add_i32 s1, s1, s10
	s_add_i32 s2, s2, s3
	v_add_u32_e32 v0, s1, v0
	s_add_i32 s7, s7, -1
	s_add_i32 s2, s2, -8
	v_add_u32_e32 v0, 0xfffffd80, v0
	s_waitcnt lgkmcnt(0)
	v_mov_b32_e32 v6, s9
	v_mov_b32_e32 v5, s0
	s_mov_b32 s8, 0x3fb8aa3b
	s_mov_b32 s9, 0xc2ce8ed0
	;; [unrolled: 1-line block ×3, first 2 shown]
	v_mov_b32_e32 v4, 0x7f800000
	s_mov_b32 s11, 0xc1a00000
.LBB66_3:                               ; =>This Inner Loop Header: Depth=1
	v_ashrrev_i32_e32 v1, 31, v0
	v_lshl_add_u64 v[8:9], v[0:1], 2, s[4:5]
	global_load_dword v1, v[8:9], off
	s_ashr_i32 s3, s2, 31
	s_lshl_b64 s[0:1], s[2:3], 3
	s_add_u32 s0, s14, s0
	s_addc_u32 s1, s15, s1
	s_load_dwordx2 s[12:13], s[0:1], 0x0
	s_waitcnt vmcnt(1)
	v_mov_b32_e32 v8, v7
	v_max_f32_e32 v7, v5, v5
	v_mov_b32_e32 v9, v6
	s_add_i32 s7, s7, -1
	s_waitcnt lgkmcnt(0)
	v_max_f32_e64 v6, s12, s12
	v_max_f32_e32 v6, v7, v6
	v_sub_f32_e32 v10, s12, v6
	v_sub_f32_e32 v7, v5, v6
	v_mul_f32_e32 v11, 0x3fb8aa3b, v10
	v_mov_b32_e32 v5, v6
	v_mul_f32_e32 v6, 0x3fb8aa3b, v7
	v_fma_f32 v14, v10, s8, -v11
	v_rndne_f32_e32 v15, v11
	v_fma_f32 v12, v7, s8, -v6
	v_rndne_f32_e32 v13, v6
	v_fmac_f32_e32 v14, 0x32a5705f, v10
	v_sub_f32_e32 v11, v11, v15
	v_fmac_f32_e32 v12, 0x32a5705f, v7
	v_sub_f32_e32 v6, v6, v13
	v_add_f32_e32 v11, v11, v14
	v_cvt_i32_f32_e32 v15, v15
	v_add_f32_e32 v6, v6, v12
	v_exp_f32_e32 v11, v11
	v_cvt_i32_f32_e32 v13, v13
	v_exp_f32_e32 v6, v6
	v_cmp_ngt_f32_e32 vcc, s9, v10
	v_ldexp_f32 v11, v11, v15
	v_cmp_ngt_f32_e64 s[0:1], s9, v7
	v_ldexp_f32 v6, v6, v13
	v_cndmask_b32_e32 v11, 0, v11, vcc
	v_cmp_nlt_f32_e32 vcc, s10, v10
	v_cndmask_b32_e64 v6, 0, v6, s[0:1]
	v_cmp_nlt_f32_e64 s[0:1], s10, v7
	v_cndmask_b32_e32 v11, v4, v11, vcc
	v_cmp_le_f32_e32 vcc, s11, v10
	v_cndmask_b32_e64 v6, v4, v6, s[0:1]
	v_cmp_le_f32_e64 s[0:1], s11, v7
	v_cndmask_b32_e32 v7, 0, v11, vcc
	s_add_i32 s2, s2, -4
	v_cndmask_b32_e64 v10, 0, v6, s[0:1]
	v_mul_f32_e32 v6, s13, v7
	v_add_u32_e32 v0, 0xfffffec0, v0
	s_cmp_le_i32 s7, s6
	v_fmac_f32_e32 v6, v9, v10
	s_waitcnt vmcnt(0)
	v_mul_f32_e32 v7, v1, v7
	v_fmac_f32_e32 v7, v8, v10
	s_cbranch_scc0 .LBB66_3
	s_branch .LBB66_5
.LBB66_4:
	s_waitcnt lgkmcnt(0)
	v_mov_b32_e32 v6, s9
.LBB66_5:
	s_waitcnt vmcnt(0)
	v_div_scale_f32 v0, s[0:1], v6, v6, v7
	v_rcp_f32_e32 v1, v0
	v_div_scale_f32 v4, vcc, v7, v6, v7
	v_fma_f32 v5, -v0, v1, 1.0
	v_fmac_f32_e32 v1, v5, v1
	v_mul_f32_e32 v5, v4, v1
	v_fma_f32 v8, -v0, v5, v4
	v_fmac_f32_e32 v5, v8, v1
	v_fma_f32 v0, -v0, v5, v4
	v_div_fmas_f32 v0, v0, v1, v5
	v_div_fixup_f32 v0, v0, v6, v7
	global_store_dword v[2:3], v0, off
.LBB66_6:
	s_endpgm
	.section	.rodata,"a",@progbits
	.p2align	6, 0x0
	.amdhsa_kernel _ZL33flash_attn_stream_k_fixup_uniformILi80ELi4ELi1EEvPfPK15HIP_vector_typeIfLj2EEiiiiiiS1_IjLj3EES5_S5_
		.amdhsa_group_segment_fixed_size 0
		.amdhsa_private_segment_fixed_size 0
		.amdhsa_kernarg_size 76
		.amdhsa_user_sgpr_count 2
		.amdhsa_user_sgpr_dispatch_ptr 0
		.amdhsa_user_sgpr_queue_ptr 0
		.amdhsa_user_sgpr_kernarg_segment_ptr 1
		.amdhsa_user_sgpr_dispatch_id 0
		.amdhsa_user_sgpr_kernarg_preload_length 0
		.amdhsa_user_sgpr_kernarg_preload_offset 0
		.amdhsa_user_sgpr_private_segment_size 0
		.amdhsa_uses_dynamic_stack 0
		.amdhsa_enable_private_segment 0
		.amdhsa_system_sgpr_workgroup_id_x 1
		.amdhsa_system_sgpr_workgroup_id_y 1
		.amdhsa_system_sgpr_workgroup_id_z 1
		.amdhsa_system_sgpr_workgroup_info 0
		.amdhsa_system_vgpr_workitem_id 0
		.amdhsa_next_free_vgpr 16
		.amdhsa_next_free_sgpr 20
		.amdhsa_accum_offset 16
		.amdhsa_reserve_vcc 1
		.amdhsa_float_round_mode_32 0
		.amdhsa_float_round_mode_16_64 0
		.amdhsa_float_denorm_mode_32 3
		.amdhsa_float_denorm_mode_16_64 3
		.amdhsa_dx10_clamp 1
		.amdhsa_ieee_mode 1
		.amdhsa_fp16_overflow 0
		.amdhsa_tg_split 0
		.amdhsa_exception_fp_ieee_invalid_op 0
		.amdhsa_exception_fp_denorm_src 0
		.amdhsa_exception_fp_ieee_div_zero 0
		.amdhsa_exception_fp_ieee_overflow 0
		.amdhsa_exception_fp_ieee_underflow 0
		.amdhsa_exception_fp_ieee_inexact 0
		.amdhsa_exception_int_div_zero 0
	.end_amdhsa_kernel
	.section	.text._ZL33flash_attn_stream_k_fixup_uniformILi80ELi4ELi1EEvPfPK15HIP_vector_typeIfLj2EEiiiiiiS1_IjLj3EES5_S5_,"axG",@progbits,_ZL33flash_attn_stream_k_fixup_uniformILi80ELi4ELi1EEvPfPK15HIP_vector_typeIfLj2EEiiiiiiS1_IjLj3EES5_S5_,comdat
.Lfunc_end66:
	.size	_ZL33flash_attn_stream_k_fixup_uniformILi80ELi4ELi1EEvPfPK15HIP_vector_typeIfLj2EEiiiiiiS1_IjLj3EES5_S5_, .Lfunc_end66-_ZL33flash_attn_stream_k_fixup_uniformILi80ELi4ELi1EEvPfPK15HIP_vector_typeIfLj2EEiiiiiiS1_IjLj3EES5_S5_
                                        ; -- End function
	.section	.AMDGPU.csdata,"",@progbits
; Kernel info:
; codeLenInByte = 820
; NumSgprs: 26
; NumVgprs: 16
; NumAgprs: 0
; TotalNumVgprs: 16
; ScratchSize: 0
; MemoryBound: 0
; FloatMode: 240
; IeeeMode: 1
; LDSByteSize: 0 bytes/workgroup (compile time only)
; SGPRBlocks: 3
; VGPRBlocks: 1
; NumSGPRsForWavesPerEU: 26
; NumVGPRsForWavesPerEU: 16
; AccumOffset: 16
; Occupancy: 8
; WaveLimiterHint : 0
; COMPUTE_PGM_RSRC2:SCRATCH_EN: 0
; COMPUTE_PGM_RSRC2:USER_SGPR: 2
; COMPUTE_PGM_RSRC2:TRAP_HANDLER: 0
; COMPUTE_PGM_RSRC2:TGID_X_EN: 1
; COMPUTE_PGM_RSRC2:TGID_Y_EN: 1
; COMPUTE_PGM_RSRC2:TGID_Z_EN: 1
; COMPUTE_PGM_RSRC2:TIDIG_COMP_CNT: 0
; COMPUTE_PGM_RSRC3_GFX90A:ACCUM_OFFSET: 3
; COMPUTE_PGM_RSRC3_GFX90A:TG_SPLIT: 0
	.section	.text._ZL33flash_attn_stream_k_fixup_generalILi80ELi4ELi1EEvPfPK15HIP_vector_typeIfLj2EEiiiiS1_IjLj3EES5_S5_S5_,"axG",@progbits,_ZL33flash_attn_stream_k_fixup_generalILi80ELi4ELi1EEvPfPK15HIP_vector_typeIfLj2EEiiiiS1_IjLj3EES5_S5_S5_,comdat
	.globl	_ZL33flash_attn_stream_k_fixup_generalILi80ELi4ELi1EEvPfPK15HIP_vector_typeIfLj2EEiiiiS1_IjLj3EES5_S5_S5_ ; -- Begin function _ZL33flash_attn_stream_k_fixup_generalILi80ELi4ELi1EEvPfPK15HIP_vector_typeIfLj2EEiiiiS1_IjLj3EES5_S5_S5_
	.p2align	8
	.type	_ZL33flash_attn_stream_k_fixup_generalILi80ELi4ELi1EEvPfPK15HIP_vector_typeIfLj2EEiiiiS1_IjLj3EES5_S5_S5_,@function
_ZL33flash_attn_stream_k_fixup_generalILi80ELi4ELi1EEvPfPK15HIP_vector_typeIfLj2EEiiiiS1_IjLj3EES5_S5_S5_: ; @_ZL33flash_attn_stream_k_fixup_generalILi80ELi4ELi1EEvPfPK15HIP_vector_typeIfLj2EEiiiiS1_IjLj3EES5_S5_S5_
; %bb.0:
	s_load_dwordx4 s[12:15], s[0:1], 0x10
	s_load_dword s22, s[0:1], 0x50
	s_mov_b32 s8, 0
	s_waitcnt lgkmcnt(0)
	s_mul_hi_i32 s9, s15, s2
	s_cmp_lg_u64 s[8:9], 0
	s_mul_i32 s5, s15, s2
	s_cbranch_scc0 .LBB67_21
; %bb.1:
	v_cvt_f32_u32_e32 v1, s22
	v_cvt_f32_ubyte0_e32 v2, 0
	s_sub_u32 s8, 0, s22
	s_subb_u32 s10, 0, 0
	v_fmamk_f32 v1, v2, 0x4f800000, v1
	v_rcp_f32_e32 v1, v1
	s_nop 0
	v_mul_f32_e32 v1, 0x5f7ffffc, v1
	v_mul_f32_e32 v2, 0x2f800000, v1
	v_trunc_f32_e32 v2, v2
	v_fmamk_f32 v1, v2, 0xcf800000, v1
	v_cvt_u32_f32_e32 v2, v2
	v_cvt_u32_f32_e32 v1, v1
	v_readfirstlane_b32 s11, v2
	v_readfirstlane_b32 s16, v1
	s_mul_i32 s17, s8, s11
	s_mul_hi_u32 s19, s8, s16
	s_mul_i32 s18, s10, s16
	s_add_i32 s17, s19, s17
	s_add_i32 s17, s17, s18
	s_mul_i32 s20, s8, s16
	s_mul_hi_u32 s18, s16, s17
	s_mul_i32 s19, s16, s17
	s_mul_hi_u32 s16, s16, s20
	s_add_u32 s16, s16, s19
	s_addc_u32 s18, 0, s18
	s_mul_hi_u32 s21, s11, s20
	s_mul_i32 s20, s11, s20
	s_add_u32 s16, s16, s20
	s_mul_hi_u32 s19, s11, s17
	s_addc_u32 s16, s18, s21
	s_addc_u32 s18, s19, 0
	s_mul_i32 s17, s11, s17
	s_add_u32 s16, s16, s17
	s_addc_u32 s17, 0, s18
	v_add_co_u32_e32 v1, vcc, s16, v1
	s_cmp_lg_u64 vcc, 0
	s_addc_u32 s11, s11, s17
	v_readfirstlane_b32 s17, v1
	s_mul_i32 s16, s8, s11
	s_mul_hi_u32 s18, s8, s17
	s_add_i32 s16, s18, s16
	s_mul_i32 s10, s10, s17
	s_add_i32 s16, s16, s10
	s_mul_i32 s8, s8, s17
	s_mul_hi_u32 s18, s11, s8
	s_mul_i32 s19, s11, s8
	s_mul_i32 s21, s17, s16
	s_mul_hi_u32 s8, s17, s8
	s_mul_hi_u32 s20, s17, s16
	s_add_u32 s8, s8, s21
	s_addc_u32 s17, 0, s20
	s_add_u32 s8, s8, s19
	s_mul_hi_u32 s10, s11, s16
	s_addc_u32 s8, s17, s18
	s_addc_u32 s10, s10, 0
	s_mul_i32 s16, s11, s16
	s_add_u32 s8, s8, s16
	s_addc_u32 s10, 0, s10
	v_add_co_u32_e32 v1, vcc, s8, v1
	s_cmp_lg_u64 vcc, 0
	s_addc_u32 s16, s11, s10
	s_ashr_i32 s10, s9, 31
	s_add_u32 s8, s5, s10
	s_mov_b32 s11, s10
	s_addc_u32 s9, s9, s10
	s_xor_b64 s[8:9], s[8:9], s[10:11]
	v_readfirstlane_b32 s19, v1
	s_mul_i32 s18, s8, s16
	s_mul_hi_u32 s20, s8, s19
	s_mul_hi_u32 s17, s8, s16
	s_add_u32 s18, s20, s18
	s_addc_u32 s17, 0, s17
	s_mul_hi_u32 s21, s9, s19
	s_mul_i32 s19, s9, s19
	s_add_u32 s18, s18, s19
	s_mul_hi_u32 s20, s9, s16
	s_addc_u32 s17, s17, s21
	s_addc_u32 s18, s20, 0
	s_mul_i32 s16, s9, s16
	s_add_u32 s16, s17, s16
	s_addc_u32 s17, 0, s18
	s_add_u32 s18, s16, 1
	s_addc_u32 s19, s17, 0
	s_add_u32 s20, s16, 2
	s_mul_i32 s23, s22, s17
	s_mul_hi_u32 s24, s22, s16
	s_addc_u32 s21, s17, 0
	s_add_i32 s24, s24, s23
	s_mul_i32 s23, s22, s16
	v_mov_b32_e32 v1, s23
	v_sub_co_u32_e32 v1, vcc, s8, v1
	s_cmp_lg_u64 vcc, 0
	s_subb_u32 s8, s9, s24
	v_subrev_co_u32_e32 v2, vcc, s22, v1
	s_cmp_lg_u64 vcc, 0
	s_subb_u32 s9, s8, 0
	v_readfirstlane_b32 s23, v2
	s_cmp_ge_u32 s23, s22
	s_cselect_b32 s23, -1, 0
	s_cmp_eq_u32 s9, 0
	s_cselect_b32 s9, s23, -1
	s_cmp_lg_u32 s9, 0
	s_cselect_b32 s9, s21, s19
	v_readfirstlane_b32 s19, v1
	s_cselect_b32 s18, s20, s18
	s_cmp_ge_u32 s19, s22
	s_cselect_b32 s19, -1, 0
	s_cmp_eq_u32 s8, 0
	s_cselect_b32 s8, s19, -1
	s_cmp_lg_u32 s8, 0
	s_cselect_b32 s9, s9, s17
	s_cselect_b32 s8, s18, s16
	s_xor_b64 s[8:9], s[8:9], s[10:11]
	s_sub_u32 s20, s8, s10
	s_load_dwordx4 s[16:19], s[0:1], 0x44
	s_cbranch_execnz .LBB67_3
.LBB67_2:
	v_cvt_f32_u32_e32 v1, s22
	s_sub_i32 s6, 0, s22
	v_rcp_iflag_f32_e32 v1, v1
	s_nop 0
	v_mul_f32_e32 v1, 0x4f7ffffe, v1
	v_cvt_u32_f32_e32 v1, v1
	s_nop 0
	v_readfirstlane_b32 s7, v1
	s_mul_i32 s6, s6, s7
	s_mul_hi_u32 s6, s7, s6
	s_add_i32 s7, s7, s6
	s_mul_hi_u32 s6, s5, s7
	s_mul_i32 s8, s6, s22
	s_sub_i32 s5, s5, s8
	s_add_i32 s7, s6, 1
	s_sub_i32 s8, s5, s22
	s_cmp_ge_u32 s5, s22
	s_cselect_b32 s6, s7, s6
	s_cselect_b32 s5, s8, s5
	s_add_i32 s7, s6, 1
	s_cmp_ge_u32 s5, s22
	s_cselect_b32 s20, s7, s6
.LBB67_3:
	s_add_i32 s5, s2, 1
	s_mul_hi_i32 s9, s15, s5
	s_mov_b32 s8, 0
	s_cmp_lg_u64 s[8:9], 0
	s_mul_i32 s5, s15, s5
	s_cbranch_scc0 .LBB67_22
; %bb.4:
	v_cvt_f32_u32_e32 v1, s22
	v_cvt_f32_ubyte0_e32 v2, 0
	s_sub_u32 s8, 0, s22
	s_subb_u32 s10, 0, 0
	v_fmamk_f32 v1, v2, 0x4f800000, v1
	v_rcp_f32_e32 v1, v1
	s_nop 0
	v_mul_f32_e32 v1, 0x5f7ffffc, v1
	v_mul_f32_e32 v2, 0x2f800000, v1
	v_trunc_f32_e32 v2, v2
	v_fmamk_f32 v1, v2, 0xcf800000, v1
	v_cvt_u32_f32_e32 v2, v2
	v_cvt_u32_f32_e32 v1, v1
	v_readfirstlane_b32 s11, v2
	s_waitcnt lgkmcnt(0)
	v_readfirstlane_b32 s19, v1
	s_mul_i32 s21, s8, s11
	s_mul_hi_u32 s24, s8, s19
	s_mul_i32 s23, s10, s19
	s_add_i32 s21, s24, s21
	s_add_i32 s21, s21, s23
	s_mul_i32 s25, s8, s19
	s_mul_hi_u32 s23, s19, s21
	s_mul_i32 s24, s19, s21
	s_mul_hi_u32 s19, s19, s25
	s_add_u32 s19, s19, s24
	s_addc_u32 s23, 0, s23
	s_mul_hi_u32 s26, s11, s25
	s_mul_i32 s25, s11, s25
	s_add_u32 s19, s19, s25
	s_mul_hi_u32 s24, s11, s21
	s_addc_u32 s19, s23, s26
	s_addc_u32 s23, s24, 0
	s_mul_i32 s21, s11, s21
	s_add_u32 s19, s19, s21
	s_addc_u32 s21, 0, s23
	v_add_co_u32_e32 v1, vcc, s19, v1
	s_cmp_lg_u64 vcc, 0
	s_addc_u32 s11, s11, s21
	v_readfirstlane_b32 s21, v1
	s_mul_i32 s19, s8, s11
	s_mul_hi_u32 s23, s8, s21
	s_add_i32 s19, s23, s19
	s_mul_i32 s10, s10, s21
	s_add_i32 s19, s19, s10
	s_mul_i32 s8, s8, s21
	s_mul_hi_u32 s23, s11, s8
	s_mul_i32 s24, s11, s8
	s_mul_i32 s26, s21, s19
	s_mul_hi_u32 s8, s21, s8
	s_mul_hi_u32 s25, s21, s19
	s_add_u32 s8, s8, s26
	s_addc_u32 s21, 0, s25
	s_add_u32 s8, s8, s24
	s_mul_hi_u32 s10, s11, s19
	s_addc_u32 s8, s21, s23
	s_addc_u32 s10, s10, 0
	s_mul_i32 s19, s11, s19
	s_add_u32 s8, s8, s19
	s_addc_u32 s10, 0, s10
	v_add_co_u32_e32 v1, vcc, s8, v1
	s_cmp_lg_u64 vcc, 0
	s_addc_u32 s19, s11, s10
	s_ashr_i32 s10, s9, 31
	s_add_u32 s8, s5, s10
	s_mov_b32 s11, s10
	s_addc_u32 s9, s9, s10
	s_xor_b64 s[8:9], s[8:9], s[10:11]
	v_readfirstlane_b32 s23, v1
	s_mul_i32 s21, s8, s19
	s_mul_hi_u32 s24, s8, s23
	s_mul_hi_u32 s11, s8, s19
	s_add_u32 s21, s24, s21
	s_addc_u32 s11, 0, s11
	s_mul_hi_u32 s25, s9, s23
	s_mul_i32 s23, s9, s23
	s_add_u32 s21, s21, s23
	s_mul_hi_u32 s24, s9, s19
	s_addc_u32 s11, s11, s25
	s_addc_u32 s21, s24, 0
	s_mul_i32 s19, s9, s19
	s_add_u32 s11, s11, s19
	s_addc_u32 s19, 0, s21
	s_mul_i32 s19, s22, s19
	s_mul_hi_u32 s24, s22, s11
	s_add_i32 s24, s24, s19
	s_mul_i32 s19, s22, s11
	v_mov_b32_e32 v1, s19
	s_add_u32 s21, s11, 1
	s_add_u32 s23, s11, 2
	v_sub_co_u32_e32 v1, vcc, s8, v1
	s_cmp_lg_u64 vcc, 0
	s_subb_u32 s8, s9, s24
	v_subrev_co_u32_e32 v2, vcc, s22, v1
	s_cmp_lg_u64 vcc, 0
	s_subb_u32 s9, s8, 0
	v_cmp_le_u32_e32 vcc, s22, v2
	s_cmp_eq_u32 s9, 0
	v_mov_b32_e32 v3, s21
	v_cndmask_b32_e64 v2, 0, -1, vcc
	s_cselect_b64 vcc, -1, 0
	v_cndmask_b32_e32 v2, -1, v2, vcc
	v_mov_b32_e32 v4, s23
	v_cmp_ne_u32_e32 vcc, 0, v2
	s_cmp_eq_u32 s8, 0
	s_nop 0
	v_cndmask_b32_e32 v2, v3, v4, vcc
	v_cmp_le_u32_e32 vcc, s22, v1
	v_mov_b32_e32 v3, s11
	s_nop 0
	v_cndmask_b32_e64 v1, 0, -1, vcc
	s_cselect_b64 vcc, -1, 0
	v_cndmask_b32_e32 v1, -1, v1, vcc
	v_cmp_ne_u32_e32 vcc, 0, v1
	s_nop 1
	v_cndmask_b32_e32 v1, v3, v2, vcc
	v_xor_b32_e32 v1, s10, v1
	v_subrev_co_u32_e32 v2, vcc, s10, v1
	s_cbranch_execnz .LBB67_6
.LBB67_5:
	v_cvt_f32_u32_e32 v1, s22
	s_sub_i32 s6, 0, s22
	s_mov_b32 s7, 0
	v_rcp_iflag_f32_e32 v1, v1
	s_nop 0
	v_mul_f32_e32 v1, 0x4f7ffffe, v1
	v_cvt_u32_f32_e32 v1, v1
	s_nop 0
	v_readfirstlane_b32 s8, v1
	s_mul_i32 s6, s6, s8
	s_mul_hi_u32 s6, s8, s6
	s_add_i32 s8, s8, s6
	s_mul_hi_u32 s6, s5, s8
	s_mul_i32 s9, s6, s22
	s_sub_i32 s5, s5, s9
	s_add_i32 s8, s6, 1
	s_sub_i32 s9, s5, s22
	s_cmp_ge_u32 s5, s22
	s_cselect_b32 s6, s8, s6
	s_cselect_b32 s5, s9, s5
	s_add_i32 s8, s6, 1
	s_cmp_ge_u32 s5, s22
	s_cselect_b32 s6, s8, s6
	v_mov_b64_e32 v[2:3], s[6:7]
.LBB67_6:
	s_waitcnt lgkmcnt(0)
	s_mul_hi_u32 s5, s20, s16
	s_add_i32 s5, s5, s20
	v_mul_hi_u32 v1, v2, s16
	s_lshr_b32 s19, s5, s17
	v_add_u32_e32 v1, v1, v2
	s_mul_i32 s5, s19, s18
	v_lshrrev_b32_e32 v1, s17, v1
	s_cmp_eq_u32 s5, s20
	v_cmp_eq_u32_e64 s[6:7], s19, v1
	v_mul_lo_u32 v1, v1, s18
	v_cmp_eq_u32_e32 vcc, s20, v2
	s_cselect_b64 s[10:11], -1, 0
	v_cmp_ne_u32_e64 s[8:9], v1, v2
	s_and_b64 s[6:7], s[6:7], s[8:9]
	s_or_b64 s[8:9], vcc, s[10:11]
	s_or_b64 s[6:7], s[8:9], s[6:7]
	s_and_b64 vcc, exec, s[6:7]
	s_cbranch_vccnz .LBB67_24
; %bb.7:
	s_load_dwordx8 s[24:31], s[0:1], 0x20
	s_load_dword s5, s[0:1], 0x40
	s_waitcnt lgkmcnt(0)
	s_mul_hi_u32 s6, s20, s24
	s_add_i32 s6, s6, s20
	s_lshr_b32 s7, s6, s25
	s_mul_i32 s6, s7, s26
	s_sub_i32 s6, s20, s6
	s_mul_hi_u32 s8, s6, s27
	s_add_i32 s8, s6, s8
	s_lshr_b32 s23, s8, s28
	s_mul_i32 s8, s23, s29
	s_sub_i32 s6, s6, s8
	;; [unrolled: 5-line block ×3, first 2 shown]
	s_mul_hi_u32 s6, s5, s16
	s_add_i32 s5, s5, s6
	s_lshr_b32 s24, s5, s17
	s_lshl_b32 s5, s24, 2
	s_add_i32 s5, s5, s3
	s_cmp_lt_i32 s5, s12
	s_cselect_b64 s[8:9], -1, 0
	s_add_i32 s25, s25, s4
	s_cmp_lt_i32 s25, s14
	s_cselect_b64 s[10:11], -1, 0
	s_and_b64 s[8:9], s[8:9], s[10:11]
	s_andn2_b64 vcc, exec, s[8:9]
	s_mov_b32 s6, 0
	s_cbranch_vccnz .LBB67_24
; %bb.8:
	s_load_dwordx4 s[8:11], s[0:1], 0x0
	s_lshl_b32 s0, s22, 4
	s_mov_b32 s1, s6
	s_add_i32 s21, s3, s4
	s_lshl_b64 s[0:1], s[0:1], 2
	s_waitcnt lgkmcnt(0)
	s_add_u32 s4, s10, s0
	s_mul_i32 s0, s7, s12
	s_addc_u32 s5, s11, s1
	s_mul_i32 s23, s23, s14
	s_add_i32 s0, s0, s3
	s_mul_i32 s0, s0, s13
	s_add_i32 s3, s25, s23
	;; [unrolled: 2-line block ×3, first 2 shown]
	s_mulk_i32 s1, 0x140
	s_mulk_i32 s0, 0x50
	s_add_i32 s1, s1, s0
	v_add_u32_e32 v4, s1, v0
	v_mov_b32_e32 v2, s8
	v_mov_b32_e32 v3, s9
	v_ashrrev_i32_e32 v5, 31, v4
	v_lshl_add_u64 v[2:3], v[4:5], 2, v[2:3]
	global_load_dword v5, v[2:3], off
	s_lshl_b32 s0, s2, 2
	s_add_i32 s0, s0, s21
	s_ashr_i32 s1, s0, 31
	s_lshl_b64 s[0:1], s[0:1], 3
	s_add_u32 s0, s10, s0
	s_addc_u32 s1, s11, s1
	s_add_i32 s12, s2, -1
	s_mul_i32 s2, s21, 0x50
	v_add_u32_e32 v4, s2, v0
	v_cvt_f32_u32_e32 v0, s22
	v_cvt_f32_ubyte0_e32 v1, 0
	s_load_dwordx2 s[0:1], s[0:1], 0x0
	v_mov_b32_e32 v8, s20
	v_fmac_f32_e32 v0, 0x4f800000, v1
	v_rcp_f32_e32 v0, v0
	v_cvt_f32_u32_e32 v1, s22
	s_waitcnt lgkmcnt(0)
	v_mov_b32_e32 v6, s1
	v_mov_b32_e32 v7, s0
	v_mul_f32_e32 v0, 0x5f7ffffc, v0
	v_rcp_iflag_f32_e32 v1, v1
	v_mul_f32_e32 v9, 0x2f800000, v0
	v_trunc_f32_e32 v10, v9
	v_fmac_f32_e32 v0, 0xcf800000, v10
	v_cvt_u32_f32_e32 v9, v0
	v_mul_f32_e32 v0, 0x4f7ffffe, v1
	v_cvt_u32_f32_e32 v10, v10
	v_cvt_u32_f32_e32 v11, v0
	s_mov_b32 s8, 0x3fb8aa3b
	s_mov_b32 s9, 0xc2ce8ed0
	;; [unrolled: 1-line block ×4, first 2 shown]
	v_mov_b32_e32 v12, 0x7f800000
	s_mul_hi_i32 s7, s12, s15
	s_cmp_lg_u64 s[6:7], 0
	s_mul_i32 s2, s12, s15
	s_cbranch_scc0 .LBB67_15
.LBB67_9:
	s_sub_u32 s0, 0, s22
	v_readfirstlane_b32 s3, v9
	v_readfirstlane_b32 s24, v10
	s_subb_u32 s1, 0, 0
	s_mul_hi_u32 s23, s0, s3
	s_mul_i32 s25, s0, s24
	s_mul_i32 s20, s1, s3
	s_add_i32 s23, s23, s25
	s_add_i32 s23, s23, s20
	s_mul_i32 s26, s0, s3
	s_mul_hi_u32 s20, s3, s23
	s_mul_i32 s25, s3, s23
	s_mul_hi_u32 s3, s3, s26
	s_add_u32 s3, s3, s25
	s_addc_u32 s20, 0, s20
	s_mul_hi_u32 s27, s24, s26
	s_mul_i32 s26, s24, s26
	s_add_u32 s3, s3, s26
	s_mul_hi_u32 s25, s24, s23
	s_addc_u32 s3, s20, s27
	s_addc_u32 s20, s25, 0
	s_mul_i32 s23, s24, s23
	s_add_u32 s3, s3, s23
	s_addc_u32 s20, 0, s20
	v_add_co_u32_e32 v0, vcc, s3, v9
	s_cmp_lg_u64 vcc, 0
	s_addc_u32 s3, s24, s20
	v_readfirstlane_b32 s23, v0
	s_mul_i32 s20, s0, s3
	s_mul_hi_u32 s24, s0, s23
	s_add_i32 s20, s24, s20
	s_mul_i32 s1, s1, s23
	s_add_i32 s20, s20, s1
	s_mul_i32 s0, s0, s23
	s_mul_hi_u32 s24, s3, s0
	s_mul_i32 s25, s3, s0
	s_mul_i32 s27, s23, s20
	s_mul_hi_u32 s0, s23, s0
	s_mul_hi_u32 s26, s23, s20
	s_add_u32 s0, s0, s27
	s_addc_u32 s23, 0, s26
	s_add_u32 s0, s0, s25
	s_mul_hi_u32 s1, s3, s20
	s_addc_u32 s0, s23, s24
	s_addc_u32 s1, s1, 0
	s_mul_i32 s20, s3, s20
	s_add_u32 s0, s0, s20
	s_addc_u32 s1, 0, s1
	v_add_co_u32_e32 v0, vcc, s0, v0
	s_cmp_lg_u64 vcc, 0
	s_addc_u32 s3, s3, s1
	s_ashr_i32 s0, s7, 31
	s_add_u32 s24, s2, s0
	s_mov_b32 s1, s0
	s_addc_u32 s25, s7, s0
	s_xor_b64 s[24:25], s[24:25], s[0:1]
	v_readfirstlane_b32 s20, v0
	s_mul_i32 s7, s24, s3
	s_mul_hi_u32 s23, s24, s20
	s_mul_hi_u32 s1, s24, s3
	s_add_u32 s7, s23, s7
	s_addc_u32 s1, 0, s1
	s_mul_hi_u32 s26, s25, s20
	s_mul_i32 s20, s25, s20
	s_add_u32 s7, s7, s20
	s_mul_hi_u32 s23, s25, s3
	s_addc_u32 s1, s1, s26
	s_addc_u32 s7, s23, 0
	s_mul_i32 s3, s25, s3
	s_add_u32 s1, s1, s3
	s_addc_u32 s3, 0, s7
	s_mul_i32 s3, s22, s3
	s_mul_hi_u32 s23, s22, s1
	s_add_i32 s23, s23, s3
	s_mul_i32 s3, s22, s1
	v_mov_b32_e32 v0, s3
	s_add_u32 s7, s1, 1
	s_add_u32 s20, s1, 2
	v_sub_co_u32_e32 v0, vcc, s24, v0
	s_cmp_lg_u64 vcc, 0
	s_subb_u32 s3, s25, s23
	v_subrev_co_u32_e32 v1, vcc, s22, v0
	s_cmp_lg_u64 vcc, 0
	s_subb_u32 s23, s3, 0
	v_cmp_le_u32_e32 vcc, s22, v1
	s_cmp_eq_u32 s23, 0
	v_mov_b32_e32 v13, s7
	v_cndmask_b32_e64 v1, 0, -1, vcc
	s_cselect_b64 vcc, -1, 0
	v_cndmask_b32_e32 v1, -1, v1, vcc
	v_mov_b32_e32 v14, s20
	v_cmp_ne_u32_e32 vcc, 0, v1
	s_cmp_eq_u32 s3, 0
	s_nop 0
	v_cndmask_b32_e32 v1, v13, v14, vcc
	v_cmp_le_u32_e32 vcc, s22, v0
	v_mov_b32_e32 v13, s1
	s_nop 0
	v_cndmask_b32_e64 v0, 0, -1, vcc
	s_cselect_b64 vcc, -1, 0
	v_cndmask_b32_e32 v0, -1, v0, vcc
	v_cmp_ne_u32_e32 vcc, 0, v0
	s_nop 1
	v_cndmask_b32_e32 v0, v13, v1, vcc
	v_xor_b32_e32 v0, s0, v0
	v_subrev_co_u32_e32 v0, vcc, s0, v0
	s_cbranch_execnz .LBB67_11
.LBB67_10:
	s_sub_i32 s0, 0, s22
	v_mul_lo_u32 v0, s0, v11
	v_mul_hi_u32 v0, v11, v0
	v_add_u32_e32 v0, v11, v0
	v_mul_hi_u32 v0, s2, v0
	v_mul_lo_u32 v13, v0, s22
	v_sub_u32_e32 v13, s2, v13
	v_add_u32_e32 v1, 1, v0
	v_subrev_u32_e32 v14, s22, v13
	v_cmp_le_u32_e32 vcc, s22, v13
	s_nop 1
	v_cndmask_b32_e32 v13, v13, v14, vcc
	v_cndmask_b32_e32 v0, v0, v1, vcc
	v_add_u32_e32 v1, 1, v0
	v_cmp_le_u32_e32 vcc, s22, v13
	s_nop 1
	v_cndmask_b32_e32 v0, v0, v1, vcc
.LBB67_11:
	v_cmp_ne_u32_e32 vcc, v8, v0
	s_cbranch_vccz .LBB67_14
; %bb.12:
	s_add_i32 s0, s12, s22
	s_lshl_b32 s0, s0, 2
	v_mul_hi_u32 v1, v0, s16
	s_add_i32 s0, s0, s21
	s_mov_b32 s1, s6
	v_add_u32_e32 v1, v1, v0
	s_lshl_b64 s[0:1], s[0:1], 3
	v_lshrrev_b32_e32 v1, s17, v1
	s_add_u32 s2, s10, s0
	v_mul_lo_u32 v13, v1, s18
	s_addc_u32 s3, s11, s1
	v_cmp_eq_u32_e32 vcc, v13, v0
	v_cmp_gt_u32_e64 s[0:1], s19, v1
	s_or_b64 s[0:1], s[0:1], vcc
	s_and_b64 vcc, exec, s[0:1]
	s_cbranch_vccnz .LBB67_16
; %bb.13:
	s_add_i32 s7, s12, -1
	s_mov_b64 s[0:1], 0
	s_branch .LBB67_17
.LBB67_14:
                                        ; implicit-def: $sgpr0_sgpr1
                                        ; implicit-def: $vgpr14
                                        ; implicit-def: $vgpr1
                                        ; implicit-def: $vgpr13
                                        ; implicit-def: $sgpr7
                                        ; implicit-def: $vgpr0
	s_branch .LBB67_18
.LBB67_15:
                                        ; implicit-def: $vgpr0_vgpr1
	s_branch .LBB67_10
.LBB67_16:
	s_mov_b64 s[0:1], -1
	s_mov_b32 s7, s12
	v_mov_b32_e32 v0, v8
.LBB67_17:
	s_mul_i32 s20, s12, 0x140
	v_add_u32_e32 v14, s20, v4
	v_ashrrev_i32_e32 v15, 31, v14
	v_lshl_add_u64 v[14:15], v[14:15], 2, s[4:5]
	global_load_dword v14, v[14:15], off
	s_load_dwordx2 s[2:3], s[2:3], 0x0
	v_max_f32_e32 v1, v7, v7
	s_waitcnt lgkmcnt(0)
	v_max_f32_e64 v13, s2, s2
	v_max_f32_e32 v1, v1, v13
	v_sub_f32_e32 v13, v7, v1
	v_sub_f32_e32 v15, s2, v1
	v_mul_f32_e32 v16, 0x3fb8aa3b, v13
	v_mul_f32_e32 v17, 0x3fb8aa3b, v15
	v_fma_f32 v18, v13, s8, -v16
	v_rndne_f32_e32 v19, v16
	v_fma_f32 v20, v15, s8, -v17
	v_rndne_f32_e32 v21, v17
	v_fmac_f32_e32 v18, 0x32a5705f, v13
	v_sub_f32_e32 v16, v16, v19
	v_fmac_f32_e32 v20, 0x32a5705f, v15
	v_sub_f32_e32 v17, v17, v21
	v_add_f32_e32 v16, v16, v18
	v_cvt_i32_f32_e32 v19, v19
	v_add_f32_e32 v17, v17, v20
	v_exp_f32_e32 v16, v16
	v_cvt_i32_f32_e32 v21, v21
	v_exp_f32_e32 v17, v17
	v_cmp_ngt_f32_e32 vcc, s9, v13
	v_ldexp_f32 v16, v16, v19
	v_ldexp_f32 v17, v17, v21
	v_cndmask_b32_e32 v16, 0, v16, vcc
	v_cmp_ngt_f32_e32 vcc, s9, v15
	s_nop 1
	v_cndmask_b32_e32 v17, 0, v17, vcc
	v_cmp_nlt_f32_e32 vcc, s13, v13
	s_nop 1
	v_cndmask_b32_e32 v16, v12, v16, vcc
	v_cmp_nlt_f32_e32 vcc, s13, v15
	s_nop 1
	v_cndmask_b32_e32 v17, v12, v17, vcc
	v_cmp_le_f32_e32 vcc, s14, v13
	s_nop 1
	v_cndmask_b32_e32 v16, 0, v16, vcc
	v_cmp_le_f32_e32 vcc, s14, v15
	s_nop 1
	v_cndmask_b32_e32 v15, 0, v17, vcc
	v_mul_f32_e32 v13, s3, v15
	v_fmac_f32_e32 v13, v6, v16
	s_waitcnt vmcnt(0)
	v_mul_f32_e32 v14, v14, v15
	v_fmac_f32_e32 v14, v5, v16
	s_cbranch_execnz .LBB67_19
.LBB67_18:
	s_add_i32 s7, s12, -1
	s_mov_b64 s[0:1], 0
	v_mov_b32_e32 v0, v8
	v_mov_b32_e32 v13, v6
	;; [unrolled: 1-line block ×3, first 2 shown]
	s_waitcnt vmcnt(0)
	v_mov_b32_e32 v14, v5
.LBB67_19:
	s_andn2_b64 vcc, exec, s[0:1]
	s_cbranch_vccz .LBB67_23
; %bb.20:
	v_mov_b32_e32 v8, v0
	s_mov_b32 s12, s7
	v_mov_b32_e32 v6, v13
	v_mov_b32_e32 v7, v1
	s_waitcnt vmcnt(0)
	v_mov_b32_e32 v5, v14
	s_mul_hi_i32 s7, s12, s15
	s_cmp_lg_u64 s[6:7], 0
	s_mul_i32 s2, s12, s15
	s_cbranch_scc1 .LBB67_9
	s_branch .LBB67_15
.LBB67_21:
                                        ; implicit-def: $sgpr20_sgpr21
	s_load_dwordx4 s[16:19], s[0:1], 0x44
	s_branch .LBB67_2
.LBB67_22:
                                        ; implicit-def: $vgpr2_vgpr3
	s_branch .LBB67_5
.LBB67_23:
	v_div_scale_f32 v0, s[0:1], v13, v13, v14
	v_rcp_f32_e32 v1, v0
	v_div_scale_f32 v4, vcc, v14, v13, v14
	s_waitcnt vmcnt(0)
	v_fma_f32 v5, -v0, v1, 1.0
	v_fmac_f32_e32 v1, v5, v1
	v_mul_f32_e32 v5, v4, v1
	v_fma_f32 v6, -v0, v5, v4
	v_fmac_f32_e32 v5, v6, v1
	v_fma_f32 v0, -v0, v5, v4
	v_div_fmas_f32 v0, v0, v1, v5
	v_div_fixup_f32 v0, v0, v13, v14
	global_store_dword v[2:3], v0, off
.LBB67_24:
	s_endpgm
	.section	.rodata,"a",@progbits
	.p2align	6, 0x0
	.amdhsa_kernel _ZL33flash_attn_stream_k_fixup_generalILi80ELi4ELi1EEvPfPK15HIP_vector_typeIfLj2EEiiiiS1_IjLj3EES5_S5_S5_
		.amdhsa_group_segment_fixed_size 0
		.amdhsa_private_segment_fixed_size 0
		.amdhsa_kernarg_size 336
		.amdhsa_user_sgpr_count 2
		.amdhsa_user_sgpr_dispatch_ptr 0
		.amdhsa_user_sgpr_queue_ptr 0
		.amdhsa_user_sgpr_kernarg_segment_ptr 1
		.amdhsa_user_sgpr_dispatch_id 0
		.amdhsa_user_sgpr_kernarg_preload_length 0
		.amdhsa_user_sgpr_kernarg_preload_offset 0
		.amdhsa_user_sgpr_private_segment_size 0
		.amdhsa_uses_dynamic_stack 0
		.amdhsa_enable_private_segment 0
		.amdhsa_system_sgpr_workgroup_id_x 1
		.amdhsa_system_sgpr_workgroup_id_y 1
		.amdhsa_system_sgpr_workgroup_id_z 1
		.amdhsa_system_sgpr_workgroup_info 0
		.amdhsa_system_vgpr_workitem_id 0
		.amdhsa_next_free_vgpr 22
		.amdhsa_next_free_sgpr 32
		.amdhsa_accum_offset 24
		.amdhsa_reserve_vcc 1
		.amdhsa_float_round_mode_32 0
		.amdhsa_float_round_mode_16_64 0
		.amdhsa_float_denorm_mode_32 3
		.amdhsa_float_denorm_mode_16_64 3
		.amdhsa_dx10_clamp 1
		.amdhsa_ieee_mode 1
		.amdhsa_fp16_overflow 0
		.amdhsa_tg_split 0
		.amdhsa_exception_fp_ieee_invalid_op 0
		.amdhsa_exception_fp_denorm_src 0
		.amdhsa_exception_fp_ieee_div_zero 0
		.amdhsa_exception_fp_ieee_overflow 0
		.amdhsa_exception_fp_ieee_underflow 0
		.amdhsa_exception_fp_ieee_inexact 0
		.amdhsa_exception_int_div_zero 0
	.end_amdhsa_kernel
	.section	.text._ZL33flash_attn_stream_k_fixup_generalILi80ELi4ELi1EEvPfPK15HIP_vector_typeIfLj2EEiiiiS1_IjLj3EES5_S5_S5_,"axG",@progbits,_ZL33flash_attn_stream_k_fixup_generalILi80ELi4ELi1EEvPfPK15HIP_vector_typeIfLj2EEiiiiS1_IjLj3EES5_S5_S5_,comdat
.Lfunc_end67:
	.size	_ZL33flash_attn_stream_k_fixup_generalILi80ELi4ELi1EEvPfPK15HIP_vector_typeIfLj2EEiiiiS1_IjLj3EES5_S5_S5_, .Lfunc_end67-_ZL33flash_attn_stream_k_fixup_generalILi80ELi4ELi1EEvPfPK15HIP_vector_typeIfLj2EEiiiiS1_IjLj3EES5_S5_S5_
                                        ; -- End function
	.section	.AMDGPU.csdata,"",@progbits
; Kernel info:
; codeLenInByte = 2860
; NumSgprs: 38
; NumVgprs: 22
; NumAgprs: 0
; TotalNumVgprs: 22
; ScratchSize: 0
; MemoryBound: 0
; FloatMode: 240
; IeeeMode: 1
; LDSByteSize: 0 bytes/workgroup (compile time only)
; SGPRBlocks: 4
; VGPRBlocks: 2
; NumSGPRsForWavesPerEU: 38
; NumVGPRsForWavesPerEU: 22
; AccumOffset: 24
; Occupancy: 8
; WaveLimiterHint : 0
; COMPUTE_PGM_RSRC2:SCRATCH_EN: 0
; COMPUTE_PGM_RSRC2:USER_SGPR: 2
; COMPUTE_PGM_RSRC2:TRAP_HANDLER: 0
; COMPUTE_PGM_RSRC2:TGID_X_EN: 1
; COMPUTE_PGM_RSRC2:TGID_Y_EN: 1
; COMPUTE_PGM_RSRC2:TGID_Z_EN: 1
; COMPUTE_PGM_RSRC2:TIDIG_COMP_CNT: 0
; COMPUTE_PGM_RSRC3_GFX90A:ACCUM_OFFSET: 5
; COMPUTE_PGM_RSRC3_GFX90A:TG_SPLIT: 0
	.section	.text._ZL15flash_attn_tileILi80ELi80ELi2ELi1ELb0EEvPKcS1_S1_S1_S1_PKiPfP15HIP_vector_typeIfLj2EEffffjfiS5_IjLj3EEiiiiiiiiiiiliiliiiiil,"axG",@progbits,_ZL15flash_attn_tileILi80ELi80ELi2ELi1ELb0EEvPKcS1_S1_S1_S1_PKiPfP15HIP_vector_typeIfLj2EEffffjfiS5_IjLj3EEiiiiiiiiiiiliiliiiiil,comdat
	.globl	_ZL15flash_attn_tileILi80ELi80ELi2ELi1ELb0EEvPKcS1_S1_S1_S1_PKiPfP15HIP_vector_typeIfLj2EEffffjfiS5_IjLj3EEiiiiiiiiiiiliiliiiiil ; -- Begin function _ZL15flash_attn_tileILi80ELi80ELi2ELi1ELb0EEvPKcS1_S1_S1_S1_PKiPfP15HIP_vector_typeIfLj2EEffffjfiS5_IjLj3EEiiiiiiiiiiiliiliiiiil
	.p2align	8
	.type	_ZL15flash_attn_tileILi80ELi80ELi2ELi1ELb0EEvPKcS1_S1_S1_S1_PKiPfP15HIP_vector_typeIfLj2EEffffjfiS5_IjLj3EEiiiiiiiiiiiliiliiiiil,@function
_ZL15flash_attn_tileILi80ELi80ELi2ELi1ELb0EEvPKcS1_S1_S1_S1_PKiPfP15HIP_vector_typeIfLj2EEffffjfiS5_IjLj3EEiiiiiiiiiiiliiliiiiil: ; @_ZL15flash_attn_tileILi80ELi80ELi2ELi1ELb0EEvPKcS1_S1_S1_S1_PKiPfP15HIP_vector_typeIfLj2EEffffjfiS5_IjLj3EEiiiiiiiiiiiliiliiiiil
; %bb.0:
	s_load_dwordx4 s[28:31], s[0:1], 0x5c
	s_load_dwordx2 s[42:43], s[0:1], 0x80
	s_load_dwordx16 s[12:27], s[0:1], 0x0
	s_load_dwordx2 s[44:45], s[0:1], 0xb8
	s_mov_b64 s[40:41], 0
	s_waitcnt lgkmcnt(0)
	v_cvt_f32_u32_e32 v1, s31
	s_sub_i32 s5, 0, s31
	v_rcp_iflag_f32_e32 v1, v1
	s_nop 0
	v_mul_f32_e32 v1, 0x4f7ffffe, v1
	v_cvt_u32_f32_e32 v1, v1
	s_nop 0
	v_readfirstlane_b32 s6, v1
	s_mul_i32 s5, s5, s6
	s_mul_hi_u32 s5, s6, s5
	s_add_i32 s6, s6, s5
	s_mul_hi_u32 s5, s4, s6
	s_mul_i32 s6, s5, s31
	s_sub_i32 s6, s4, s6
	s_add_i32 s7, s5, 1
	s_sub_i32 s8, s6, s31
	s_cmp_ge_u32 s6, s31
	s_cselect_b32 s5, s7, s5
	s_cselect_b32 s6, s8, s6
	s_add_i32 s7, s5, 1
	s_cmp_ge_u32 s6, s31
	s_cselect_b32 s33, s7, s5
	s_abs_i32 s5, s43
	v_cvt_f32_u32_e32 v1, s5
	s_mul_i32 s8, s33, s31
	s_sub_i32 s9, 0, s5
	s_sub_i32 s34, s4, s8
	v_rcp_iflag_f32_e32 v1, v1
	s_abs_i32 s7, s31
	s_xor_b32 s6, s31, s43
	s_ashr_i32 s6, s6, 31
	v_mul_f32_e32 v1, 0x4f7ffffe, v1
	v_cvt_u32_f32_e32 v1, v1
	s_nop 0
	v_readfirstlane_b32 s4, v1
	s_mul_i32 s9, s9, s4
	s_mul_hi_u32 s8, s4, s9
	s_add_i32 s4, s4, s8
	s_mul_hi_u32 s4, s7, s4
	s_mul_i32 s8, s4, s5
	s_sub_i32 s7, s7, s8
	s_add_i32 s9, s4, 1
	s_sub_i32 s8, s7, s5
	s_cmp_ge_u32 s7, s5
	s_cselect_b32 s4, s9, s4
	s_cselect_b32 s7, s8, s7
	s_add_i32 s8, s4, 1
	s_cmp_ge_u32 s7, s5
	s_cselect_b32 s4, s8, s4
	s_xor_b32 s4, s4, s6
	s_sub_i32 s46, s4, s6
	s_abs_i32 s43, s46
	v_cvt_f32_u32_e32 v1, s43
	s_sub_i32 s4, 0, s43
	s_cmp_eq_u64 s[18:19], 0
	v_rcp_iflag_f32_e32 v1, v1
	s_nop 0
	v_mul_f32_e32 v1, 0x4f7ffffe, v1
	v_cvt_u32_f32_e32 v1, v1
	s_nop 0
	v_readfirstlane_b32 s10, v1
	s_mul_i32 s4, s4, s10
	s_mul_hi_u32 s4, s10, s4
	s_cbranch_scc1 .LBB68_2
; %bb.1:
	s_abs_i32 s5, s44
	v_cvt_f32_u32_e32 v1, s5
	s_sub_i32 s11, 0, s5
	s_abs_i32 s9, s33
	s_ashr_i32 s8, s33, 31
	v_rcp_iflag_f32_e32 v1, v1
	s_load_dwordx2 s[6:7], s[0:1], 0xc8
	v_mul_f32_e32 v1, 0x4f7ffffe, v1
	v_cvt_u32_f32_e32 v1, v1
	s_nop 0
	v_readfirstlane_b32 s35, v1
	s_mul_i32 s11, s11, s35
	s_mul_hi_u32 s11, s35, s11
	s_add_i32 s35, s35, s11
	s_mul_hi_u32 s11, s9, s35
	s_mul_i32 s11, s11, s5
	s_sub_i32 s9, s9, s11
	s_sub_i32 s11, s9, s5
	s_cmp_ge_u32 s9, s5
	s_cselect_b32 s9, s11, s9
	s_sub_i32 s11, s9, s5
	s_cmp_ge_u32 s9, s5
	s_cselect_b32 s5, s11, s9
	s_xor_b32 s5, s5, s8
	s_sub_i32 s5, s5, s8
	s_ashr_i32 s8, s5, 31
	s_waitcnt lgkmcnt(0)
	s_mul_i32 s7, s5, s7
	s_mul_hi_u32 s9, s5, s6
	s_add_i32 s7, s9, s7
	s_mul_i32 s8, s8, s6
	s_add_i32 s7, s7, s8
	s_mul_i32 s5, s5, s6
	s_add_u32 s40, s18, s5
	s_addc_u32 s41, s19, s7
.LBB68_2:
	s_load_dwordx4 s[36:39], s[0:1], 0x40
	s_add_i32 s10, s10, s4
	s_load_dword s4, s[0:1], 0x50
	s_abs_i32 s18, s34
	v_mov_b32_e32 v69, 1.0
	s_waitcnt lgkmcnt(0)
	v_cmp_le_f32_e64 s[6:7], s37, 0
	s_and_b64 vcc, exec, s[6:7]
	s_cbranch_vccnz .LBB68_4
; %bb.3:
	s_sub_i32 s5, s34, s4
	s_lshl_b32 s5, s5, 1
	s_add_i32 s6, s34, 1
	s_or_b32 s7, s5, 1
	s_cmp_lt_u32 s34, s4
	s_cselect_b64 vcc, -1, 0
	s_and_b64 s[4:5], vcc, exec
	v_mov_b32_e32 v1, s39
	v_mov_b32_e32 v2, s38
	s_cselect_b32 s4, s6, s7
	v_cndmask_b32_e32 v18, v1, v2, vcc
	v_cvt_f32_i32_e32 v1, s4
	v_cmp_neq_f32_e32 vcc, 1.0, v18
	s_mov_b32 s4, 0x3f2aaaab
	s_movk_i32 s6, 0x204
	v_cndmask_b32_e32 v19, 1.0, v1, vcc
	v_cmp_eq_f32_e32 vcc, 0, v19
	s_mov_b32 s8, 0x42b17218
	s_mov_b32 s7, 0x7f800000
	v_cndmask_b32_e64 v20, |v18|, 1.0, vcc
	v_frexp_mant_f32_e32 v1, v20
	v_cmp_gt_f32_e64 s[4:5], s4, v1
	s_brev_b32 s11, -2
	s_nop 0
	v_cndmask_b32_e64 v2, 1.0, 2.0, s[4:5]
	v_mul_f32_e32 v1, v1, v2
	v_add_f32_e32 v2, 1.0, v1
	v_rcp_f32_e32 v10, v2
	v_add_f32_e32 v3, -1.0, v2
	v_sub_f32_e32 v5, v1, v3
	v_add_f32_e32 v3, -1.0, v1
	v_mul_f32_e32 v1, v3, v10
	v_mul_f32_e32 v4, v2, v1
	v_fma_f32 v6, v1, v2, -v4
	v_fmac_f32_e32 v6, v1, v5
	v_add_f32_e32 v2, v4, v6
	v_sub_f32_e32 v5, v3, v2
	v_pk_add_f32 v[8:9], v[2:3], v[4:5] neg_lo:[0,1] neg_hi:[0,1]
	v_mov_b32_e32 v7, v2
	v_pk_add_f32 v[2:3], v[8:9], v[6:7] neg_lo:[0,1] neg_hi:[0,1]
	v_mov_b32_e32 v6, 0x3e91f4c4
	v_add_f32_e32 v2, v2, v3
	v_add_f32_e32 v2, v5, v2
	v_mul_f32_e32 v3, v10, v2
	v_add_f32_e32 v2, v1, v3
	v_sub_f32_e32 v1, v2, v1
	v_sub_f32_e32 v1, v3, v1
	v_mul_f32_e32 v3, v2, v2
	v_fma_f32 v5, v2, v2, -v3
	v_add_f32_e32 v4, v1, v1
	v_fmac_f32_e32 v5, v2, v4
	v_add_f32_e32 v4, v3, v5
	v_fmac_f32_e32 v6, 0x3e76c4e1, v4
	v_fmaak_f32 v6, v4, v6, 0x3ecccdef
	v_sub_f32_e32 v3, v4, v3
	v_sub_f32_e32 v12, v5, v3
	v_mul_f32_e32 v3, v4, v6
	v_fma_f32 v5, v4, v6, -v3
	v_fmac_f32_e32 v5, v12, v6
	v_add_f32_e32 v6, v3, v5
	v_add_f32_e32 v7, 0x3f2aaaaa, v6
	v_sub_f32_e32 v3, v6, v3
	v_sub_f32_e32 v3, v5, v3
	v_add_f32_e32 v5, 0xbf2aaaaa, v7
	v_add_f32_e32 v3, 0x31739010, v3
	v_sub_f32_e32 v5, v6, v5
	v_pk_mul_f32 v[8:9], v[2:3], v[4:5]
	v_pk_add_f32 v[10:11], v[2:3], v[4:5]
	v_fma_f32 v6, v4, v2, -v8
	v_fmac_f32_e32 v6, v4, v1
	v_mov_b32_e32 v9, v11
	v_fmac_f32_e32 v6, v12, v2
	v_pk_add_f32 v[4:5], v[8:9], v[6:7]
	v_ldexp_f32 v1, v1, 1
	v_sub_f32_e32 v3, v4, v8
	v_sub_f32_e32 v3, v6, v3
	;; [unrolled: 1-line block ×3, first 2 shown]
	v_add_f32_e32 v9, v11, v6
	v_mov_b32_e32 v6, v5
	v_pk_mul_f32 v[6:7], v[4:5], v[6:7]
	v_cvt_f64_f32_e32 v[10:11], v20
	v_frexp_exp_i32_f64_e32 v7, v[10:11]
	v_subbrev_co_u32_e64 v7, s[4:5], 0, v7, s[4:5]
	v_cvt_f32_i32_e32 v7, v7
	v_fma_f32 v8, v4, v5, -v6
	v_fmac_f32_e32 v8, v4, v9
	s_mov_b32 s4, 0x3f317218
	v_mul_f32_e32 v4, 0x3f317218, v7
	v_fmac_f32_e32 v8, v3, v5
	v_fma_f32 v3, v7, s4, -v4
	v_fmamk_f32 v10, v7, 0xb102e308, v3
	v_ldexp_f32 v11, v2, 1
	v_add_f32_e32 v5, v6, v8
	v_pk_add_f32 v[2:3], v[4:5], v[10:11]
	v_mov_b32_e32 v12, v5
	v_mov_b32_e32 v13, v3
	;; [unrolled: 1-line block ×3, first 2 shown]
	v_pk_add_f32 v[6:7], v[12:13], v[6:7] neg_lo:[0,1] neg_hi:[0,1]
	v_mov_b32_e32 v9, v5
	v_pk_add_f32 v[6:7], v[8:9], v[6:7] neg_lo:[0,1] neg_hi:[0,1]
	v_mov_b32_e32 v11, v2
	v_add_f32_e32 v1, v1, v6
	v_add_f32_e32 v5, v1, v7
	v_pk_add_f32 v[6:7], v[2:3], v[4:5] neg_lo:[0,1] neg_hi:[0,1]
	v_pk_add_f32 v[8:9], v[2:3], v[4:5]
	v_mov_b32_e32 v12, v6
	v_mov_b32_e32 v13, v9
	v_pk_add_f32 v[12:13], v[10:11], v[12:13]
	v_pk_add_f32 v[6:7], v[10:11], v[6:7] neg_lo:[0,1] neg_hi:[0,1]
	v_mov_b32_e32 v4, v13
	v_pk_add_f32 v[14:15], v[4:5], v[2:3] neg_lo:[0,1] neg_hi:[0,1]
	v_mov_b32_e32 v12, v9
	v_mov_b32_e32 v1, v14
	;; [unrolled: 1-line block ×4, first 2 shown]
	v_pk_add_f32 v[16:17], v[8:9], v[0:1] neg_lo:[0,1] neg_hi:[0,1]
	v_pk_add_f32 v[2:3], v[12:13], v[2:3] neg_lo:[0,1] neg_hi:[0,1]
	v_mov_b32_e32 v10, v5
	v_pk_add_f32 v[2:3], v[10:11], v[2:3] neg_lo:[0,1] neg_hi:[0,1]
	v_mov_b32_e32 v16, v6
	v_pk_add_f32 v[8:9], v[16:17], v[2:3]
	v_mov_b32_e32 v7, v13
	v_mov_b32_e32 v10, v9
	v_pk_add_f32 v[10:11], v[8:9], v[10:11]
	s_nop 0
	v_pk_add_f32 v[4:5], v[4:5], v[10:11]
	v_mov_b32_e32 v3, v10
	v_mov_b32_e32 v9, v4
	v_pk_add_f32 v[12:13], v[8:9], v[6:7] neg_lo:[0,1] neg_hi:[0,1]
	s_nop 0
	v_sub_f32_e32 v1, v8, v12
	v_pk_add_f32 v[2:3], v[2:3], v[12:13] neg_lo:[0,1] neg_hi:[0,1]
	v_sub_f32_e32 v1, v6, v1
	v_add_f32_e32 v1, v2, v1
	v_add_f32_e32 v1, v1, v3
	;; [unrolled: 1-line block ×3, first 2 shown]
	v_sub_f32_e32 v3, v2, v4
	v_sub_f32_e32 v1, v1, v3
	v_mul_f32_e32 v3, v19, v2
	v_fma_f32 v2, v19, v2, -v3
	v_fmac_f32_e32 v2, v19, v1
	v_add_f32_e32 v1, v3, v2
	v_cmp_class_f32_e64 s[4:5], v3, s6
	v_sub_f32_e32 v4, v1, v3
	v_sub_f32_e32 v2, v2, v4
	v_cndmask_b32_e64 v1, v1, v3, s[4:5]
	v_mov_b32_e32 v3, 0x37000000
	v_cmp_eq_f32_e64 s[4:5], s8, v1
	s_nop 1
	v_cndmask_b32_e64 v3, 0, v3, s[4:5]
	v_sub_f32_e32 v4, v1, v3
	s_mov_b32 s4, 0x3fb8aa3b
	v_mul_f32_e32 v5, 0x3fb8aa3b, v4
	v_fma_f32 v6, v4, s4, -v5
	v_rndne_f32_e32 v7, v5
	v_fmamk_f32 v6, v4, 0x32a5705f, v6
	v_sub_f32_e32 v5, v5, v7
	v_add_f32_e32 v5, v5, v6
	v_exp_f32_e32 v5, v5
	v_cvt_i32_f32_e32 v6, v7
	v_cmp_neq_f32_e64 s[4:5], |v1|, s7
	s_nop 1
	v_cndmask_b32_e64 v1, 0, v2, s[4:5]
	s_mov_b32 s4, 0xc2ce8ed0
	v_ldexp_f32 v2, v5, v6
	v_cmp_ngt_f32_e64 s[4:5], s4, v4
	v_add_f32_e32 v1, v3, v1
	v_mov_b32_e32 v3, 0x7f800000
	v_cndmask_b32_e64 v2, 0, v2, s[4:5]
	v_cmp_nlt_f32_e64 s[4:5], s8, v4
	v_trunc_f32_e32 v4, v19
	v_mov_b32_e32 v5, 0x7fc00000
	v_cndmask_b32_e64 v2, v3, v2, s[4:5]
	v_fma_f32 v1, v2, v1, v2
	v_cmp_class_f32_e64 s[4:5], v2, s6
	v_cmp_gt_f32_e64 s[8:9], 0, v19
	s_nop 0
	v_cndmask_b32_e64 v1, v1, v2, s[4:5]
	v_cndmask_b32_e64 v2, v18, 1.0, vcc
	v_cmp_eq_f32_e32 vcc, v4, v19
	v_mul_f32_e32 v4, 0.5, v19
	v_trunc_f32_e32 v6, v4
	v_cmp_neq_f32_e64 s[4:5], v6, v4
	s_and_b64 s[4:5], vcc, s[4:5]
	s_nop 0
	v_cndmask_b32_e64 v4, 1.0, v2, s[4:5]
	v_bfi_b32 v1, s11, v1, v4
	v_cndmask_b32_e32 v4, v5, v1, vcc
	v_cmp_gt_f32_e32 vcc, 0, v2
	s_nop 1
	v_cndmask_b32_e32 v1, v1, v4, vcc
	v_cmp_eq_f32_e32 vcc, s7, v20
	v_cmp_eq_f32_e64 s[6:7], 0, v2
	s_xor_b64 s[8:9], s[8:9], s[6:7]
	v_cndmask_b32_e64 v3, v3, 0, s[8:9]
	v_cndmask_b32_e64 v4, 0, v2, s[4:5]
	v_bfi_b32 v3, s11, v3, v4
	s_or_b64 vcc, vcc, s[6:7]
	v_cndmask_b32_e32 v1, v1, v3, vcc
	v_cmp_o_f32_e32 vcc, v2, v2
	s_nop 1
	v_cndmask_b32_e32 v69, v5, v1, vcc
.LBB68_4:
	s_lshl_b32 s4, s2, 1
	v_bfe_u32 v68, v0, 10, 10
	v_and_b32_e32 v40, 0x3ff, v0
	s_mul_hi_u32 s6, s18, s10
	v_cmp_gt_u32_e64 s[10:11], 20, v40
	v_add_u32_e32 v41, s4, v68
	v_lshlrev_b32_e32 v42, 4, v40
	s_and_saveexec_b64 s[4:5], s[10:11]
	s_cbranch_execz .LBB68_6
; %bb.5:
	s_load_dwordx4 s[48:51], s[0:1], 0x70
	v_mul_hi_u32 v0, s28, v41
	v_add_u32_e32 v0, v41, v0
	v_lshrrev_b32_e32 v0, s29, v0
	v_mul_lo_u32 v0, v0, s30
	s_waitcnt lgkmcnt(0)
	s_mul_i32 s7, s33, s50
	s_ashr_i32 s9, s7, 31
	s_mul_i32 s8, s34, s49
	s_add_u32 s7, s12, s7
	s_addc_u32 s9, s13, s9
	s_ashr_i32 s12, s8, 31
	s_add_u32 s8, s7, s8
	s_addc_u32 s9, s9, s12
	v_sub_u32_e32 v3, v41, v0
	s_ashr_i32 s7, s48, 31
	v_mov_b32_e32 v0, s48
	v_alignbit_b32 v0, s7, v0, 2
	v_mad_u64_u32 v[0:1], s[12:13], v0, v3, 0
	v_mov_b32_e32 v2, v1
	s_lshr_b32 s7, s7, 2
	v_mad_u64_u32 v[2:3], s[12:13], s7, v3, v[2:3]
	v_mov_b32_e32 v1, v2
	v_lshl_add_u64 v[0:1], v[0:1], 2, s[8:9]
	v_mov_b32_e32 v43, 0
	v_lshl_add_u64 v[0:1], v[0:1], 0, v[42:43]
	global_load_dwordx4 v[0:3], v[0:1], off
	v_mul_u32_u24_e32 v4, 40, v68
	s_waitcnt vmcnt(0)
	v_pk_mul_f32 v[0:1], v[0:1], s[36:37] op_sel_hi:[1,0]
	v_pk_mul_f32 v[2:3], v[2:3], s[36:37] op_sel_hi:[1,0]
	v_cvt_f16_f32_e32 v5, v1
	v_cvt_f16_f32_e32 v1, v3
	;; [unrolled: 1-line block ×4, first 2 shown]
	v_lshlrev_b32_e32 v3, 1, v40
	v_add_lshl_u32 v3, v4, v3, 2
	v_pack_b32_f16 v1, v2, v1
	v_pack_b32_f16 v0, v0, v5
	ds_write_b64 v3, v[0:1] offset:3264
.LBB68_6:
	s_or_b64 exec, exec, s[4:5]
	s_ashr_i32 s35, s34, 31
	s_ashr_i32 s4, s46, 31
	s_cmp_eq_u64 s[22:23], 0
	s_waitcnt lgkmcnt(0)
	; wave barrier
	s_waitcnt lgkmcnt(0)
	s_cbranch_scc1 .LBB68_8
; %bb.7:
	s_load_dword s5, s[0:1], 0xd0
	s_mov_b32 s9, 0
	s_waitcnt lgkmcnt(0)
	s_mul_i32 s5, s5, s33
	s_add_i32 s8, s5, s2
	s_lshl_b64 s[8:9], s[8:9], 2
	s_add_u32 s8, s22, s8
	s_addc_u32 s9, s23, s9
	s_load_dword s42, s[8:9], 0x0
.LBB68_8:
	s_nop 0
	s_load_dwordx2 s[8:9], s[0:1], 0x8c
	s_load_dwordx4 s[48:51], s[0:1], 0x98
	s_load_dwordx2 s[12:13], s[0:1], 0xa8
	s_ashr_i32 s5, s33, 31
	s_ashr_i32 s37, s45, 1
	s_waitcnt lgkmcnt(0)
	s_ashr_i32 s38, s8, 2
	s_mul_i32 s7, s33, s49
	s_mul_hi_u32 s8, s33, s48
	s_add_i32 s7, s8, s7
	s_mul_i32 s8, s5, s48
	s_ashr_i32 s2, s50, 2
	s_add_i32 s7, s7, s8
	s_mul_i32 s8, s33, s48
	s_add_u32 s8, s14, s8
	s_mul_i32 s14, s6, s43
	s_addc_u32 s7, s15, s7
	s_sub_i32 s14, s18, s14
	s_xor_b32 s4, s35, s4
	s_add_i32 s15, s6, 1
	s_sub_i32 s18, s14, s43
	s_cmp_ge_u32 s14, s43
	s_cselect_b32 s6, s15, s6
	s_cselect_b32 s14, s18, s14
	s_add_i32 s15, s6, 1
	s_cmp_ge_u32 s14, s43
	s_cselect_b32 s6, s15, s6
	s_xor_b32 s6, s6, s4
	s_sub_i32 s4, s6, s4
	s_mul_i32 s6, s4, s9
	s_ashr_i32 s9, s6, 31
	s_add_u32 s39, s8, s6
	s_addc_u32 s43, s7, s9
	s_mul_i32 s6, s33, s13
	s_mul_hi_u32 s7, s33, s12
	s_add_i32 s6, s7, s6
	s_mul_i32 s5, s5, s12
	s_add_i32 s6, s6, s5
	s_mul_i32 s5, s33, s12
	s_add_u32 s5, s16, s5
	s_mul_i32 s4, s4, s51
	s_addc_u32 s6, s17, s6
	s_ashr_i32 s7, s4, 31
	s_add_u32 s22, s5, s4
	s_addc_u32 s23, s6, s7
	s_lshl_b32 s36, s3, 5
	s_sub_i32 s44, s42, 32
	s_cmp_ge_i32 s36, s44
	v_mov_b32_e32 v66, 0
	v_lshl_add_u32 v76, v68, 5, v40
	v_lshrrev_b32_e32 v75, 2, v40
	v_lshlrev_b32_e32 v43, 2, v40
	v_lshrrev_b32_e32 v71, 1, v40
	v_lshrrev_b32_e32 v70, 3, v40
	v_lshlrev_b32_e32 v59, 3, v40
	v_mbcnt_lo_u32_b32 v73, -1, 0
	s_cbranch_scc1 .LBB68_23
; %bb.9:
	v_and_b32_e32 v0, 12, v43
	v_lshl_add_u32 v1, v68, 3, v75
	v_lshlrev_b32_e32 v2, 2, v0
	s_movk_i32 s6, 0x60
	v_mad_u32_u24 v77, v1, s6, v2
	v_mul_lo_u32 v46, s38, v1
	v_mul_hi_u32 v1, s28, v41
	v_add_u32_e32 v1, v41, v1
	v_lshrrev_b32_e32 v1, s29, v1
	v_mul_lo_u32 v1, v1, s30
	v_sub_u32_e32 v1, v41, v1
	v_mad_u32_u24 v81, v76, s6, 64
	v_mad_u64_u32 v[52:53], s[6:7], v1, s37, v[40:41]
	v_mov_b32_e32 v1, 0xe00
	v_lshl_add_u32 v53, v68, 6, v1
	v_lshl_add_u32 v1, v68, 4, v71
	v_and_b32_e32 v58, 4, v43
	v_mul_u32_u24_e32 v2, 0xa0, v1
	v_lshl_or_b32 v2, v58, 2, v2
	v_lshl_add_u32 v3, v68, 2, v70
	v_add_u32_e32 v83, 0x80, v2
	v_and_b32_e32 v2, 28, v43
	s_movk_i32 s8, 0xa0
	s_cmp_lg_u64 s[40:41], 0
	v_cmp_gt_u32_e64 s[6:7], 16, v1
	v_mul_lo_u32 v54, s2, v3
	v_mul_lo_u32 v60, s2, v1
	v_lshlrev_b32_e32 v1, 2, v2
	v_mov_b32_e32 v45, 0
	v_lshl_add_u32 v48, s38, 4, v46
	v_mul_lo_u32 v50, s38, v76
	s_cselect_b64 s[12:13], -1, 0
	v_lshl_add_u32 v56, s2, 3, v54
	v_mad_u32_u24 v84, v3, s8, v1
	s_add_u32 s14, s0, 0xd0
	v_cmp_gt_u32_e64 s[4:5], 32, v76
	v_ashrrev_i32_e32 v47, 31, v46
	v_add_u32_e32 v78, 0x600, v77
	v_ashrrev_i32_e32 v49, 31, v48
	v_mul_u32_u24_e32 v79, 0x60, v40
	v_mul_u32_u24_e32 v80, 0xa0, v68
	v_ashrrev_i32_e32 v51, 31, v50
	v_lshl_add_u32 v82, v40, 1, v53
	v_ashrrev_i32_e32 v55, 31, v54
	v_ashrrev_i32_e32 v57, 31, v56
	;; [unrolled: 1-line block ×3, first 2 shown]
	v_add_u32_e32 v85, 0x500, v84
	s_addc_u32 s15, s1, 0
	v_mov_b32_e32 v6, 0xfeffffff
	v_lshlrev_b32_e32 v62, 2, v0
	v_mov_b32_e32 v63, v45
	v_mbcnt_hi_u32_b32 v86, -1, v73
	s_mov_b32 s45, 0x3fb8aa3b
	s_mov_b32 s46, 0xc2ce8ed0
	s_mov_b32 s47, 0x42b17218
	v_lshlrev_b32_e32 v44, 2, v2
	v_mov_b32_e32 v87, 0x7f800000
	v_mov_b32_e32 v67, v45
	;; [unrolled: 1-line block ×4, first 2 shown]
.LBB68_10:                              ; =>This Inner Loop Header: Depth=1
	s_mul_hi_i32 s9, s36, s38
	s_mul_i32 s8, s36, s38
	s_lshl_b64 s[8:9], s[8:9], 2
	s_add_u32 s8, s39, s8
	s_addc_u32 s9, s43, s9
	v_lshl_add_u64 v[0:1], v[50:51], 2, s[8:9]
	s_and_saveexec_b64 s[16:17], s[4:5]
	s_cbranch_execz .LBB68_12
; %bb.11:                               ;   in Loop: Header=BB68_10 Depth=1
	global_load_dwordx4 v[2:5], v[0:1], off offset:64
	s_waitcnt vmcnt(0)
	ds_write_b128 v81, v[2:5]
.LBB68_12:                              ;   in Loop: Header=BB68_10 Depth=1
	s_or_b64 exec, exec, s[16:17]
	v_lshl_add_u64 v[2:3], v[46:47], 2, s[8:9]
	v_lshl_add_u64 v[2:3], v[2:3], 0, v[62:63]
	;; [unrolled: 1-line block ×4, first 2 shown]
	global_load_dwordx4 v[8:11], v[2:3], off
	global_load_dwordx4 v[12:15], v[4:5], off
	v_mov_b32_e32 v7, v45
	s_waitcnt vmcnt(1)
	ds_write_b128 v77, v[8:11]
	s_waitcnt vmcnt(0)
	ds_write_b128 v78, v[12:15]
	s_waitcnt lgkmcnt(0)
	; wave barrier
	s_waitcnt lgkmcnt(0)
	ds_read_b128 v[8:11], v79
	ds_read_b128 v[12:15], v80 offset:3264
	s_waitcnt lgkmcnt(0)
	;;#ASMSTART
	v_dot2_f32_f16 v7, v8, v12, v7
	;;#ASMEND
	s_nop 0
	;;#ASMSTART
	v_dot2_f32_f16 v7, v9, v13, v7
	;;#ASMEND
	s_nop 0
	;;#ASMSTART
	v_dot2_f32_f16 v7, v10, v14, v7
	;;#ASMEND
	s_nop 0
	;;#ASMSTART
	v_dot2_f32_f16 v7, v11, v15, v7
	;;#ASMEND
	ds_read_b128 v[8:11], v79 offset:16
	ds_read_b128 v[12:15], v80 offset:3280
	s_waitcnt lgkmcnt(0)
	;;#ASMSTART
	v_dot2_f32_f16 v7, v8, v12, v7
	;;#ASMEND
	s_nop 0
	;;#ASMSTART
	v_dot2_f32_f16 v7, v9, v13, v7
	;;#ASMEND
	s_nop 0
	;;#ASMSTART
	v_dot2_f32_f16 v7, v10, v14, v7
	;;#ASMEND
	s_nop 0
	;;#ASMSTART
	v_dot2_f32_f16 v7, v11, v15, v7
	;;#ASMEND
	ds_read_b128 v[8:11], v79 offset:32
	;; [unrolled: 18-line block ×4, first 2 shown]
	ds_read_b128 v[12:15], v80 offset:3328
	s_waitcnt lgkmcnt(0)
	;;#ASMSTART
	v_dot2_f32_f16 v7, v8, v12, v7
	;;#ASMEND
	s_nop 0
	;;#ASMSTART
	v_dot2_f32_f16 v7, v9, v13, v7
	;;#ASMEND
	s_nop 0
	;; [unrolled: 4-line block ×3, first 2 shown]
	;;#ASMSTART
	v_dot2_f32_f16 v7, v11, v15, v7
	;;#ASMEND
	s_waitcnt lgkmcnt(0)
	; wave barrier
	s_and_saveexec_b64 s[8:9], s[4:5]
	s_cbranch_execz .LBB68_14
; %bb.13:                               ;   in Loop: Header=BB68_10 Depth=1
	global_load_dwordx4 v[8:11], v[0:1], off offset:144
	s_waitcnt vmcnt(0)
	ds_write_b128 v81, v[8:11]
.LBB68_14:                              ;   in Loop: Header=BB68_10 Depth=1
	s_or_b64 exec, exec, s[8:9]
	global_load_dwordx4 v[8:11], v[2:3], off offset:80
	global_load_dwordx4 v[12:15], v[4:5], off offset:80
	s_andn2_b64 vcc, exec, s[12:13]
	s_waitcnt vmcnt(1)
	ds_write_b128 v77, v[8:11]
	s_waitcnt vmcnt(0)
	ds_write_b128 v78, v[12:15]
	s_waitcnt lgkmcnt(0)
	; wave barrier
	s_waitcnt lgkmcnt(0)
	ds_read_b128 v[0:3], v79
	ds_read_b128 v[8:11], v80 offset:3344
	s_waitcnt lgkmcnt(0)
	;;#ASMSTART
	v_dot2_f32_f16 v7, v0, v8, v7
	;;#ASMEND
	s_nop 0
	;;#ASMSTART
	v_dot2_f32_f16 v7, v1, v9, v7
	;;#ASMEND
	s_nop 0
	;;#ASMSTART
	v_dot2_f32_f16 v7, v2, v10, v7
	;;#ASMEND
	s_nop 0
	;;#ASMSTART
	v_dot2_f32_f16 v7, v3, v11, v7
	;;#ASMEND
	ds_read_b128 v[0:3], v79 offset:16
	ds_read_b128 v[8:11], v80 offset:3360
	s_waitcnt lgkmcnt(0)
	;;#ASMSTART
	v_dot2_f32_f16 v7, v0, v8, v7
	;;#ASMEND
	s_nop 0
	;;#ASMSTART
	v_dot2_f32_f16 v7, v1, v9, v7
	;;#ASMEND
	s_nop 0
	;;#ASMSTART
	v_dot2_f32_f16 v7, v2, v10, v7
	;;#ASMEND
	s_nop 0
	;;#ASMSTART
	v_dot2_f32_f16 v7, v3, v11, v7
	;;#ASMEND
	ds_read_b128 v[0:3], v79 offset:32
	;; [unrolled: 18-line block ×4, first 2 shown]
	ds_read_b128 v[8:11], v80 offset:3408
	s_waitcnt lgkmcnt(0)
	;;#ASMSTART
	v_dot2_f32_f16 v7, v0, v8, v7
	;;#ASMEND
	s_nop 0
	;;#ASMSTART
	v_dot2_f32_f16 v7, v1, v9, v7
	;;#ASMEND
	s_nop 0
	;; [unrolled: 4-line block ×3, first 2 shown]
	;;#ASMSTART
	v_dot2_f32_f16 v7, v3, v11, v7
	;;#ASMEND
	s_cbranch_vccnz .LBB68_16
; %bb.15:                               ;   in Loop: Header=BB68_10 Depth=1
	v_add_u32_e32 v0, s36, v52
	v_ashrrev_i32_e32 v1, 31, v0
	v_lshl_add_u64 v[0:1], v[0:1], 1, s[40:41]
	flat_load_ushort v0, v[0:1]
	s_waitcnt vmcnt(0) lgkmcnt(0)
	v_cvt_f32_f16_e32 v0, v0
	v_mul_f32_e32 v0, v69, v0
	s_branch .LBB68_17
.LBB68_16:                              ;   in Loop: Header=BB68_10 Depth=1
	v_mov_b32_e32 v0, 0
.LBB68_17:                              ;   in Loop: Header=BB68_10 Depth=1
	v_add_f32_e32 v0, v7, v0
	v_add_f32_e32 v1, 0x40051340, v0
	v_max_f32_e32 v2, v6, v6
	v_max_f32_e32 v1, v2, v1
	v_and_b32_e32 v2, 0x60, v86
	v_add_u32_e32 v2, 32, v2
	v_xor_b32_e32 v3, 16, v86
	v_cmp_lt_i32_e32 vcc, v3, v2
	s_mul_hi_i32 s9, s36, s2
	s_mul_i32 s8, s36, s2
	v_cndmask_b32_e32 v3, v86, v3, vcc
	v_lshlrev_b32_e32 v3, 2, v3
	ds_bpermute_b32 v3, v3, v1
	s_lshl_b64 s[8:9], s[8:9], 2
	s_add_u32 s8, s22, s8
	s_addc_u32 s9, s23, s9
	v_lshlrev_b32_e32 v64, 2, v58
	s_waitcnt lgkmcnt(0)
	v_max_f32_e32 v3, v3, v3
	v_max_f32_e32 v1, v1, v3
	v_xor_b32_e32 v3, 8, v86
	v_cmp_lt_i32_e32 vcc, v3, v2
	s_waitcnt lgkmcnt(0)
	; wave barrier
	s_nop 0
	v_cndmask_b32_e32 v3, v86, v3, vcc
	v_lshlrev_b32_e32 v3, 2, v3
	ds_bpermute_b32 v3, v3, v1
	s_waitcnt lgkmcnt(0)
	v_max_f32_e32 v3, v3, v3
	v_max_f32_e32 v1, v1, v3
	v_xor_b32_e32 v3, 4, v86
	v_cmp_lt_i32_e32 vcc, v3, v2
	s_nop 1
	v_cndmask_b32_e32 v3, v86, v3, vcc
	v_lshlrev_b32_e32 v3, 2, v3
	ds_bpermute_b32 v3, v3, v1
	s_waitcnt lgkmcnt(0)
	v_max_f32_e32 v3, v3, v3
	v_max_f32_e32 v1, v1, v3
	v_xor_b32_e32 v3, 2, v86
	v_cmp_lt_i32_e32 vcc, v3, v2
	;; [unrolled: 9-line block ×3, first 2 shown]
	s_nop 1
	v_cndmask_b32_e32 v2, v86, v3, vcc
	v_lshlrev_b32_e32 v2, 2, v2
	ds_bpermute_b32 v2, v2, v1
	s_waitcnt lgkmcnt(0)
	v_max_f32_e32 v2, v2, v2
	v_max_f32_e32 v74, v1, v2
	v_sub_f32_e32 v0, v0, v74
	v_mul_f32_e32 v1, 0x3fb8aa3b, v0
	v_fma_f32 v2, v0, s45, -v1
	v_rndne_f32_e32 v3, v1
	v_fmac_f32_e32 v2, 0x32a5705f, v0
	v_sub_f32_e32 v1, v1, v3
	v_add_f32_e32 v1, v1, v2
	v_exp_f32_e32 v1, v1
	v_cvt_i32_f32_e32 v2, v3
	v_cmp_ngt_f32_e32 vcc, s46, v0
	v_ldexp_f32 v1, v1, v2
	s_nop 0
	v_cndmask_b32_e32 v1, 0, v1, vcc
	v_cmp_nlt_f32_e32 vcc, s47, v0
	s_nop 1
	v_cndmask_b32_e32 v72, v87, v1, vcc
	v_cvt_f16_f32_e32 v0, v72
	ds_write_b16 v82, v0
	s_and_saveexec_b64 s[16:17], s[6:7]
	s_cbranch_execz .LBB68_19
; %bb.18:                               ;   in Loop: Header=BB68_10 Depth=1
	v_lshl_add_u64 v[0:1], v[60:61], 2, s[8:9]
	v_mov_b32_e32 v65, v45
	v_lshl_add_u64 v[0:1], v[0:1], 0, v[64:65]
	global_load_dwordx4 v[0:3], v[0:1], off offset:128
	s_waitcnt vmcnt(0)
	ds_write_b128 v83, v[0:3]
.LBB68_19:                              ;   in Loop: Header=BB68_10 Depth=1
	s_or_b64 exec, exec, s[16:17]
	v_lshl_add_u64 v[0:1], v[54:55], 2, s[8:9]
	v_lshl_add_u64 v[4:5], v[0:1], 0, v[44:45]
	;; [unrolled: 1-line block ×4, first 2 shown]
	global_load_dwordx4 v[0:3], v[4:5], off
	global_load_dwordx4 v[8:11], v[12:13], off
	v_sub_f32_e32 v91, v6, v74
	v_add_u32_e32 v90, 0x400, v59
	v_add_u32_e32 v89, 0x800, v59
	s_or_b32 s16, s36, 16
	s_mul_hi_i32 s17, s16, s2
	s_mul_i32 s16, s16, s2
	s_lshl_b64 s[16:17], s[16:17], 2
	s_add_u32 s16, s22, s16
	v_cmp_ngt_f32_e32 vcc, s46, v91
	v_cmp_nlt_f32_e64 s[8:9], s47, v91
	s_addc_u32 s17, s23, s17
	s_waitcnt vmcnt(1)
	ds_write_b128 v84, v[0:3]
	s_waitcnt vmcnt(0)
	ds_write_b128 v85, v[8:11]
	s_waitcnt lgkmcnt(0)
	; wave barrier
	s_waitcnt lgkmcnt(0)
	ds_read2_b64 v[36:39], v59 offset1:20
	ds_read_b128 v[16:19], v53
	ds_read_b128 v[0:3], v53 offset:16
	ds_read2_b64 v[32:35], v59 offset0:40 offset1:60
	ds_read2_b64 v[28:31], v59 offset0:80 offset1:100
	;; [unrolled: 1-line block ×7, first 2 shown]
	s_waitcnt lgkmcnt(0)
	; wave barrier
	s_waitcnt lgkmcnt(0)
	s_and_saveexec_b64 s[18:19], s[6:7]
	s_cbranch_execz .LBB68_21
; %bb.20:                               ;   in Loop: Header=BB68_10 Depth=1
	v_lshl_add_u64 v[92:93], v[60:61], 2, s[16:17]
	v_mov_b32_e32 v65, v45
	v_lshl_add_u64 v[64:65], v[92:93], 0, v[64:65]
	global_load_dwordx4 v[92:95], v[64:65], off offset:128
	s_waitcnt vmcnt(0)
	ds_write_b128 v83, v[92:95]
.LBB68_21:                              ;   in Loop: Header=BB68_10 Depth=1
	s_or_b64 exec, exec, s[18:19]
	v_lshl_add_u64 v[64:65], v[54:55], 2, s[16:17]
	v_lshl_add_u64 v[64:65], v[64:65], 0, v[44:45]
	;; [unrolled: 1-line block ×4, first 2 shown]
	global_load_dwordx4 v[92:95], v[64:65], off
	global_load_dwordx4 v[96:99], v[100:101], off
	v_mul_f32_e32 v64, 0x3fb8aa3b, v91
	v_fma_f32 v65, v91, s45, -v64
	v_rndne_f32_e32 v100, v64
	v_fmac_f32_e32 v65, 0x32a5705f, v91
	v_sub_f32_e32 v64, v64, v100
	v_add_f32_e32 v64, v64, v65
	v_cvt_i32_f32_e32 v91, v100
	v_exp_f32_e32 v64, v64
	v_pk_mul_f16 v36, v36, v16 op_sel_hi:[1,0]
	v_pk_mul_f16 v37, v37, v16 op_sel_hi:[1,0]
	s_waitcnt vmcnt(1)
	ds_write_b128 v84, v[92:95]
	s_waitcnt vmcnt(0)
	ds_write_b128 v85, v[96:99]
	v_ldexp_f32 v64, v64, v91
	v_cndmask_b32_e32 v64, 0, v64, vcc
	v_cndmask_b32_e64 v64, v87, v64, s[8:9]
	v_cvt_f16_f32_e32 v65, v64
	v_fmac_f32_e32 v72, v88, v64
	s_waitcnt lgkmcnt(0)
	; wave barrier
	s_waitcnt lgkmcnt(0)
	v_pk_fma_f16 v36, v67, v65, v36 op_sel_hi:[1,0,1]
	v_pk_fma_f16 v37, v66, v65, v37 op_sel_hi:[1,0,1]
	v_pk_fma_f16 v36, v38, v16, v36 op_sel:[0,1,0]
	v_pk_fma_f16 v16, v39, v16, v37 op_sel:[0,1,0]
	v_pk_fma_f16 v32, v32, v17, v36 op_sel_hi:[1,0,1]
	v_pk_fma_f16 v16, v33, v17, v16 op_sel_hi:[1,0,1]
	v_pk_fma_f16 v32, v34, v17, v32 op_sel:[0,1,0]
	v_pk_fma_f16 v16, v35, v17, v16 op_sel:[0,1,0]
	v_pk_fma_f16 v17, v28, v18, v32 op_sel_hi:[1,0,1]
	v_pk_fma_f16 v16, v29, v18, v16 op_sel_hi:[1,0,1]
	v_pk_fma_f16 v17, v30, v18, v17 op_sel:[0,1,0]
	v_pk_fma_f16 v16, v31, v18, v16 op_sel:[0,1,0]
	v_pk_fma_f16 v17, v24, v19, v17 op_sel_hi:[1,0,1]
	v_pk_fma_f16 v16, v25, v19, v16 op_sel_hi:[1,0,1]
	v_pk_fma_f16 v17, v26, v19, v17 op_sel:[0,1,0]
	v_pk_fma_f16 v16, v27, v19, v16 op_sel:[0,1,0]
	v_pk_fma_f16 v17, v20, v0, v17 op_sel_hi:[1,0,1]
	v_pk_fma_f16 v16, v21, v0, v16 op_sel_hi:[1,0,1]
	v_pk_fma_f16 v17, v22, v0, v17 op_sel:[0,1,0]
	v_pk_fma_f16 v0, v23, v0, v16 op_sel:[0,1,0]
	v_pk_fma_f16 v12, v12, v1, v17 op_sel_hi:[1,0,1]
	v_pk_fma_f16 v0, v13, v1, v0 op_sel_hi:[1,0,1]
	v_pk_fma_f16 v12, v14, v1, v12 op_sel:[0,1,0]
	v_pk_fma_f16 v0, v15, v1, v0 op_sel:[0,1,0]
	v_pk_fma_f16 v1, v8, v2, v12 op_sel_hi:[1,0,1]
	v_pk_fma_f16 v0, v9, v2, v0 op_sel_hi:[1,0,1]
	v_pk_fma_f16 v1, v10, v2, v1 op_sel:[0,1,0]
	v_pk_fma_f16 v0, v11, v2, v0 op_sel:[0,1,0]
	v_pk_fma_f16 v1, v4, v3, v1 op_sel_hi:[1,0,1]
	v_pk_fma_f16 v0, v5, v3, v0 op_sel_hi:[1,0,1]
	v_pk_fma_f16 v1, v6, v3, v1 op_sel:[0,1,0]
	v_pk_fma_f16 v0, v7, v3, v0 op_sel:[0,1,0]
	ds_read2_b64 v[8:11], v59 offset1:20
	ds_read_b128 v[12:15], v53 offset:32
	ds_read_b128 v[16:19], v53 offset:48
	ds_read2_b64 v[20:23], v59 offset0:40 offset1:60
	ds_read2_b64 v[24:27], v59 offset0:80 offset1:100
	;; [unrolled: 1-line block ×7, first 2 shown]
	s_waitcnt lgkmcnt(8)
	v_pk_fma_f16 v1, v8, v12, v1 op_sel_hi:[1,0,1]
	v_pk_fma_f16 v0, v9, v12, v0 op_sel_hi:[1,0,1]
	v_pk_fma_f16 v1, v10, v12, v1 op_sel:[0,1,0]
	v_pk_fma_f16 v0, v11, v12, v0 op_sel:[0,1,0]
	s_waitcnt lgkmcnt(6)
	v_pk_fma_f16 v1, v20, v13, v1 op_sel_hi:[1,0,1]
	v_pk_fma_f16 v0, v21, v13, v0 op_sel_hi:[1,0,1]
	v_pk_fma_f16 v1, v22, v13, v1 op_sel:[0,1,0]
	v_pk_fma_f16 v0, v23, v13, v0 op_sel:[0,1,0]
	;; [unrolled: 5-line block ×4, first 2 shown]
	s_waitcnt lgkmcnt(0)
	; wave barrier
	s_waitcnt lgkmcnt(0)
	s_load_dword s8, s[14:15], 0x4
	v_pk_fma_f16 v1, v32, v16, v1 op_sel_hi:[1,0,1]
	v_pk_fma_f16 v0, v33, v16, v0 op_sel_hi:[1,0,1]
	v_pk_fma_f16 v1, v34, v16, v1 op_sel:[0,1,0]
	v_pk_fma_f16 v0, v35, v16, v0 op_sel:[0,1,0]
	v_pk_fma_f16 v1, v36, v17, v1 op_sel_hi:[1,0,1]
	v_pk_fma_f16 v0, v37, v17, v0 op_sel_hi:[1,0,1]
	v_pk_fma_f16 v1, v38, v17, v1 op_sel:[0,1,0]
	v_pk_fma_f16 v0, v39, v17, v0 op_sel:[0,1,0]
	v_pk_fma_f16 v1, v64, v18, v1 op_sel_hi:[1,0,1]
	v_pk_fma_f16 v0, v65, v18, v0 op_sel_hi:[1,0,1]
	s_waitcnt lgkmcnt(0)
	s_lshl_b32 s8, s8, 5
	v_pk_fma_f16 v1, v66, v18, v1 op_sel:[0,1,0]
	v_pk_fma_f16 v0, v67, v18, v0 op_sel:[0,1,0]
	s_add_i32 s36, s8, s36
	v_pk_fma_f16 v1, v88, v19, v1 op_sel_hi:[1,0,1]
	v_pk_fma_f16 v0, v89, v19, v0 op_sel_hi:[1,0,1]
	v_pk_fma_f16 v67, v90, v19, v1 op_sel:[0,1,0]
	s_cmp_lt_i32 s36, s44
	v_pk_fma_f16 v66, v91, v19, v0 op_sel:[0,1,0]
	s_cbranch_scc0 .LBB68_24
; %bb.22:                               ;   in Loop: Header=BB68_10 Depth=1
	v_mov_b32_e32 v6, v74
	v_mov_b32_e32 v88, v72
	s_branch .LBB68_10
.LBB68_23:
	v_mov_b32_e32 v74, 0xfeffffff
	v_mov_b32_e32 v72, 0
	;; [unrolled: 1-line block ×3, first 2 shown]
.LBB68_24:
	s_cmp_gt_i32 s42, s36
	s_cbranch_scc1 .LBB68_26
; %bb.25:
	v_mbcnt_hi_u32_b32 v45, -1, v73
	v_and_b32_e32 v0, 0x60, v45
	v_add_u32_e32 v54, 32, v0
	v_xor_b32_e32 v55, 16, v45
	v_xor_b32_e32 v56, 8, v45
	;; [unrolled: 1-line block ×5, first 2 shown]
	v_mov_b32_e32 v44, v74
	s_cbranch_execz .LBB68_27
	s_branch .LBB68_41
.LBB68_26:
                                        ; implicit-def: $vgpr45
                                        ; implicit-def: $vgpr54
                                        ; implicit-def: $vgpr55
                                        ; implicit-def: $vgpr56
                                        ; implicit-def: $vgpr57
                                        ; implicit-def: $vgpr58
                                        ; implicit-def: $vgpr60
	v_mov_b32_e32 v44, v74
.LBB68_27:
	s_mul_hi_i32 s5, s36, s38
	s_mul_i32 s4, s36, s38
	s_sub_i32 s18, s42, s36
	s_lshl_b64 s[4:5], s[4:5], 2
	s_add_u32 s8, s39, s4
	v_mul_lo_u32 v0, s38, v76
	s_addc_u32 s9, s43, s5
	s_movk_i32 s16, 0x60
	v_ashrrev_i32_e32 v1, 31, v0
	v_cmp_gt_u32_e64 s[4:5], 32, v76
	s_mov_b64 s[14:15], src_private_base
	v_mad_u32_u24 v12, v76, s16, 64
	v_cmp_gt_i32_e32 vcc, s18, v76
	v_lshl_add_u64 v[4:5], v[0:1], 2, s[8:9]
	s_and_saveexec_b64 s[6:7], s[4:5]
	s_cbranch_execz .LBB68_29
; %bb.28:
	v_mov_b32_e32 v0, 0
	v_mov_b32_e32 v1, v0
	;; [unrolled: 1-line block ×3, first 2 shown]
	scratch_store_dword off, v0, off
	scratch_store_dwordx3 off, v[0:2], off offset:4
	s_nop 1
	v_lshl_add_u64 v[0:1], v[4:5], 0, 64
	v_mov_b32_e32 v2, s15
	v_cndmask_b32_e32 v1, v2, v1, vcc
	v_mov_b32_e32 v2, 0
	v_cndmask_b32_e32 v0, v2, v0, vcc
	flat_load_dwordx4 v[0:3], v[0:1]
	s_waitcnt vmcnt(0) lgkmcnt(0)
	ds_write_b128 v12, v[0:3]
.LBB68_29:
	s_or_b64 exec, exec, s[6:7]
	v_lshl_add_u32 v10, v68, 3, v75
	v_mul_lo_u32 v2, s38, v10
	s_mov_b32 s12, 0
	v_ashrrev_i32_e32 v3, 31, v2
	s_mov_b32 s14, s12
	v_and_b32_e32 v0, 48, v42
	v_mov_b32_e32 v1, 0
	s_mov_b32 s13, s12
	v_mov_b32_e32 v22, s14
	v_lshl_add_u64 v[6:7], v[2:3], 2, s[8:9]
	v_mov_b32_e32 v13, 0
	v_mov_b32_e32 v21, s13
	;; [unrolled: 1-line block ×3, first 2 shown]
	v_lshl_add_u64 v[6:7], v[6:7], 0, v[0:1]
	v_mov_b32_e32 v11, s15
	v_cmp_gt_i32_e64 s[6:7], s18, v10
	scratch_store_dword off, v1, off
	scratch_store_dwordx3 off, v[20:22], off offset:4
	v_cndmask_b32_e64 v9, v11, v7, s[6:7]
	v_cndmask_b32_e64 v8, v13, v6, s[6:7]
	flat_load_dwordx4 v[16:19], v[8:9]
	v_lshl_add_u32 v2, s38, 4, v2
	v_ashrrev_i32_e32 v3, 31, v2
	v_mad_u32_u24 v14, v10, s16, v0
	v_add_u32_e32 v10, 16, v10
	v_lshl_add_u64 v[2:3], v[2:3], 2, s[8:9]
	v_lshl_add_u64 v[8:9], v[2:3], 0, v[0:1]
	v_cmp_gt_i32_e64 s[8:9], s18, v10
	scratch_store_dword off, v1, off
	scratch_store_dwordx3 off, v[20:22], off offset:4
	v_cndmask_b32_e64 v3, v11, v9, s[8:9]
	v_cndmask_b32_e64 v2, v13, v8, s[8:9]
	v_mul_u32_u24_e32 v11, 0x60, v40
	v_mul_u32_u24_e32 v10, 0xa0, v68
	v_add_u32_e32 v15, 0x600, v14
	s_waitcnt vmcnt(0) lgkmcnt(0)
	ds_write_b128 v14, v[16:19]
	flat_load_dwordx4 v[16:19], v[2:3]
	v_mov_b32_e32 v3, v1
	s_waitcnt vmcnt(0) lgkmcnt(0)
	ds_write_b128 v14, v[16:19] offset:1536
	s_waitcnt lgkmcnt(0)
	; wave barrier
	s_waitcnt lgkmcnt(0)
	ds_read_b128 v[16:19], v11
	ds_read_b128 v[20:23], v10 offset:3264
	s_waitcnt lgkmcnt(0)
	;;#ASMSTART
	v_dot2_f32_f16 v3, v16, v20, v3
	;;#ASMEND
	s_nop 0
	;;#ASMSTART
	v_dot2_f32_f16 v3, v17, v21, v3
	;;#ASMEND
	s_nop 0
	;;#ASMSTART
	v_dot2_f32_f16 v3, v18, v22, v3
	;;#ASMEND
	s_nop 0
	;;#ASMSTART
	v_dot2_f32_f16 v3, v19, v23, v3
	;;#ASMEND
	ds_read_b128 v[16:19], v11 offset:16
	ds_read_b128 v[20:23], v10 offset:3280
	s_waitcnt lgkmcnt(0)
	;;#ASMSTART
	v_dot2_f32_f16 v3, v16, v20, v3
	;;#ASMEND
	s_nop 0
	;;#ASMSTART
	v_dot2_f32_f16 v3, v17, v21, v3
	;;#ASMEND
	s_nop 0
	;;#ASMSTART
	v_dot2_f32_f16 v3, v18, v22, v3
	;;#ASMEND
	s_nop 0
	;;#ASMSTART
	v_dot2_f32_f16 v3, v19, v23, v3
	;;#ASMEND
	ds_read_b128 v[16:19], v11 offset:32
	;; [unrolled: 18-line block ×4, first 2 shown]
	ds_read_b128 v[20:23], v10 offset:3328
	s_waitcnt lgkmcnt(0)
	;;#ASMSTART
	v_dot2_f32_f16 v3, v16, v20, v3
	;;#ASMEND
	s_nop 0
	;;#ASMSTART
	v_dot2_f32_f16 v3, v17, v21, v3
	;;#ASMEND
	s_nop 0
	;; [unrolled: 4-line block ×3, first 2 shown]
	;;#ASMSTART
	v_dot2_f32_f16 v3, v19, v23, v3
	;;#ASMEND
	s_waitcnt lgkmcnt(0)
	; wave barrier
	s_and_saveexec_b64 s[16:17], s[4:5]
	s_cbranch_execz .LBB68_31
; %bb.30:
	v_mov_b32_e32 v0, v1
	v_mov_b32_e32 v2, v1
	s_mov_b64 s[4:5], 0x90
	scratch_store_dwordx3 off, v[0:2], off offset:4
	v_lshl_add_u64 v[4:5], v[4:5], 0, s[4:5]
	scratch_store_dword off, v1, off
	v_mov_b32_e32 v0, s15
	v_cndmask_b32_e32 v5, v0, v5, vcc
	v_cndmask_b32_e32 v4, v13, v4, vcc
	flat_load_dwordx4 v[16:19], v[4:5]
	s_waitcnt vmcnt(0) lgkmcnt(0)
	ds_write_b128 v12, v[16:19]
.LBB68_31:
	s_or_b64 exec, exec, s[16:17]
	v_mov_b32_e32 v18, s14
	s_mov_b64 s[4:5], 0x50
	v_mov_b32_e32 v17, s13
	v_mov_b32_e32 v16, s12
	v_lshl_add_u64 v[4:5], v[6:7], 0, s[4:5]
	v_mov_b32_e32 v0, s15
	scratch_store_dword off, v1, off
	scratch_store_dwordx3 off, v[16:18], off offset:4
	v_cndmask_b32_e64 v5, v0, v5, s[6:7]
	v_cndmask_b32_e64 v4, v13, v4, s[6:7]
	flat_load_dwordx4 v[4:7], v[4:5]
	v_lshl_add_u64 v[8:9], v[8:9], 0, s[4:5]
	v_cndmask_b32_e64 v9, v0, v9, s[8:9]
	v_cndmask_b32_e64 v8, v13, v8, s[8:9]
	scratch_store_dword off, v1, off
	scratch_store_dwordx3 off, v[16:18], off offset:4
	v_cmp_gt_i32_e32 vcc, s18, v40
	v_mov_b32_e32 v0, v74
	s_waitcnt vmcnt(0) lgkmcnt(0)
	ds_write_b128 v14, v[4:7]
	flat_load_dwordx4 v[4:7], v[8:9]
	s_waitcnt vmcnt(0) lgkmcnt(0)
	ds_write_b128 v15, v[4:7]
	s_waitcnt lgkmcnt(0)
	; wave barrier
	s_waitcnt lgkmcnt(0)
	ds_read_b128 v[4:7], v11
	ds_read_b128 v[12:15], v10 offset:3344
	s_waitcnt lgkmcnt(0)
	;;#ASMSTART
	v_dot2_f32_f16 v3, v4, v12, v3
	;;#ASMEND
	s_nop 0
	;;#ASMSTART
	v_dot2_f32_f16 v3, v5, v13, v3
	;;#ASMEND
	s_nop 0
	;;#ASMSTART
	v_dot2_f32_f16 v3, v6, v14, v3
	;;#ASMEND
	s_nop 0
	;;#ASMSTART
	v_dot2_f32_f16 v3, v7, v15, v3
	;;#ASMEND
	ds_read_b128 v[4:7], v11 offset:16
	ds_read_b128 v[12:15], v10 offset:3360
	s_waitcnt lgkmcnt(0)
	;;#ASMSTART
	v_dot2_f32_f16 v3, v4, v12, v3
	;;#ASMEND
	s_nop 0
	;;#ASMSTART
	v_dot2_f32_f16 v3, v5, v13, v3
	;;#ASMEND
	s_nop 0
	;;#ASMSTART
	v_dot2_f32_f16 v3, v6, v14, v3
	;;#ASMEND
	s_nop 0
	;;#ASMSTART
	v_dot2_f32_f16 v3, v7, v15, v3
	;;#ASMEND
	ds_read_b128 v[4:7], v11 offset:32
	;; [unrolled: 18-line block ×4, first 2 shown]
	ds_read_b128 v[8:11], v10 offset:3408
	s_waitcnt lgkmcnt(0)
	;;#ASMSTART
	v_dot2_f32_f16 v3, v4, v8, v3
	;;#ASMEND
	s_nop 0
	;;#ASMSTART
	v_dot2_f32_f16 v3, v5, v9, v3
	;;#ASMEND
	s_nop 0
	;; [unrolled: 4-line block ×3, first 2 shown]
	;;#ASMSTART
	v_dot2_f32_f16 v3, v7, v11, v3
	;;#ASMEND
	s_and_saveexec_b64 s[4:5], vcc
	s_cbranch_execz .LBB68_36
; %bb.32:
	s_cmp_eq_u64 s[40:41], 0
	s_cbranch_scc1 .LBB68_34
; %bb.33:
	v_mul_hi_u32 v0, s28, v41
	v_add_u32_e32 v0, v41, v0
	v_lshrrev_b32_e32 v0, s29, v0
	v_mul_lo_u32 v0, v0, s30
	v_sub_u32_e32 v0, v41, v0
	v_mul_lo_u32 v0, v0, s37
	v_add3_u32 v0, v0, v40, s36
	v_ashrrev_i32_e32 v1, 31, v0
	v_lshl_add_u64 v[0:1], v[0:1], 1, s[40:41]
	flat_load_ushort v0, v[0:1]
	s_waitcnt vmcnt(0) lgkmcnt(0)
	v_cvt_f32_f16_e32 v0, v0
	v_mul_f32_e32 v0, v69, v0
	s_branch .LBB68_35
.LBB68_34:
	v_mov_b32_e32 v0, 0
.LBB68_35:
	v_add_f32_e32 v3, v3, v0
	v_add_f32_e32 v0, 0x40051340, v3
	v_max_f32_e32 v1, v74, v74
	v_max_f32_e32 v0, v1, v0
.LBB68_36:
	s_or_b64 exec, exec, s[4:5]
	v_mbcnt_hi_u32_b32 v45, -1, v73
	v_and_b32_e32 v1, 0x60, v45
	v_add_u32_e32 v54, 32, v1
	v_xor_b32_e32 v55, 16, v45
	v_cmp_lt_i32_e32 vcc, v55, v54
	v_xor_b32_e32 v56, 8, v45
	v_xor_b32_e32 v57, 4, v45
	v_cndmask_b32_e32 v1, v45, v55, vcc
	v_lshlrev_b32_e32 v1, 2, v1
	ds_bpermute_b32 v1, v1, v0
	v_max_f32_e32 v0, v0, v0
	v_cmp_lt_i32_e32 vcc, v56, v54
	v_xor_b32_e32 v58, 2, v45
	v_xor_b32_e32 v60, 1, v45
	s_waitcnt lgkmcnt(0)
	v_max_f32_e32 v1, v1, v1
	v_max_f32_e32 v0, v0, v1
	v_cndmask_b32_e32 v1, v45, v56, vcc
	v_lshlrev_b32_e32 v1, 2, v1
	ds_bpermute_b32 v1, v1, v0
	v_cmp_lt_i32_e32 vcc, v57, v54
	s_mov_b32 s15, 0x3fb8aa3b
	s_mov_b32 s16, 0xc2ce8ed0
	;; [unrolled: 1-line block ×3, first 2 shown]
	s_waitcnt lgkmcnt(0)
	v_max_f32_e32 v1, v1, v1
	v_max_f32_e32 v0, v0, v1
	v_cndmask_b32_e32 v1, v45, v57, vcc
	v_lshlrev_b32_e32 v1, 2, v1
	ds_bpermute_b32 v1, v1, v0
	v_cmp_lt_i32_e32 vcc, v58, v54
	v_lshl_add_u32 v65, v68, 4, v71
	s_mul_hi_i32 s5, s36, s2
	s_mul_i32 s4, s36, s2
	s_waitcnt lgkmcnt(0)
	v_max_f32_e32 v1, v1, v1
	v_max_f32_e32 v0, v0, v1
	v_cndmask_b32_e32 v1, v45, v58, vcc
	v_lshlrev_b32_e32 v1, 2, v1
	ds_bpermute_b32 v1, v1, v0
	v_cmp_lt_i32_e32 vcc, v60, v54
	s_waitcnt lgkmcnt(0)
	; wave barrier
	s_waitcnt lgkmcnt(0)
	s_lshl_b64 s[4:5], s[4:5], 2
	v_max_f32_e32 v1, v1, v1
	v_max_f32_e32 v0, v0, v1
	v_cndmask_b32_e32 v1, v45, v60, vcc
	v_lshlrev_b32_e32 v1, 2, v1
	ds_bpermute_b32 v1, v1, v0
	s_mov_b64 s[6:7], src_private_base
	v_mul_lo_u32 v46, s2, v65
	s_add_u32 s8, s22, s4
	s_movk_i32 s6, 0xa0
	s_waitcnt lgkmcnt(0)
	v_max_f32_e32 v1, v1, v1
	v_max_f32_e32 v44, v0, v1
	v_sub_f32_e32 v1, v3, v44
	v_mul_f32_e32 v0, 0x3fb8aa3b, v1
	v_fma_f32 v2, v1, s15, -v0
	v_rndne_f32_e32 v3, v0
	v_fmac_f32_e32 v2, 0x32a5705f, v1
	v_sub_f32_e32 v0, v0, v3
	v_add_f32_e32 v0, v0, v2
	v_exp_f32_e32 v0, v0
	v_cvt_i32_f32_e32 v2, v3
	v_cmp_ngt_f32_e32 vcc, s16, v1
	v_ashrrev_i32_e32 v47, 31, v46
	s_addc_u32 s9, s23, s5
	v_ldexp_f32 v0, v0, v2
	v_cndmask_b32_e32 v2, 0, v0, vcc
	v_mov_b32_e32 v0, 0x7f800000
	v_cmp_nlt_f32_e32 vcc, s17, v1
	s_nop 1
	v_cndmask_b32_e32 v1, v0, v2, vcc
	v_cmp_gt_u32_e32 vcc, s18, v40
	v_mov_b32_e32 v2, 0xe00
	v_lshl_add_u32 v62, v68, 6, v2
	v_cndmask_b32_e32 v61, 0, v1, vcc
	v_cvt_f16_f32_e32 v1, v61
	v_lshl_add_u32 v2, v40, 1, v62
	v_cmp_gt_u32_e32 vcc, 16, v65
	ds_write_b16 v2, v1
	v_and_b32_e32 v1, 4, v43
	v_mul_u32_u24_e32 v2, 0xa0, v65
	v_lshl_or_b32 v2, v1, 2, v2
	v_add_u32_e32 v71, 0x80, v2
	v_lshlrev_b32_e32 v50, 2, v1
	s_and_saveexec_b64 s[12:13], vcc
	s_cbranch_execz .LBB68_38
; %bb.37:
	v_mov_b32_e32 v2, 0
	v_mov_b32_e32 v3, v2
	;; [unrolled: 1-line block ×3, first 2 shown]
	scratch_store_dwordx3 off, v[2:4], off offset:4
	v_mov_b32_e32 v51, v2
	scratch_store_dword off, v2, off
	v_lshl_add_u64 v[4:5], v[46:47], 2, s[8:9]
	v_lshl_add_u64 v[2:3], v[4:5], 0, v[50:51]
	s_mov_b64 s[4:5], 0x80
	v_lshl_add_u64 v[2:3], v[2:3], 0, s[4:5]
	v_mov_b32_e32 v1, s7
	v_cmp_gt_i32_e64 s[4:5], s18, v65
	s_nop 1
	v_cndmask_b32_e64 v3, v1, v3, s[4:5]
	v_mov_b32_e32 v1, 0
	v_cndmask_b32_e64 v2, v1, v2, s[4:5]
	flat_load_dwordx4 v[2:5], v[2:3]
	s_waitcnt vmcnt(0) lgkmcnt(0)
	ds_write_b128 v71, v[2:5]
.LBB68_38:
	s_or_b64 exec, exec, s[12:13]
	v_lshl_add_u32 v68, v68, 2, v70
	v_mul_lo_u32 v48, s2, v68
	v_ashrrev_i32_e32 v49, 31, v48
	v_and_b32_e32 v1, 28, v43
	s_mov_b32 s12, 0
	v_mov_b32_e32 v43, 0
	s_mov_b32 s13, s12
	s_mov_b32 s14, s12
	v_mov_b32_e32 v6, s12
	v_lshlrev_b32_e32 v42, 2, v1
	v_lshl_add_u64 v[2:3], v[48:49], 2, s[8:9]
	v_mov_b32_e32 v69, 0
	v_mov_b32_e32 v7, s13
	;; [unrolled: 1-line block ×3, first 2 shown]
	v_lshl_add_u64 v[2:3], v[2:3], 0, v[42:43]
	v_mov_b32_e32 v1, s7
	v_cmp_gt_i32_e64 s[4:5], s18, v68
	scratch_store_dword off, v43, off
	scratch_store_dwordx3 off, v[6:8], off offset:4
	v_cndmask_b32_e64 v3, v1, v3, s[4:5]
	v_cndmask_b32_e64 v2, v69, v2, s[4:5]
	flat_load_dwordx4 v[2:5], v[2:3]
	v_lshl_add_u32 v52, s2, 3, v48
	v_ashrrev_i32_e32 v53, 31, v52
	v_add_u32_e32 v73, 8, v68
	v_lshl_add_u64 v[10:11], v[52:53], 2, s[8:9]
	v_mad_u32_u24 v70, v68, s6, v42
	v_lshl_add_u64 v[10:11], v[10:11], 0, v[42:43]
	v_cmp_gt_i32_e64 s[4:5], s18, v73
	scratch_store_dword off, v43, off
	scratch_store_dwordx3 off, v[6:8], off offset:4
	v_add_u32_e32 v64, 0x400, v59
	v_add_u32_e32 v63, 0x800, v59
	v_cndmask_b32_e64 v7, v1, v11, s[4:5]
	v_cndmask_b32_e64 v6, v69, v10, s[4:5]
	v_sub_f32_e32 v1, v74, v44
	v_cmp_ngt_f32_e64 s[4:5], s16, v1
	s_or_b32 s6, s36, 16
	s_mul_hi_i32 s9, s6, s2
	s_mul_i32 s8, s6, s2
	v_add_u32_e32 v74, 0x500, v70
	s_waitcnt vmcnt(0) lgkmcnt(0)
	ds_write_b128 v70, v[2:5]
	flat_load_dwordx4 v[2:5], v[6:7]
	v_mul_f32_e32 v6, 0x3fb8aa3b, v1
	v_fma_f32 v7, v1, s15, -v6
	v_rndne_f32_e32 v8, v6
	v_fmac_f32_e32 v7, 0x32a5705f, v1
	v_sub_f32_e32 v6, v6, v8
	v_add_f32_e32 v6, v6, v7
	v_cvt_i32_f32_e32 v8, v8
	v_exp_f32_e32 v6, v6
	s_waitcnt vmcnt(0) lgkmcnt(0)
	ds_write_b128 v70, v[2:5] offset:1280
	v_ldexp_f32 v6, v6, v8
	v_cndmask_b32_e64 v6, 0, v6, s[4:5]
	v_cmp_nlt_f32_e64 s[4:5], s17, v1
	s_waitcnt lgkmcnt(0)
	; wave barrier
	s_waitcnt lgkmcnt(0)
	v_cndmask_b32_e64 v75, v0, v6, s[4:5]
	ds_read2_b64 v[36:39], v59 offset1:20
	ds_read_b128 v[16:19], v62
	ds_read_b128 v[0:3], v62 offset:16
	ds_read2_b64 v[32:35], v59 offset0:40 offset1:60
	ds_read2_b64 v[28:31], v59 offset0:80 offset1:100
	;; [unrolled: 1-line block ×7, first 2 shown]
	s_lshl_b64 s[4:5], s[8:9], 2
	s_add_u32 s4, s22, s4
	s_addc_u32 s5, s23, s5
	s_add_i32 s18, s18, -16
	s_waitcnt lgkmcnt(0)
	; wave barrier
	s_waitcnt lgkmcnt(0)
	s_and_saveexec_b64 s[8:9], vcc
	s_cbranch_execz .LBB68_40
; %bb.39:
	v_lshl_add_u64 v[46:47], v[46:47], 2, s[4:5]
	v_mov_b32_e32 v51, v43
	v_lshl_add_u64 v[46:47], v[46:47], 0, v[50:51]
	s_mov_b64 s[16:17], 0x80
	v_mov_b32_e32 v76, v43
	v_mov_b32_e32 v77, v43
	;; [unrolled: 1-line block ×3, first 2 shown]
	v_lshl_add_u64 v[46:47], v[46:47], 0, s[16:17]
	v_mov_b32_e32 v50, s7
	v_cmp_gt_i32_e32 vcc, s18, v65
	scratch_store_dword off, v43, off
	scratch_store_dwordx3 off, v[76:78], off offset:4
	v_cndmask_b32_e32 v47, v50, v47, vcc
	v_cndmask_b32_e32 v46, v69, v46, vcc
	flat_load_dwordx4 v[76:79], v[46:47]
	s_waitcnt vmcnt(0) lgkmcnt(0)
	ds_write_b128 v71, v[76:79]
.LBB68_40:
	s_or_b64 exec, exec, s[8:9]
	v_mov_b32_e32 v78, s14
	v_lshl_add_u64 v[46:47], v[48:49], 2, s[4:5]
	v_mov_b32_e32 v77, s13
	v_mov_b32_e32 v76, s12
	v_lshl_add_u64 v[46:47], v[46:47], 0, v[42:43]
	v_mov_b32_e32 v65, s7
	v_cmp_gt_i32_e32 vcc, s18, v68
	scratch_store_dword off, v43, off
	scratch_store_dwordx3 off, v[76:78], off offset:4
	v_cndmask_b32_e32 v47, v65, v47, vcc
	v_cndmask_b32_e32 v46, v69, v46, vcc
	flat_load_dwordx4 v[46:49], v[46:47]
	v_lshl_add_u64 v[50:51], v[52:53], 2, s[4:5]
	v_lshl_add_u64 v[50:51], v[50:51], 0, v[42:43]
	v_cmp_gt_i32_e32 vcc, s18, v73
	scratch_store_dword off, v43, off
	scratch_store_dwordx3 off, v[76:78], off offset:4
	v_cndmask_b32_e32 v51, v65, v51, vcc
	v_cndmask_b32_e32 v50, v69, v50, vcc
	v_cvt_f16_f32_e32 v42, v75
	v_pk_mul_f16 v36, v36, v16 op_sel_hi:[1,0]
	v_pk_mul_f16 v37, v37, v16 op_sel_hi:[1,0]
	v_fmac_f32_e32 v61, v72, v75
	v_pk_fma_f16 v36, v67, v42, v36 op_sel_hi:[1,0,1]
	v_pk_fma_f16 v37, v66, v42, v37 op_sel_hi:[1,0,1]
	v_pk_fma_f16 v36, v38, v16, v36 op_sel:[0,1,0]
	v_pk_fma_f16 v16, v39, v16, v37 op_sel:[0,1,0]
	v_pk_fma_f16 v32, v32, v17, v36 op_sel_hi:[1,0,1]
	v_pk_fma_f16 v16, v33, v17, v16 op_sel_hi:[1,0,1]
	v_pk_fma_f16 v32, v34, v17, v32 op_sel:[0,1,0]
	v_pk_fma_f16 v16, v35, v17, v16 op_sel:[0,1,0]
	;; [unrolled: 4-line block ×8, first 2 shown]
	v_mov_b32_e32 v72, v61
	s_waitcnt vmcnt(0) lgkmcnt(0)
	ds_write_b128 v70, v[46:49]
	flat_load_dwordx4 v[46:49], v[50:51]
	s_waitcnt vmcnt(0) lgkmcnt(0)
	ds_write_b128 v74, v[46:49]
	s_waitcnt lgkmcnt(0)
	; wave barrier
	s_waitcnt lgkmcnt(0)
	ds_read2_b64 v[0:3], v59 offset1:20
	ds_read_b128 v[4:7], v62 offset:32
	ds_read_b128 v[8:11], v62 offset:48
	ds_read2_b64 v[12:15], v59 offset0:40 offset1:60
	ds_read2_b64 v[16:19], v59 offset0:80 offset1:100
	;; [unrolled: 1-line block ×7, first 2 shown]
	s_waitcnt lgkmcnt(8)
	v_pk_fma_f16 v0, v0, v4, v42 op_sel_hi:[1,0,1]
	v_pk_fma_f16 v1, v1, v4, v43 op_sel_hi:[1,0,1]
	v_pk_fma_f16 v0, v2, v4, v0 op_sel:[0,1,0]
	v_pk_fma_f16 v1, v3, v4, v1 op_sel:[0,1,0]
	s_waitcnt lgkmcnt(6)
	v_pk_fma_f16 v0, v12, v5, v0 op_sel_hi:[1,0,1]
	v_pk_fma_f16 v1, v13, v5, v1 op_sel_hi:[1,0,1]
	v_pk_fma_f16 v0, v14, v5, v0 op_sel:[0,1,0]
	v_pk_fma_f16 v1, v15, v5, v1 op_sel:[0,1,0]
	;; [unrolled: 5-line block ×8, first 2 shown]
	s_waitcnt lgkmcnt(0)
	; wave barrier
.LBB68_41:
	v_cmp_lt_i32_e32 vcc, v55, v54
	s_cmp_eq_u64 s[20:21], 0
	s_cselect_b64 s[4:5], -1, 0
	v_cndmask_b32_e32 v0, v45, v55, vcc
	v_lshlrev_b32_e32 v0, 2, v0
	ds_bpermute_b32 v0, v0, v72
	v_cmp_lt_i32_e32 vcc, v56, v54
	s_cmp_lg_u32 s3, 0
	s_cselect_b64 s[6:7], -1, 0
	v_cndmask_b32_e32 v1, v45, v56, vcc
	v_lshlrev_b32_e32 v1, 2, v1
	s_waitcnt lgkmcnt(0)
	v_add_f32_e32 v0, v72, v0
	ds_bpermute_b32 v1, v1, v0
	v_cmp_lt_i32_e32 vcc, v57, v54
	s_or_b64 s[4:5], s[6:7], s[4:5]
	s_waitcnt lgkmcnt(0)
	v_add_f32_e32 v0, v0, v1
	v_cndmask_b32_e32 v2, v45, v57, vcc
	v_lshlrev_b32_e32 v2, 2, v2
	ds_bpermute_b32 v1, v2, v0
	v_cmp_lt_i32_e32 vcc, v58, v54
	s_waitcnt lgkmcnt(0)
	v_add_f32_e32 v0, v0, v1
	v_cndmask_b32_e32 v2, v45, v58, vcc
	v_lshlrev_b32_e32 v2, 2, v2
	ds_bpermute_b32 v1, v2, v0
	v_cmp_lt_i32_e32 vcc, v60, v54
	s_waitcnt lgkmcnt(0)
	v_add_f32_e32 v0, v0, v1
	v_cndmask_b32_e32 v2, v45, v60, vcc
	v_lshlrev_b32_e32 v2, 2, v2
	ds_bpermute_b32 v1, v2, v0
	s_and_b64 vcc, exec, s[4:5]
	s_waitcnt lgkmcnt(0)
	v_add_f32_e32 v45, v0, v1
	s_cbranch_vccnz .LBB68_44
; %bb.42:
	s_lshl_b64 s[4:5], s[34:35], 2
	s_add_u32 s4, s20, s4
	s_addc_u32 s5, s21, s5
	v_mov_b32_e32 v0, 0
	global_load_dword v1, v0, s[4:5]
	v_max_f32_e32 v0, v44, v44
	s_mov_b32 s2, 0x3fb8aa3b
	s_mov_b32 s4, 0xc2ce8ed0
	s_waitcnt vmcnt(0)
	v_max_f32_e32 v2, v1, v1
	v_max_f32_e32 v0, v0, v2
	v_sub_f32_e32 v2, v44, v0
	v_sub_f32_e32 v1, v1, v0
	v_mul_f32_e32 v3, 0x3fb8aa3b, v2
	v_mul_f32_e32 v4, 0x3fb8aa3b, v1
	v_fma_f32 v5, v2, s2, -v3
	v_rndne_f32_e32 v6, v3
	v_fma_f32 v7, v1, s2, -v4
	v_rndne_f32_e32 v8, v4
	v_fmac_f32_e32 v5, 0x32a5705f, v2
	v_sub_f32_e32 v3, v3, v6
	v_fmac_f32_e32 v7, 0x32a5705f, v1
	v_sub_f32_e32 v4, v4, v8
	v_add_f32_e32 v3, v3, v5
	v_cvt_i32_f32_e32 v6, v6
	v_add_f32_e32 v4, v4, v7
	v_exp_f32_e32 v3, v3
	v_cvt_i32_f32_e32 v8, v8
	v_exp_f32_e32 v4, v4
	v_cmp_ngt_f32_e32 vcc, s4, v2
	v_ldexp_f32 v3, v3, v6
	s_mov_b32 s2, 0x42b17218
	v_ldexp_f32 v4, v4, v8
	v_cndmask_b32_e32 v3, 0, v3, vcc
	v_cmp_ngt_f32_e32 vcc, s4, v1
	v_mov_b32_e32 v5, 0x7f800000
	s_nop 0
	v_cndmask_b32_e32 v4, 0, v4, vcc
	v_cmp_nlt_f32_e32 vcc, s2, v2
	s_nop 1
	v_cndmask_b32_e32 v2, v5, v3, vcc
	v_cvt_f16_f32_e32 v3, v2
	v_cmp_nlt_f32_e32 vcc, s2, v1
	v_pk_mul_f16 v67, v3, v67 op_sel_hi:[0,1]
	s_nop 0
	v_cndmask_b32_e32 v1, v5, v4, vcc
	v_fmac_f32_e32 v1, v45, v2
	v_pk_mul_f16 v66, v3, v66 op_sel_hi:[0,1]
	v_mov_b64_e32 v[44:45], v[0:1]
	v_cmp_gt_i32_e32 vcc, s30, v41
	s_and_saveexec_b64 s[4:5], vcc
	s_cbranch_execnz .LBB68_45
.LBB68_43:
	s_endpgm
.LBB68_44:
	v_mov_b32_e32 v1, v45
	v_cmp_gt_i32_e32 vcc, s30, v41
	s_and_saveexec_b64 s[4:5], vcc
	s_cbranch_execz .LBB68_43
.LBB68_45:
	s_load_dword s2, s[0:1], 0xd4
	s_mul_i32 s33, s33, s30
	v_add_u32_e32 v0, s33, v41
	v_mul_lo_u32 v0, v0, s31
	v_add_u32_e32 v0, s34, v0
	s_waitcnt lgkmcnt(0)
	s_cmp_lg_u32 s2, 1
	v_mul_lo_u32 v0, s2, v0
	s_cselect_b64 s[0:1], -1, 0
	v_add_u32_e32 v0, s3, v0
	s_and_saveexec_b64 s[2:3], s[10:11]
	s_cbranch_execz .LBB68_47
; %bb.46:
	v_div_scale_f32 v4, s[4:5], v1, v1, 1.0
	v_rcp_f32_e32 v5, v4
	v_cvt_f32_f16_sdwa v9, v67 dst_sel:DWORD dst_unused:UNUSED_PAD src0_sel:WORD_1
	v_cvt_f32_f16_sdwa v11, v66 dst_sel:DWORD dst_unused:UNUSED_PAD src0_sel:WORD_1
	v_cvt_f32_f16_e32 v10, v66
	v_fma_f32 v6, -v4, v5, 1.0
	v_fmac_f32_e32 v5, v6, v5
	v_div_scale_f32 v6, vcc, 1.0, v1, 1.0
	v_mul_f32_e32 v7, v6, v5
	v_fma_f32 v8, -v4, v7, v6
	v_fmac_f32_e32 v7, v8, v5
	v_fma_f32 v4, -v4, v7, v6
	v_div_fmas_f32 v4, v4, v5, v7
	v_cvt_f32_f16_e32 v8, v67
	v_div_fixup_f32 v1, v4, v1, 1.0
	s_movk_i32 s4, 0x50
	v_cndmask_b32_e64 v4, v1, 1.0, s[0:1]
	v_mul_lo_u32 v1, v0, s4
	v_mov_b32_e32 v2, s24
	v_mov_b32_e32 v3, s25
	v_lshl_add_u32 v6, v40, 2, v1
	v_mov_b32_e32 v7, 0
	v_lshl_add_u64 v[6:7], v[6:7], 2, v[2:3]
	v_pk_mul_f32 v[2:3], v[4:5], v[8:9] op_sel_hi:[0,1]
	v_pk_mul_f32 v[4:5], v[4:5], v[10:11] op_sel_hi:[0,1]
	global_store_dwordx4 v[6:7], v[2:5], off
.LBB68_47:
	s_or_b64 exec, exec, s[2:3]
	v_cmp_eq_u32_e32 vcc, 0, v40
	s_and_b64 s[0:1], vcc, s[0:1]
	s_and_b64 exec, exec, s[0:1]
	s_cbranch_execz .LBB68_43
; %bb.48:
	v_mov_b32_e32 v2, s26
	v_mov_b32_e32 v3, s27
	v_ashrrev_i32_e32 v1, 31, v0
	v_lshl_add_u64 v[0:1], v[0:1], 3, v[2:3]
	global_store_dwordx2 v[0:1], v[44:45], off
	s_endpgm
	.section	.rodata,"a",@progbits
	.p2align	6, 0x0
	.amdhsa_kernel _ZL15flash_attn_tileILi80ELi80ELi2ELi1ELb0EEvPKcS1_S1_S1_S1_PKiPfP15HIP_vector_typeIfLj2EEffffjfiS5_IjLj3EEiiiiiiiiiiiliiliiiiil
		.amdhsa_group_segment_fixed_size 3712
		.amdhsa_private_segment_fixed_size 32
		.amdhsa_kernarg_size 464
		.amdhsa_user_sgpr_count 2
		.amdhsa_user_sgpr_dispatch_ptr 0
		.amdhsa_user_sgpr_queue_ptr 0
		.amdhsa_user_sgpr_kernarg_segment_ptr 1
		.amdhsa_user_sgpr_dispatch_id 0
		.amdhsa_user_sgpr_kernarg_preload_length 0
		.amdhsa_user_sgpr_kernarg_preload_offset 0
		.amdhsa_user_sgpr_private_segment_size 0
		.amdhsa_uses_dynamic_stack 0
		.amdhsa_enable_private_segment 1
		.amdhsa_system_sgpr_workgroup_id_x 1
		.amdhsa_system_sgpr_workgroup_id_y 1
		.amdhsa_system_sgpr_workgroup_id_z 1
		.amdhsa_system_sgpr_workgroup_info 0
		.amdhsa_system_vgpr_workitem_id 1
		.amdhsa_next_free_vgpr 102
		.amdhsa_next_free_sgpr 52
		.amdhsa_accum_offset 104
		.amdhsa_reserve_vcc 1
		.amdhsa_float_round_mode_32 0
		.amdhsa_float_round_mode_16_64 0
		.amdhsa_float_denorm_mode_32 3
		.amdhsa_float_denorm_mode_16_64 3
		.amdhsa_dx10_clamp 1
		.amdhsa_ieee_mode 1
		.amdhsa_fp16_overflow 0
		.amdhsa_tg_split 0
		.amdhsa_exception_fp_ieee_invalid_op 0
		.amdhsa_exception_fp_denorm_src 0
		.amdhsa_exception_fp_ieee_div_zero 0
		.amdhsa_exception_fp_ieee_overflow 0
		.amdhsa_exception_fp_ieee_underflow 0
		.amdhsa_exception_fp_ieee_inexact 0
		.amdhsa_exception_int_div_zero 0
	.end_amdhsa_kernel
	.section	.text._ZL15flash_attn_tileILi80ELi80ELi2ELi1ELb0EEvPKcS1_S1_S1_S1_PKiPfP15HIP_vector_typeIfLj2EEffffjfiS5_IjLj3EEiiiiiiiiiiiliiliiiiil,"axG",@progbits,_ZL15flash_attn_tileILi80ELi80ELi2ELi1ELb0EEvPKcS1_S1_S1_S1_PKiPfP15HIP_vector_typeIfLj2EEffffjfiS5_IjLj3EEiiiiiiiiiiiliiliiiiil,comdat
.Lfunc_end68:
	.size	_ZL15flash_attn_tileILi80ELi80ELi2ELi1ELb0EEvPKcS1_S1_S1_S1_PKiPfP15HIP_vector_typeIfLj2EEffffjfiS5_IjLj3EEiiiiiiiiiiiliiliiiiil, .Lfunc_end68-_ZL15flash_attn_tileILi80ELi80ELi2ELi1ELb0EEvPKcS1_S1_S1_S1_PKiPfP15HIP_vector_typeIfLj2EEffffjfiS5_IjLj3EEiiiiiiiiiiiliiliiiiil
                                        ; -- End function
	.section	.AMDGPU.csdata,"",@progbits
; Kernel info:
; codeLenInByte = 9244
; NumSgprs: 58
; NumVgprs: 102
; NumAgprs: 0
; TotalNumVgprs: 102
; ScratchSize: 32
; MemoryBound: 0
; FloatMode: 240
; IeeeMode: 1
; LDSByteSize: 3712 bytes/workgroup (compile time only)
; SGPRBlocks: 7
; VGPRBlocks: 12
; NumSGPRsForWavesPerEU: 58
; NumVGPRsForWavesPerEU: 102
; AccumOffset: 104
; Occupancy: 4
; WaveLimiterHint : 1
; COMPUTE_PGM_RSRC2:SCRATCH_EN: 1
; COMPUTE_PGM_RSRC2:USER_SGPR: 2
; COMPUTE_PGM_RSRC2:TRAP_HANDLER: 0
; COMPUTE_PGM_RSRC2:TGID_X_EN: 1
; COMPUTE_PGM_RSRC2:TGID_Y_EN: 1
; COMPUTE_PGM_RSRC2:TGID_Z_EN: 1
; COMPUTE_PGM_RSRC2:TIDIG_COMP_CNT: 1
; COMPUTE_PGM_RSRC3_GFX90A:ACCUM_OFFSET: 25
; COMPUTE_PGM_RSRC3_GFX90A:TG_SPLIT: 0
	.section	.text._ZL33flash_attn_stream_k_fixup_uniformILi80ELi2ELi1EEvPfPK15HIP_vector_typeIfLj2EEiiiiiiS1_IjLj3EES5_S5_,"axG",@progbits,_ZL33flash_attn_stream_k_fixup_uniformILi80ELi2ELi1EEvPfPK15HIP_vector_typeIfLj2EEiiiiiiS1_IjLj3EES5_S5_,comdat
	.globl	_ZL33flash_attn_stream_k_fixup_uniformILi80ELi2ELi1EEvPfPK15HIP_vector_typeIfLj2EEiiiiiiS1_IjLj3EES5_S5_ ; -- Begin function _ZL33flash_attn_stream_k_fixup_uniformILi80ELi2ELi1EEvPfPK15HIP_vector_typeIfLj2EEiiiiiiS1_IjLj3EES5_S5_
	.p2align	8
	.type	_ZL33flash_attn_stream_k_fixup_uniformILi80ELi2ELi1EEvPfPK15HIP_vector_typeIfLj2EEiiiiiiS1_IjLj3EES5_S5_,@function
_ZL33flash_attn_stream_k_fixup_uniformILi80ELi2ELi1EEvPfPK15HIP_vector_typeIfLj2EEiiiiiiS1_IjLj3EES5_S5_: ; @_ZL33flash_attn_stream_k_fixup_uniformILi80ELi2ELi1EEvPfPK15HIP_vector_typeIfLj2EEiiiiiiS1_IjLj3EES5_S5_
; %bb.0:
	s_load_dwordx8 s[8:15], s[0:1], 0x1c
	s_load_dwordx2 s[6:7], s[0:1], 0x10
	s_load_dwordx4 s[16:19], s[0:1], 0x3c
	s_waitcnt lgkmcnt(0)
	s_mul_hi_u32 s5, s11, s2
	s_add_i32 s5, s2, s5
	s_lshr_b32 s5, s5, s12
	s_mul_i32 s11, s5, s13
	s_sub_i32 s12, s2, s11
	s_mul_hi_u32 s11, s12, s14
	s_add_i32 s11, s12, s11
	s_lshr_b32 s11, s11, s15
	s_mul_i32 s13, s11, s16
	s_sub_i32 s12, s12, s13
	s_mul_hi_u32 s13, s12, s17
	s_add_i32 s13, s12, s13
	s_lshr_b32 s16, s13, s18
	s_mul_i32 s13, s16, s19
	s_sub_i32 s17, s12, s13
	s_lshl_b32 s12, s17, 1
	s_add_i32 s12, s12, s3
	s_cmp_lt_i32 s12, s6
	s_cselect_b64 s[12:13], -1, 0
	s_add_i32 s16, s16, s4
	s_cmp_lt_i32 s16, s9
	s_cselect_b64 s[14:15], -1, 0
	s_and_b64 s[12:13], s[12:13], s[14:15]
	s_andn2_b64 vcc, exec, s[12:13]
	s_cbranch_vccnz .LBB69_6
; %bb.1:
	s_load_dwordx4 s[12:15], s[0:1], 0x0
	s_mul_i32 s0, s5, s6
	s_mul_i32 s11, s11, s9
	s_add_i32 s0, s0, s3
	s_mul_i32 s0, s0, s7
	s_add_i32 s5, s16, s11
	;; [unrolled: 2-line block ×3, first 2 shown]
	s_mulk_i32 s1, 0xa0
	s_mulk_i32 s0, 0x50
	s_add_i32 s0, s0, s1
	v_add_u32_e32 v4, s0, v0
	s_waitcnt lgkmcnt(0)
	v_mov_b32_e32 v2, s12
	v_mov_b32_e32 v3, s13
	v_ashrrev_i32_e32 v5, 31, v4
	v_lshl_add_u64 v[2:3], v[4:5], 2, v[2:3]
	global_load_dword v7, v[2:3], off
	s_mul_i32 s6, s2, s10
	s_add_i32 s7, s6, s10
	s_add_i32 s3, s3, s4
	s_lshl_b32 s0, s7, 1
	s_add_i32 s0, s3, s0
	s_add_i32 s0, s0, -2
	s_ashr_i32 s1, s0, 31
	s_lshl_b64 s[0:1], s[0:1], 3
	s_add_u32 s0, s14, s0
	s_addc_u32 s1, s15, s1
	s_load_dword s9, s[0:1], 0x4
	s_add_i32 s4, s7, -2
	s_cmp_lt_i32 s4, s6
	s_cbranch_scc1 .LBB69_4
; %bb.2:
	s_lshl_b32 s4, s8, 3
	s_ashr_i32 s5, s4, 31
	s_lshl_b64 s[4:5], s[4:5], 2
	s_add_u32 s4, s14, s4
	s_addc_u32 s5, s15, s5
	s_load_dword s0, s[0:1], 0x0
	s_add_i32 s2, s2, 1
	s_mul_i32 s10, s10, s2
	s_mul_i32 s1, s3, 0x50
	s_lshl_b32 s2, s10, 1
	s_mulk_i32 s10, 0xa0
	s_add_i32 s2, s3, s2
	s_lshl_b32 s3, s8, 1
	s_add_i32 s1, s1, s10
	s_add_i32 s2, s2, s3
	v_add_u32_e32 v0, s1, v0
	s_add_i32 s7, s7, -1
	s_add_i32 s2, s2, -4
	v_add_u32_e32 v0, 0xfffffec0, v0
	s_waitcnt lgkmcnt(0)
	v_mov_b32_e32 v6, s9
	v_mov_b32_e32 v5, s0
	s_mov_b32 s8, 0x3fb8aa3b
	s_mov_b32 s9, 0xc2ce8ed0
	;; [unrolled: 1-line block ×3, first 2 shown]
	v_mov_b32_e32 v4, 0x7f800000
	s_mov_b32 s11, 0xc1a00000
.LBB69_3:                               ; =>This Inner Loop Header: Depth=1
	v_ashrrev_i32_e32 v1, 31, v0
	v_lshl_add_u64 v[8:9], v[0:1], 2, s[4:5]
	global_load_dword v1, v[8:9], off
	s_ashr_i32 s3, s2, 31
	s_lshl_b64 s[0:1], s[2:3], 3
	s_add_u32 s0, s14, s0
	s_addc_u32 s1, s15, s1
	s_load_dwordx2 s[12:13], s[0:1], 0x0
	s_waitcnt vmcnt(1)
	v_mov_b32_e32 v8, v7
	v_max_f32_e32 v7, v5, v5
	v_mov_b32_e32 v9, v6
	s_add_i32 s7, s7, -1
	s_waitcnt lgkmcnt(0)
	v_max_f32_e64 v6, s12, s12
	v_max_f32_e32 v6, v7, v6
	v_sub_f32_e32 v10, s12, v6
	v_sub_f32_e32 v7, v5, v6
	v_mul_f32_e32 v11, 0x3fb8aa3b, v10
	v_mov_b32_e32 v5, v6
	v_mul_f32_e32 v6, 0x3fb8aa3b, v7
	v_fma_f32 v14, v10, s8, -v11
	v_rndne_f32_e32 v15, v11
	v_fma_f32 v12, v7, s8, -v6
	v_rndne_f32_e32 v13, v6
	v_fmac_f32_e32 v14, 0x32a5705f, v10
	v_sub_f32_e32 v11, v11, v15
	v_fmac_f32_e32 v12, 0x32a5705f, v7
	v_sub_f32_e32 v6, v6, v13
	v_add_f32_e32 v11, v11, v14
	v_cvt_i32_f32_e32 v15, v15
	v_add_f32_e32 v6, v6, v12
	v_exp_f32_e32 v11, v11
	v_cvt_i32_f32_e32 v13, v13
	v_exp_f32_e32 v6, v6
	v_cmp_ngt_f32_e32 vcc, s9, v10
	v_ldexp_f32 v11, v11, v15
	v_cmp_ngt_f32_e64 s[0:1], s9, v7
	v_ldexp_f32 v6, v6, v13
	v_cndmask_b32_e32 v11, 0, v11, vcc
	v_cmp_nlt_f32_e32 vcc, s10, v10
	v_cndmask_b32_e64 v6, 0, v6, s[0:1]
	v_cmp_nlt_f32_e64 s[0:1], s10, v7
	v_cndmask_b32_e32 v11, v4, v11, vcc
	v_cmp_le_f32_e32 vcc, s11, v10
	v_cndmask_b32_e64 v6, v4, v6, s[0:1]
	v_cmp_le_f32_e64 s[0:1], s11, v7
	v_cndmask_b32_e32 v7, 0, v11, vcc
	s_add_i32 s2, s2, -2
	v_cndmask_b32_e64 v10, 0, v6, s[0:1]
	v_mul_f32_e32 v6, s13, v7
	v_add_u32_e32 v0, 0xffffff60, v0
	s_cmp_le_i32 s7, s6
	v_fmac_f32_e32 v6, v9, v10
	s_waitcnt vmcnt(0)
	v_mul_f32_e32 v7, v1, v7
	v_fmac_f32_e32 v7, v8, v10
	s_cbranch_scc0 .LBB69_3
	s_branch .LBB69_5
.LBB69_4:
	s_waitcnt lgkmcnt(0)
	v_mov_b32_e32 v6, s9
.LBB69_5:
	s_waitcnt vmcnt(0)
	v_div_scale_f32 v0, s[0:1], v6, v6, v7
	v_rcp_f32_e32 v1, v0
	v_div_scale_f32 v4, vcc, v7, v6, v7
	v_fma_f32 v5, -v0, v1, 1.0
	v_fmac_f32_e32 v1, v5, v1
	v_mul_f32_e32 v5, v4, v1
	v_fma_f32 v8, -v0, v5, v4
	v_fmac_f32_e32 v5, v8, v1
	v_fma_f32 v0, -v0, v5, v4
	v_div_fmas_f32 v0, v0, v1, v5
	v_div_fixup_f32 v0, v0, v6, v7
	global_store_dword v[2:3], v0, off
.LBB69_6:
	s_endpgm
	.section	.rodata,"a",@progbits
	.p2align	6, 0x0
	.amdhsa_kernel _ZL33flash_attn_stream_k_fixup_uniformILi80ELi2ELi1EEvPfPK15HIP_vector_typeIfLj2EEiiiiiiS1_IjLj3EES5_S5_
		.amdhsa_group_segment_fixed_size 0
		.amdhsa_private_segment_fixed_size 0
		.amdhsa_kernarg_size 76
		.amdhsa_user_sgpr_count 2
		.amdhsa_user_sgpr_dispatch_ptr 0
		.amdhsa_user_sgpr_queue_ptr 0
		.amdhsa_user_sgpr_kernarg_segment_ptr 1
		.amdhsa_user_sgpr_dispatch_id 0
		.amdhsa_user_sgpr_kernarg_preload_length 0
		.amdhsa_user_sgpr_kernarg_preload_offset 0
		.amdhsa_user_sgpr_private_segment_size 0
		.amdhsa_uses_dynamic_stack 0
		.amdhsa_enable_private_segment 0
		.amdhsa_system_sgpr_workgroup_id_x 1
		.amdhsa_system_sgpr_workgroup_id_y 1
		.amdhsa_system_sgpr_workgroup_id_z 1
		.amdhsa_system_sgpr_workgroup_info 0
		.amdhsa_system_vgpr_workitem_id 0
		.amdhsa_next_free_vgpr 16
		.amdhsa_next_free_sgpr 20
		.amdhsa_accum_offset 16
		.amdhsa_reserve_vcc 1
		.amdhsa_float_round_mode_32 0
		.amdhsa_float_round_mode_16_64 0
		.amdhsa_float_denorm_mode_32 3
		.amdhsa_float_denorm_mode_16_64 3
		.amdhsa_dx10_clamp 1
		.amdhsa_ieee_mode 1
		.amdhsa_fp16_overflow 0
		.amdhsa_tg_split 0
		.amdhsa_exception_fp_ieee_invalid_op 0
		.amdhsa_exception_fp_denorm_src 0
		.amdhsa_exception_fp_ieee_div_zero 0
		.amdhsa_exception_fp_ieee_overflow 0
		.amdhsa_exception_fp_ieee_underflow 0
		.amdhsa_exception_fp_ieee_inexact 0
		.amdhsa_exception_int_div_zero 0
	.end_amdhsa_kernel
	.section	.text._ZL33flash_attn_stream_k_fixup_uniformILi80ELi2ELi1EEvPfPK15HIP_vector_typeIfLj2EEiiiiiiS1_IjLj3EES5_S5_,"axG",@progbits,_ZL33flash_attn_stream_k_fixup_uniformILi80ELi2ELi1EEvPfPK15HIP_vector_typeIfLj2EEiiiiiiS1_IjLj3EES5_S5_,comdat
.Lfunc_end69:
	.size	_ZL33flash_attn_stream_k_fixup_uniformILi80ELi2ELi1EEvPfPK15HIP_vector_typeIfLj2EEiiiiiiS1_IjLj3EES5_S5_, .Lfunc_end69-_ZL33flash_attn_stream_k_fixup_uniformILi80ELi2ELi1EEvPfPK15HIP_vector_typeIfLj2EEiiiiiiS1_IjLj3EES5_S5_
                                        ; -- End function
	.section	.AMDGPU.csdata,"",@progbits
; Kernel info:
; codeLenInByte = 820
; NumSgprs: 26
; NumVgprs: 16
; NumAgprs: 0
; TotalNumVgprs: 16
; ScratchSize: 0
; MemoryBound: 0
; FloatMode: 240
; IeeeMode: 1
; LDSByteSize: 0 bytes/workgroup (compile time only)
; SGPRBlocks: 3
; VGPRBlocks: 1
; NumSGPRsForWavesPerEU: 26
; NumVGPRsForWavesPerEU: 16
; AccumOffset: 16
; Occupancy: 8
; WaveLimiterHint : 0
; COMPUTE_PGM_RSRC2:SCRATCH_EN: 0
; COMPUTE_PGM_RSRC2:USER_SGPR: 2
; COMPUTE_PGM_RSRC2:TRAP_HANDLER: 0
; COMPUTE_PGM_RSRC2:TGID_X_EN: 1
; COMPUTE_PGM_RSRC2:TGID_Y_EN: 1
; COMPUTE_PGM_RSRC2:TGID_Z_EN: 1
; COMPUTE_PGM_RSRC2:TIDIG_COMP_CNT: 0
; COMPUTE_PGM_RSRC3_GFX90A:ACCUM_OFFSET: 3
; COMPUTE_PGM_RSRC3_GFX90A:TG_SPLIT: 0
	.section	.text._ZL33flash_attn_stream_k_fixup_generalILi80ELi2ELi1EEvPfPK15HIP_vector_typeIfLj2EEiiiiS1_IjLj3EES5_S5_S5_,"axG",@progbits,_ZL33flash_attn_stream_k_fixup_generalILi80ELi2ELi1EEvPfPK15HIP_vector_typeIfLj2EEiiiiS1_IjLj3EES5_S5_S5_,comdat
	.globl	_ZL33flash_attn_stream_k_fixup_generalILi80ELi2ELi1EEvPfPK15HIP_vector_typeIfLj2EEiiiiS1_IjLj3EES5_S5_S5_ ; -- Begin function _ZL33flash_attn_stream_k_fixup_generalILi80ELi2ELi1EEvPfPK15HIP_vector_typeIfLj2EEiiiiS1_IjLj3EES5_S5_S5_
	.p2align	8
	.type	_ZL33flash_attn_stream_k_fixup_generalILi80ELi2ELi1EEvPfPK15HIP_vector_typeIfLj2EEiiiiS1_IjLj3EES5_S5_S5_,@function
_ZL33flash_attn_stream_k_fixup_generalILi80ELi2ELi1EEvPfPK15HIP_vector_typeIfLj2EEiiiiS1_IjLj3EES5_S5_S5_: ; @_ZL33flash_attn_stream_k_fixup_generalILi80ELi2ELi1EEvPfPK15HIP_vector_typeIfLj2EEiiiiS1_IjLj3EES5_S5_S5_
; %bb.0:
	s_load_dwordx4 s[12:15], s[0:1], 0x10
	s_load_dword s22, s[0:1], 0x50
	s_mov_b32 s8, 0
	s_waitcnt lgkmcnt(0)
	s_mul_hi_i32 s9, s15, s2
	s_cmp_lg_u64 s[8:9], 0
	s_mul_i32 s5, s15, s2
	s_cbranch_scc0 .LBB70_21
; %bb.1:
	v_cvt_f32_u32_e32 v1, s22
	v_cvt_f32_ubyte0_e32 v2, 0
	s_sub_u32 s8, 0, s22
	s_subb_u32 s10, 0, 0
	v_fmamk_f32 v1, v2, 0x4f800000, v1
	v_rcp_f32_e32 v1, v1
	s_nop 0
	v_mul_f32_e32 v1, 0x5f7ffffc, v1
	v_mul_f32_e32 v2, 0x2f800000, v1
	v_trunc_f32_e32 v2, v2
	v_fmamk_f32 v1, v2, 0xcf800000, v1
	v_cvt_u32_f32_e32 v2, v2
	v_cvt_u32_f32_e32 v1, v1
	v_readfirstlane_b32 s11, v2
	v_readfirstlane_b32 s16, v1
	s_mul_i32 s17, s8, s11
	s_mul_hi_u32 s19, s8, s16
	s_mul_i32 s18, s10, s16
	s_add_i32 s17, s19, s17
	s_add_i32 s17, s17, s18
	s_mul_i32 s20, s8, s16
	s_mul_hi_u32 s18, s16, s17
	s_mul_i32 s19, s16, s17
	s_mul_hi_u32 s16, s16, s20
	s_add_u32 s16, s16, s19
	s_addc_u32 s18, 0, s18
	s_mul_hi_u32 s21, s11, s20
	s_mul_i32 s20, s11, s20
	s_add_u32 s16, s16, s20
	s_mul_hi_u32 s19, s11, s17
	s_addc_u32 s16, s18, s21
	s_addc_u32 s18, s19, 0
	s_mul_i32 s17, s11, s17
	s_add_u32 s16, s16, s17
	s_addc_u32 s17, 0, s18
	v_add_co_u32_e32 v1, vcc, s16, v1
	s_cmp_lg_u64 vcc, 0
	s_addc_u32 s11, s11, s17
	v_readfirstlane_b32 s17, v1
	s_mul_i32 s16, s8, s11
	s_mul_hi_u32 s18, s8, s17
	s_add_i32 s16, s18, s16
	s_mul_i32 s10, s10, s17
	s_add_i32 s16, s16, s10
	s_mul_i32 s8, s8, s17
	s_mul_hi_u32 s18, s11, s8
	s_mul_i32 s19, s11, s8
	s_mul_i32 s21, s17, s16
	s_mul_hi_u32 s8, s17, s8
	s_mul_hi_u32 s20, s17, s16
	s_add_u32 s8, s8, s21
	s_addc_u32 s17, 0, s20
	s_add_u32 s8, s8, s19
	s_mul_hi_u32 s10, s11, s16
	s_addc_u32 s8, s17, s18
	s_addc_u32 s10, s10, 0
	s_mul_i32 s16, s11, s16
	s_add_u32 s8, s8, s16
	s_addc_u32 s10, 0, s10
	v_add_co_u32_e32 v1, vcc, s8, v1
	s_cmp_lg_u64 vcc, 0
	s_addc_u32 s16, s11, s10
	s_ashr_i32 s10, s9, 31
	s_add_u32 s8, s5, s10
	s_mov_b32 s11, s10
	s_addc_u32 s9, s9, s10
	s_xor_b64 s[8:9], s[8:9], s[10:11]
	v_readfirstlane_b32 s19, v1
	s_mul_i32 s18, s8, s16
	s_mul_hi_u32 s20, s8, s19
	s_mul_hi_u32 s17, s8, s16
	s_add_u32 s18, s20, s18
	s_addc_u32 s17, 0, s17
	s_mul_hi_u32 s21, s9, s19
	s_mul_i32 s19, s9, s19
	s_add_u32 s18, s18, s19
	s_mul_hi_u32 s20, s9, s16
	s_addc_u32 s17, s17, s21
	s_addc_u32 s18, s20, 0
	s_mul_i32 s16, s9, s16
	s_add_u32 s16, s17, s16
	s_addc_u32 s17, 0, s18
	s_add_u32 s18, s16, 1
	s_addc_u32 s19, s17, 0
	s_add_u32 s20, s16, 2
	s_mul_i32 s23, s22, s17
	s_mul_hi_u32 s24, s22, s16
	s_addc_u32 s21, s17, 0
	s_add_i32 s24, s24, s23
	s_mul_i32 s23, s22, s16
	v_mov_b32_e32 v1, s23
	v_sub_co_u32_e32 v1, vcc, s8, v1
	s_cmp_lg_u64 vcc, 0
	s_subb_u32 s8, s9, s24
	v_subrev_co_u32_e32 v2, vcc, s22, v1
	s_cmp_lg_u64 vcc, 0
	s_subb_u32 s9, s8, 0
	v_readfirstlane_b32 s23, v2
	s_cmp_ge_u32 s23, s22
	s_cselect_b32 s23, -1, 0
	s_cmp_eq_u32 s9, 0
	s_cselect_b32 s9, s23, -1
	s_cmp_lg_u32 s9, 0
	s_cselect_b32 s9, s21, s19
	v_readfirstlane_b32 s19, v1
	s_cselect_b32 s18, s20, s18
	s_cmp_ge_u32 s19, s22
	s_cselect_b32 s19, -1, 0
	s_cmp_eq_u32 s8, 0
	s_cselect_b32 s8, s19, -1
	s_cmp_lg_u32 s8, 0
	s_cselect_b32 s9, s9, s17
	s_cselect_b32 s8, s18, s16
	s_xor_b64 s[8:9], s[8:9], s[10:11]
	s_sub_u32 s20, s8, s10
	s_load_dwordx4 s[16:19], s[0:1], 0x44
	s_cbranch_execnz .LBB70_3
.LBB70_2:
	v_cvt_f32_u32_e32 v1, s22
	s_sub_i32 s6, 0, s22
	v_rcp_iflag_f32_e32 v1, v1
	s_nop 0
	v_mul_f32_e32 v1, 0x4f7ffffe, v1
	v_cvt_u32_f32_e32 v1, v1
	s_nop 0
	v_readfirstlane_b32 s7, v1
	s_mul_i32 s6, s6, s7
	s_mul_hi_u32 s6, s7, s6
	s_add_i32 s7, s7, s6
	s_mul_hi_u32 s6, s5, s7
	s_mul_i32 s8, s6, s22
	s_sub_i32 s5, s5, s8
	s_add_i32 s7, s6, 1
	s_sub_i32 s8, s5, s22
	s_cmp_ge_u32 s5, s22
	s_cselect_b32 s6, s7, s6
	s_cselect_b32 s5, s8, s5
	s_add_i32 s7, s6, 1
	s_cmp_ge_u32 s5, s22
	s_cselect_b32 s20, s7, s6
.LBB70_3:
	s_add_i32 s5, s2, 1
	s_mul_hi_i32 s9, s15, s5
	s_mov_b32 s8, 0
	s_cmp_lg_u64 s[8:9], 0
	s_mul_i32 s5, s15, s5
	s_cbranch_scc0 .LBB70_22
; %bb.4:
	v_cvt_f32_u32_e32 v1, s22
	v_cvt_f32_ubyte0_e32 v2, 0
	s_sub_u32 s8, 0, s22
	s_subb_u32 s10, 0, 0
	v_fmamk_f32 v1, v2, 0x4f800000, v1
	v_rcp_f32_e32 v1, v1
	s_nop 0
	v_mul_f32_e32 v1, 0x5f7ffffc, v1
	v_mul_f32_e32 v2, 0x2f800000, v1
	v_trunc_f32_e32 v2, v2
	v_fmamk_f32 v1, v2, 0xcf800000, v1
	v_cvt_u32_f32_e32 v2, v2
	v_cvt_u32_f32_e32 v1, v1
	v_readfirstlane_b32 s11, v2
	s_waitcnt lgkmcnt(0)
	v_readfirstlane_b32 s19, v1
	s_mul_i32 s21, s8, s11
	s_mul_hi_u32 s24, s8, s19
	s_mul_i32 s23, s10, s19
	s_add_i32 s21, s24, s21
	s_add_i32 s21, s21, s23
	s_mul_i32 s25, s8, s19
	s_mul_hi_u32 s23, s19, s21
	s_mul_i32 s24, s19, s21
	s_mul_hi_u32 s19, s19, s25
	s_add_u32 s19, s19, s24
	s_addc_u32 s23, 0, s23
	s_mul_hi_u32 s26, s11, s25
	s_mul_i32 s25, s11, s25
	s_add_u32 s19, s19, s25
	s_mul_hi_u32 s24, s11, s21
	s_addc_u32 s19, s23, s26
	s_addc_u32 s23, s24, 0
	s_mul_i32 s21, s11, s21
	s_add_u32 s19, s19, s21
	s_addc_u32 s21, 0, s23
	v_add_co_u32_e32 v1, vcc, s19, v1
	s_cmp_lg_u64 vcc, 0
	s_addc_u32 s11, s11, s21
	v_readfirstlane_b32 s21, v1
	s_mul_i32 s19, s8, s11
	s_mul_hi_u32 s23, s8, s21
	s_add_i32 s19, s23, s19
	s_mul_i32 s10, s10, s21
	s_add_i32 s19, s19, s10
	s_mul_i32 s8, s8, s21
	s_mul_hi_u32 s23, s11, s8
	s_mul_i32 s24, s11, s8
	s_mul_i32 s26, s21, s19
	s_mul_hi_u32 s8, s21, s8
	s_mul_hi_u32 s25, s21, s19
	s_add_u32 s8, s8, s26
	s_addc_u32 s21, 0, s25
	s_add_u32 s8, s8, s24
	s_mul_hi_u32 s10, s11, s19
	s_addc_u32 s8, s21, s23
	s_addc_u32 s10, s10, 0
	s_mul_i32 s19, s11, s19
	s_add_u32 s8, s8, s19
	s_addc_u32 s10, 0, s10
	v_add_co_u32_e32 v1, vcc, s8, v1
	s_cmp_lg_u64 vcc, 0
	s_addc_u32 s19, s11, s10
	s_ashr_i32 s10, s9, 31
	s_add_u32 s8, s5, s10
	s_mov_b32 s11, s10
	s_addc_u32 s9, s9, s10
	s_xor_b64 s[8:9], s[8:9], s[10:11]
	v_readfirstlane_b32 s23, v1
	s_mul_i32 s21, s8, s19
	s_mul_hi_u32 s24, s8, s23
	s_mul_hi_u32 s11, s8, s19
	s_add_u32 s21, s24, s21
	s_addc_u32 s11, 0, s11
	s_mul_hi_u32 s25, s9, s23
	s_mul_i32 s23, s9, s23
	s_add_u32 s21, s21, s23
	s_mul_hi_u32 s24, s9, s19
	s_addc_u32 s11, s11, s25
	s_addc_u32 s21, s24, 0
	s_mul_i32 s19, s9, s19
	s_add_u32 s11, s11, s19
	s_addc_u32 s19, 0, s21
	s_mul_i32 s19, s22, s19
	s_mul_hi_u32 s24, s22, s11
	s_add_i32 s24, s24, s19
	s_mul_i32 s19, s22, s11
	v_mov_b32_e32 v1, s19
	s_add_u32 s21, s11, 1
	s_add_u32 s23, s11, 2
	v_sub_co_u32_e32 v1, vcc, s8, v1
	s_cmp_lg_u64 vcc, 0
	s_subb_u32 s8, s9, s24
	v_subrev_co_u32_e32 v2, vcc, s22, v1
	s_cmp_lg_u64 vcc, 0
	s_subb_u32 s9, s8, 0
	v_cmp_le_u32_e32 vcc, s22, v2
	s_cmp_eq_u32 s9, 0
	v_mov_b32_e32 v3, s21
	v_cndmask_b32_e64 v2, 0, -1, vcc
	s_cselect_b64 vcc, -1, 0
	v_cndmask_b32_e32 v2, -1, v2, vcc
	v_mov_b32_e32 v4, s23
	v_cmp_ne_u32_e32 vcc, 0, v2
	s_cmp_eq_u32 s8, 0
	s_nop 0
	v_cndmask_b32_e32 v2, v3, v4, vcc
	v_cmp_le_u32_e32 vcc, s22, v1
	v_mov_b32_e32 v3, s11
	s_nop 0
	v_cndmask_b32_e64 v1, 0, -1, vcc
	s_cselect_b64 vcc, -1, 0
	v_cndmask_b32_e32 v1, -1, v1, vcc
	v_cmp_ne_u32_e32 vcc, 0, v1
	s_nop 1
	v_cndmask_b32_e32 v1, v3, v2, vcc
	v_xor_b32_e32 v1, s10, v1
	v_subrev_co_u32_e32 v2, vcc, s10, v1
	s_cbranch_execnz .LBB70_6
.LBB70_5:
	v_cvt_f32_u32_e32 v1, s22
	s_sub_i32 s6, 0, s22
	s_mov_b32 s7, 0
	v_rcp_iflag_f32_e32 v1, v1
	s_nop 0
	v_mul_f32_e32 v1, 0x4f7ffffe, v1
	v_cvt_u32_f32_e32 v1, v1
	s_nop 0
	v_readfirstlane_b32 s8, v1
	s_mul_i32 s6, s6, s8
	s_mul_hi_u32 s6, s8, s6
	s_add_i32 s8, s8, s6
	s_mul_hi_u32 s6, s5, s8
	s_mul_i32 s9, s6, s22
	s_sub_i32 s5, s5, s9
	s_add_i32 s8, s6, 1
	s_sub_i32 s9, s5, s22
	s_cmp_ge_u32 s5, s22
	s_cselect_b32 s6, s8, s6
	s_cselect_b32 s5, s9, s5
	s_add_i32 s8, s6, 1
	s_cmp_ge_u32 s5, s22
	s_cselect_b32 s6, s8, s6
	v_mov_b64_e32 v[2:3], s[6:7]
.LBB70_6:
	s_waitcnt lgkmcnt(0)
	s_mul_hi_u32 s5, s20, s16
	s_add_i32 s5, s5, s20
	v_mul_hi_u32 v1, v2, s16
	s_lshr_b32 s19, s5, s17
	v_add_u32_e32 v1, v1, v2
	s_mul_i32 s5, s19, s18
	v_lshrrev_b32_e32 v1, s17, v1
	s_cmp_eq_u32 s5, s20
	v_cmp_eq_u32_e64 s[6:7], s19, v1
	v_mul_lo_u32 v1, v1, s18
	v_cmp_eq_u32_e32 vcc, s20, v2
	s_cselect_b64 s[10:11], -1, 0
	v_cmp_ne_u32_e64 s[8:9], v1, v2
	s_and_b64 s[6:7], s[6:7], s[8:9]
	s_or_b64 s[8:9], vcc, s[10:11]
	s_or_b64 s[6:7], s[8:9], s[6:7]
	s_and_b64 vcc, exec, s[6:7]
	s_cbranch_vccnz .LBB70_24
; %bb.7:
	s_load_dwordx8 s[24:31], s[0:1], 0x20
	s_load_dword s5, s[0:1], 0x40
	s_waitcnt lgkmcnt(0)
	s_mul_hi_u32 s6, s20, s24
	s_add_i32 s6, s6, s20
	s_lshr_b32 s7, s6, s25
	s_mul_i32 s6, s7, s26
	s_sub_i32 s6, s20, s6
	s_mul_hi_u32 s8, s6, s27
	s_add_i32 s8, s6, s8
	s_lshr_b32 s23, s8, s28
	s_mul_i32 s8, s23, s29
	s_sub_i32 s6, s6, s8
	;; [unrolled: 5-line block ×3, first 2 shown]
	s_mul_hi_u32 s6, s5, s16
	s_add_i32 s5, s5, s6
	s_lshr_b32 s24, s5, s17
	s_lshl_b32 s5, s24, 1
	s_add_i32 s5, s5, s3
	s_cmp_lt_i32 s5, s12
	s_cselect_b64 s[8:9], -1, 0
	s_add_i32 s25, s25, s4
	s_cmp_lt_i32 s25, s14
	s_cselect_b64 s[10:11], -1, 0
	s_and_b64 s[8:9], s[8:9], s[10:11]
	s_andn2_b64 vcc, exec, s[8:9]
	s_mov_b32 s6, 0
	s_cbranch_vccnz .LBB70_24
; %bb.8:
	s_load_dwordx4 s[8:11], s[0:1], 0x0
	s_lshl_b32 s0, s22, 3
	s_mov_b32 s1, s6
	s_add_i32 s21, s3, s4
	s_lshl_b64 s[0:1], s[0:1], 2
	s_waitcnt lgkmcnt(0)
	s_add_u32 s4, s10, s0
	s_mul_i32 s0, s7, s12
	s_addc_u32 s5, s11, s1
	s_mul_i32 s23, s23, s14
	s_add_i32 s0, s0, s3
	s_mul_i32 s0, s0, s13
	s_add_i32 s3, s25, s23
	;; [unrolled: 2-line block ×3, first 2 shown]
	s_mulk_i32 s1, 0xa0
	s_mulk_i32 s0, 0x50
	s_add_i32 s1, s1, s0
	v_add_u32_e32 v4, s1, v0
	v_mov_b32_e32 v2, s8
	v_mov_b32_e32 v3, s9
	v_ashrrev_i32_e32 v5, 31, v4
	v_lshl_add_u64 v[2:3], v[4:5], 2, v[2:3]
	global_load_dword v5, v[2:3], off
	s_lshl_b32 s0, s2, 1
	s_add_i32 s0, s0, s21
	s_ashr_i32 s1, s0, 31
	s_lshl_b64 s[0:1], s[0:1], 3
	s_add_u32 s0, s10, s0
	s_addc_u32 s1, s11, s1
	s_add_i32 s12, s2, -1
	s_mul_i32 s2, s21, 0x50
	v_add_u32_e32 v4, s2, v0
	v_cvt_f32_u32_e32 v0, s22
	v_cvt_f32_ubyte0_e32 v1, 0
	s_load_dwordx2 s[0:1], s[0:1], 0x0
	v_mov_b32_e32 v8, s20
	v_fmac_f32_e32 v0, 0x4f800000, v1
	v_rcp_f32_e32 v0, v0
	v_cvt_f32_u32_e32 v1, s22
	s_waitcnt lgkmcnt(0)
	v_mov_b32_e32 v6, s1
	v_mov_b32_e32 v7, s0
	v_mul_f32_e32 v0, 0x5f7ffffc, v0
	v_rcp_iflag_f32_e32 v1, v1
	v_mul_f32_e32 v9, 0x2f800000, v0
	v_trunc_f32_e32 v10, v9
	v_fmac_f32_e32 v0, 0xcf800000, v10
	v_cvt_u32_f32_e32 v9, v0
	v_mul_f32_e32 v0, 0x4f7ffffe, v1
	v_cvt_u32_f32_e32 v10, v10
	v_cvt_u32_f32_e32 v11, v0
	s_mov_b32 s8, 0x3fb8aa3b
	s_mov_b32 s9, 0xc2ce8ed0
	;; [unrolled: 1-line block ×4, first 2 shown]
	v_mov_b32_e32 v12, 0x7f800000
	s_mul_hi_i32 s7, s12, s15
	s_cmp_lg_u64 s[6:7], 0
	s_mul_i32 s2, s12, s15
	s_cbranch_scc0 .LBB70_15
.LBB70_9:
	s_sub_u32 s0, 0, s22
	v_readfirstlane_b32 s3, v9
	v_readfirstlane_b32 s24, v10
	s_subb_u32 s1, 0, 0
	s_mul_hi_u32 s23, s0, s3
	s_mul_i32 s25, s0, s24
	s_mul_i32 s20, s1, s3
	s_add_i32 s23, s23, s25
	s_add_i32 s23, s23, s20
	s_mul_i32 s26, s0, s3
	s_mul_hi_u32 s20, s3, s23
	s_mul_i32 s25, s3, s23
	s_mul_hi_u32 s3, s3, s26
	s_add_u32 s3, s3, s25
	s_addc_u32 s20, 0, s20
	s_mul_hi_u32 s27, s24, s26
	s_mul_i32 s26, s24, s26
	s_add_u32 s3, s3, s26
	s_mul_hi_u32 s25, s24, s23
	s_addc_u32 s3, s20, s27
	s_addc_u32 s20, s25, 0
	s_mul_i32 s23, s24, s23
	s_add_u32 s3, s3, s23
	s_addc_u32 s20, 0, s20
	v_add_co_u32_e32 v0, vcc, s3, v9
	s_cmp_lg_u64 vcc, 0
	s_addc_u32 s3, s24, s20
	v_readfirstlane_b32 s23, v0
	s_mul_i32 s20, s0, s3
	s_mul_hi_u32 s24, s0, s23
	s_add_i32 s20, s24, s20
	s_mul_i32 s1, s1, s23
	s_add_i32 s20, s20, s1
	s_mul_i32 s0, s0, s23
	s_mul_hi_u32 s24, s3, s0
	s_mul_i32 s25, s3, s0
	s_mul_i32 s27, s23, s20
	s_mul_hi_u32 s0, s23, s0
	s_mul_hi_u32 s26, s23, s20
	s_add_u32 s0, s0, s27
	s_addc_u32 s23, 0, s26
	s_add_u32 s0, s0, s25
	s_mul_hi_u32 s1, s3, s20
	s_addc_u32 s0, s23, s24
	s_addc_u32 s1, s1, 0
	s_mul_i32 s20, s3, s20
	s_add_u32 s0, s0, s20
	s_addc_u32 s1, 0, s1
	v_add_co_u32_e32 v0, vcc, s0, v0
	s_cmp_lg_u64 vcc, 0
	s_addc_u32 s3, s3, s1
	s_ashr_i32 s0, s7, 31
	s_add_u32 s24, s2, s0
	s_mov_b32 s1, s0
	s_addc_u32 s25, s7, s0
	s_xor_b64 s[24:25], s[24:25], s[0:1]
	v_readfirstlane_b32 s20, v0
	s_mul_i32 s7, s24, s3
	s_mul_hi_u32 s23, s24, s20
	s_mul_hi_u32 s1, s24, s3
	s_add_u32 s7, s23, s7
	s_addc_u32 s1, 0, s1
	s_mul_hi_u32 s26, s25, s20
	s_mul_i32 s20, s25, s20
	s_add_u32 s7, s7, s20
	s_mul_hi_u32 s23, s25, s3
	s_addc_u32 s1, s1, s26
	s_addc_u32 s7, s23, 0
	s_mul_i32 s3, s25, s3
	s_add_u32 s1, s1, s3
	s_addc_u32 s3, 0, s7
	s_mul_i32 s3, s22, s3
	s_mul_hi_u32 s23, s22, s1
	s_add_i32 s23, s23, s3
	s_mul_i32 s3, s22, s1
	v_mov_b32_e32 v0, s3
	s_add_u32 s7, s1, 1
	s_add_u32 s20, s1, 2
	v_sub_co_u32_e32 v0, vcc, s24, v0
	s_cmp_lg_u64 vcc, 0
	s_subb_u32 s3, s25, s23
	v_subrev_co_u32_e32 v1, vcc, s22, v0
	s_cmp_lg_u64 vcc, 0
	s_subb_u32 s23, s3, 0
	v_cmp_le_u32_e32 vcc, s22, v1
	s_cmp_eq_u32 s23, 0
	v_mov_b32_e32 v13, s7
	v_cndmask_b32_e64 v1, 0, -1, vcc
	s_cselect_b64 vcc, -1, 0
	v_cndmask_b32_e32 v1, -1, v1, vcc
	v_mov_b32_e32 v14, s20
	v_cmp_ne_u32_e32 vcc, 0, v1
	s_cmp_eq_u32 s3, 0
	s_nop 0
	v_cndmask_b32_e32 v1, v13, v14, vcc
	v_cmp_le_u32_e32 vcc, s22, v0
	v_mov_b32_e32 v13, s1
	s_nop 0
	v_cndmask_b32_e64 v0, 0, -1, vcc
	s_cselect_b64 vcc, -1, 0
	v_cndmask_b32_e32 v0, -1, v0, vcc
	v_cmp_ne_u32_e32 vcc, 0, v0
	s_nop 1
	v_cndmask_b32_e32 v0, v13, v1, vcc
	v_xor_b32_e32 v0, s0, v0
	v_subrev_co_u32_e32 v0, vcc, s0, v0
	s_cbranch_execnz .LBB70_11
.LBB70_10:
	s_sub_i32 s0, 0, s22
	v_mul_lo_u32 v0, s0, v11
	v_mul_hi_u32 v0, v11, v0
	v_add_u32_e32 v0, v11, v0
	v_mul_hi_u32 v0, s2, v0
	v_mul_lo_u32 v13, v0, s22
	v_sub_u32_e32 v13, s2, v13
	v_add_u32_e32 v1, 1, v0
	v_subrev_u32_e32 v14, s22, v13
	v_cmp_le_u32_e32 vcc, s22, v13
	s_nop 1
	v_cndmask_b32_e32 v13, v13, v14, vcc
	v_cndmask_b32_e32 v0, v0, v1, vcc
	v_add_u32_e32 v1, 1, v0
	v_cmp_le_u32_e32 vcc, s22, v13
	s_nop 1
	v_cndmask_b32_e32 v0, v0, v1, vcc
.LBB70_11:
	v_cmp_ne_u32_e32 vcc, v8, v0
	s_cbranch_vccz .LBB70_14
; %bb.12:
	s_add_i32 s0, s12, s22
	s_lshl_b32 s0, s0, 1
	v_mul_hi_u32 v1, v0, s16
	s_add_i32 s0, s0, s21
	s_mov_b32 s1, s6
	v_add_u32_e32 v1, v1, v0
	s_lshl_b64 s[0:1], s[0:1], 3
	v_lshrrev_b32_e32 v1, s17, v1
	s_add_u32 s2, s10, s0
	v_mul_lo_u32 v13, v1, s18
	s_addc_u32 s3, s11, s1
	v_cmp_eq_u32_e32 vcc, v13, v0
	v_cmp_gt_u32_e64 s[0:1], s19, v1
	s_or_b64 s[0:1], s[0:1], vcc
	s_and_b64 vcc, exec, s[0:1]
	s_cbranch_vccnz .LBB70_16
; %bb.13:
	s_add_i32 s7, s12, -1
	s_mov_b64 s[0:1], 0
	s_branch .LBB70_17
.LBB70_14:
                                        ; implicit-def: $sgpr0_sgpr1
                                        ; implicit-def: $vgpr14
                                        ; implicit-def: $vgpr1
                                        ; implicit-def: $vgpr13
                                        ; implicit-def: $sgpr7
                                        ; implicit-def: $vgpr0
	s_branch .LBB70_18
.LBB70_15:
                                        ; implicit-def: $vgpr0_vgpr1
	s_branch .LBB70_10
.LBB70_16:
	s_mov_b64 s[0:1], -1
	s_mov_b32 s7, s12
	v_mov_b32_e32 v0, v8
.LBB70_17:
	s_mul_i32 s20, s12, 0xa0
	v_add_u32_e32 v14, s20, v4
	v_ashrrev_i32_e32 v15, 31, v14
	v_lshl_add_u64 v[14:15], v[14:15], 2, s[4:5]
	global_load_dword v14, v[14:15], off
	s_load_dwordx2 s[2:3], s[2:3], 0x0
	v_max_f32_e32 v1, v7, v7
	s_waitcnt lgkmcnt(0)
	v_max_f32_e64 v13, s2, s2
	v_max_f32_e32 v1, v1, v13
	v_sub_f32_e32 v13, v7, v1
	v_sub_f32_e32 v15, s2, v1
	v_mul_f32_e32 v16, 0x3fb8aa3b, v13
	v_mul_f32_e32 v17, 0x3fb8aa3b, v15
	v_fma_f32 v18, v13, s8, -v16
	v_rndne_f32_e32 v19, v16
	v_fma_f32 v20, v15, s8, -v17
	v_rndne_f32_e32 v21, v17
	v_fmac_f32_e32 v18, 0x32a5705f, v13
	v_sub_f32_e32 v16, v16, v19
	v_fmac_f32_e32 v20, 0x32a5705f, v15
	v_sub_f32_e32 v17, v17, v21
	v_add_f32_e32 v16, v16, v18
	v_cvt_i32_f32_e32 v19, v19
	v_add_f32_e32 v17, v17, v20
	v_exp_f32_e32 v16, v16
	v_cvt_i32_f32_e32 v21, v21
	v_exp_f32_e32 v17, v17
	v_cmp_ngt_f32_e32 vcc, s9, v13
	v_ldexp_f32 v16, v16, v19
	v_ldexp_f32 v17, v17, v21
	v_cndmask_b32_e32 v16, 0, v16, vcc
	v_cmp_ngt_f32_e32 vcc, s9, v15
	s_nop 1
	v_cndmask_b32_e32 v17, 0, v17, vcc
	v_cmp_nlt_f32_e32 vcc, s13, v13
	s_nop 1
	v_cndmask_b32_e32 v16, v12, v16, vcc
	v_cmp_nlt_f32_e32 vcc, s13, v15
	s_nop 1
	v_cndmask_b32_e32 v17, v12, v17, vcc
	v_cmp_le_f32_e32 vcc, s14, v13
	s_nop 1
	v_cndmask_b32_e32 v16, 0, v16, vcc
	v_cmp_le_f32_e32 vcc, s14, v15
	s_nop 1
	v_cndmask_b32_e32 v15, 0, v17, vcc
	v_mul_f32_e32 v13, s3, v15
	v_fmac_f32_e32 v13, v6, v16
	s_waitcnt vmcnt(0)
	v_mul_f32_e32 v14, v14, v15
	v_fmac_f32_e32 v14, v5, v16
	s_cbranch_execnz .LBB70_19
.LBB70_18:
	s_add_i32 s7, s12, -1
	s_mov_b64 s[0:1], 0
	v_mov_b32_e32 v0, v8
	v_mov_b32_e32 v13, v6
	;; [unrolled: 1-line block ×3, first 2 shown]
	s_waitcnt vmcnt(0)
	v_mov_b32_e32 v14, v5
.LBB70_19:
	s_andn2_b64 vcc, exec, s[0:1]
	s_cbranch_vccz .LBB70_23
; %bb.20:
	v_mov_b32_e32 v8, v0
	s_mov_b32 s12, s7
	v_mov_b32_e32 v6, v13
	v_mov_b32_e32 v7, v1
	s_waitcnt vmcnt(0)
	v_mov_b32_e32 v5, v14
	s_mul_hi_i32 s7, s12, s15
	s_cmp_lg_u64 s[6:7], 0
	s_mul_i32 s2, s12, s15
	s_cbranch_scc1 .LBB70_9
	s_branch .LBB70_15
.LBB70_21:
                                        ; implicit-def: $sgpr20_sgpr21
	s_load_dwordx4 s[16:19], s[0:1], 0x44
	s_branch .LBB70_2
.LBB70_22:
                                        ; implicit-def: $vgpr2_vgpr3
	s_branch .LBB70_5
.LBB70_23:
	v_div_scale_f32 v0, s[0:1], v13, v13, v14
	v_rcp_f32_e32 v1, v0
	v_div_scale_f32 v4, vcc, v14, v13, v14
	s_waitcnt vmcnt(0)
	v_fma_f32 v5, -v0, v1, 1.0
	v_fmac_f32_e32 v1, v5, v1
	v_mul_f32_e32 v5, v4, v1
	v_fma_f32 v6, -v0, v5, v4
	v_fmac_f32_e32 v5, v6, v1
	v_fma_f32 v0, -v0, v5, v4
	v_div_fmas_f32 v0, v0, v1, v5
	v_div_fixup_f32 v0, v0, v13, v14
	global_store_dword v[2:3], v0, off
.LBB70_24:
	s_endpgm
	.section	.rodata,"a",@progbits
	.p2align	6, 0x0
	.amdhsa_kernel _ZL33flash_attn_stream_k_fixup_generalILi80ELi2ELi1EEvPfPK15HIP_vector_typeIfLj2EEiiiiS1_IjLj3EES5_S5_S5_
		.amdhsa_group_segment_fixed_size 0
		.amdhsa_private_segment_fixed_size 0
		.amdhsa_kernarg_size 336
		.amdhsa_user_sgpr_count 2
		.amdhsa_user_sgpr_dispatch_ptr 0
		.amdhsa_user_sgpr_queue_ptr 0
		.amdhsa_user_sgpr_kernarg_segment_ptr 1
		.amdhsa_user_sgpr_dispatch_id 0
		.amdhsa_user_sgpr_kernarg_preload_length 0
		.amdhsa_user_sgpr_kernarg_preload_offset 0
		.amdhsa_user_sgpr_private_segment_size 0
		.amdhsa_uses_dynamic_stack 0
		.amdhsa_enable_private_segment 0
		.amdhsa_system_sgpr_workgroup_id_x 1
		.amdhsa_system_sgpr_workgroup_id_y 1
		.amdhsa_system_sgpr_workgroup_id_z 1
		.amdhsa_system_sgpr_workgroup_info 0
		.amdhsa_system_vgpr_workitem_id 0
		.amdhsa_next_free_vgpr 22
		.amdhsa_next_free_sgpr 32
		.amdhsa_accum_offset 24
		.amdhsa_reserve_vcc 1
		.amdhsa_float_round_mode_32 0
		.amdhsa_float_round_mode_16_64 0
		.amdhsa_float_denorm_mode_32 3
		.amdhsa_float_denorm_mode_16_64 3
		.amdhsa_dx10_clamp 1
		.amdhsa_ieee_mode 1
		.amdhsa_fp16_overflow 0
		.amdhsa_tg_split 0
		.amdhsa_exception_fp_ieee_invalid_op 0
		.amdhsa_exception_fp_denorm_src 0
		.amdhsa_exception_fp_ieee_div_zero 0
		.amdhsa_exception_fp_ieee_overflow 0
		.amdhsa_exception_fp_ieee_underflow 0
		.amdhsa_exception_fp_ieee_inexact 0
		.amdhsa_exception_int_div_zero 0
	.end_amdhsa_kernel
	.section	.text._ZL33flash_attn_stream_k_fixup_generalILi80ELi2ELi1EEvPfPK15HIP_vector_typeIfLj2EEiiiiS1_IjLj3EES5_S5_S5_,"axG",@progbits,_ZL33flash_attn_stream_k_fixup_generalILi80ELi2ELi1EEvPfPK15HIP_vector_typeIfLj2EEiiiiS1_IjLj3EES5_S5_S5_,comdat
.Lfunc_end70:
	.size	_ZL33flash_attn_stream_k_fixup_generalILi80ELi2ELi1EEvPfPK15HIP_vector_typeIfLj2EEiiiiS1_IjLj3EES5_S5_S5_, .Lfunc_end70-_ZL33flash_attn_stream_k_fixup_generalILi80ELi2ELi1EEvPfPK15HIP_vector_typeIfLj2EEiiiiS1_IjLj3EES5_S5_S5_
                                        ; -- End function
	.section	.AMDGPU.csdata,"",@progbits
; Kernel info:
; codeLenInByte = 2860
; NumSgprs: 38
; NumVgprs: 22
; NumAgprs: 0
; TotalNumVgprs: 22
; ScratchSize: 0
; MemoryBound: 0
; FloatMode: 240
; IeeeMode: 1
; LDSByteSize: 0 bytes/workgroup (compile time only)
; SGPRBlocks: 4
; VGPRBlocks: 2
; NumSGPRsForWavesPerEU: 38
; NumVGPRsForWavesPerEU: 22
; AccumOffset: 24
; Occupancy: 8
; WaveLimiterHint : 0
; COMPUTE_PGM_RSRC2:SCRATCH_EN: 0
; COMPUTE_PGM_RSRC2:USER_SGPR: 2
; COMPUTE_PGM_RSRC2:TRAP_HANDLER: 0
; COMPUTE_PGM_RSRC2:TGID_X_EN: 1
; COMPUTE_PGM_RSRC2:TGID_Y_EN: 1
; COMPUTE_PGM_RSRC2:TGID_Z_EN: 1
; COMPUTE_PGM_RSRC2:TIDIG_COMP_CNT: 0
; COMPUTE_PGM_RSRC3_GFX90A:ACCUM_OFFSET: 5
; COMPUTE_PGM_RSRC3_GFX90A:TG_SPLIT: 0
	.text
	.p2align	2                               ; -- Begin function __ockl_printf_append_string_n
	.type	__ockl_printf_append_string_n,@function
__ockl_printf_append_string_n:          ; @__ockl_printf_append_string_n
; %bb.0:
	s_waitcnt vmcnt(0) expcnt(0) lgkmcnt(0)
	v_mov_b32_e32 v7, v3
	v_mov_b32_e32 v6, v2
	;; [unrolled: 1-line block ×3, first 2 shown]
	s_mov_b64 s[2:3], 0
	v_cmp_ne_u64_e32 vcc, 0, v[6:7]
	v_mbcnt_lo_u32_b32 v3, -1, 0
	s_and_saveexec_b64 s[0:1], vcc
	s_xor_b64 s[4:5], exec, s[0:1]
	s_cbranch_execz .LBB71_86
; %bb.1:
	s_load_dwordx2 s[6:7], s[8:9], 0x50
	v_and_b32_e32 v28, 2, v2
	s_mov_b32 s18, 0
	v_mov_b32_e32 v31, 0
	v_and_b32_e32 v0, -3, v2
	v_mbcnt_hi_u32_b32 v32, -1, v3
	s_movk_i32 s19, 0xff1f
	v_mov_b32_e32 v10, 2
	v_mov_b32_e32 v11, 1
	s_branch .LBB71_3
.LBB71_2:                               ;   in Loop: Header=BB71_3 Depth=1
	s_or_b64 exec, exec, s[12:13]
	v_sub_co_u32_e32 v4, vcc, v4, v34
	v_lshl_add_u64 v[6:7], v[6:7], 0, v[34:35]
	s_nop 0
	v_subb_co_u32_e32 v5, vcc, v5, v35, vcc
	v_cmp_eq_u64_e32 vcc, 0, v[4:5]
	s_or_b64 s[2:3], vcc, s[2:3]
	s_andn2_b64 exec, exec, s[2:3]
	s_cbranch_execz .LBB71_85
.LBB71_3:                               ; =>This Loop Header: Depth=1
                                        ;     Child Loop BB71_6 Depth 2
                                        ;     Child Loop BB71_14 Depth 2
	;; [unrolled: 1-line block ×11, first 2 shown]
	v_cmp_gt_u64_e32 vcc, 56, v[4:5]
                                        ; implicit-def: $vgpr2_vgpr3
                                        ; implicit-def: $sgpr10
	s_nop 1
	v_cndmask_b32_e32 v35, 0, v5, vcc
	v_cndmask_b32_e32 v34, 56, v4, vcc
	v_cmp_gt_u64_e32 vcc, 8, v[4:5]
	s_and_saveexec_b64 s[0:1], vcc
	s_xor_b64 s[0:1], exec, s[0:1]
	s_cbranch_execz .LBB71_9
; %bb.4:                                ;   in Loop: Header=BB71_3 Depth=1
	s_mov_b64 s[12:13], 0
	v_cmp_ne_u64_e32 vcc, 0, v[4:5]
	s_waitcnt vmcnt(0)
	v_mov_b64_e32 v[2:3], 0
	s_and_saveexec_b64 s[10:11], vcc
	s_cbranch_execz .LBB71_8
; %bb.5:                                ;   in Loop: Header=BB71_3 Depth=1
	v_lshlrev_b64 v[8:9], 3, v[34:35]
	v_mov_b64_e32 v[2:3], 0
	v_mov_b64_e32 v[12:13], v[6:7]
	s_mov_b64 s[14:15], 0
.LBB71_6:                               ;   Parent Loop BB71_3 Depth=1
                                        ; =>  This Inner Loop Header: Depth=2
	flat_load_ubyte v9, v[12:13]
	v_mov_b32_e32 v15, s18
	v_lshl_add_u64 v[12:13], v[12:13], 0, 1
	s_waitcnt vmcnt(0) lgkmcnt(0)
	v_and_b32_e32 v14, 0xffff, v9
	v_lshlrev_b64 v[14:15], s14, v[14:15]
	s_add_u32 s14, s14, 8
	s_addc_u32 s15, s15, 0
	v_cmp_eq_u32_e32 vcc, s14, v8
	v_or_b32_e32 v3, v15, v3
	s_or_b64 s[12:13], vcc, s[12:13]
	v_or_b32_e32 v2, v14, v2
	s_andn2_b64 exec, exec, s[12:13]
	s_cbranch_execnz .LBB71_6
; %bb.7:                                ;   in Loop: Header=BB71_3 Depth=1
	s_or_b64 exec, exec, s[12:13]
.LBB71_8:                               ;   in Loop: Header=BB71_3 Depth=1
	s_or_b64 exec, exec, s[10:11]
	s_mov_b32 s10, 0
.LBB71_9:                               ;   in Loop: Header=BB71_3 Depth=1
	s_or_saveexec_b64 s[0:1], s[0:1]
	v_mov_b32_e32 v14, s10
	v_mov_b64_e32 v[8:9], v[6:7]
	s_xor_b64 exec, exec, s[0:1]
	s_cbranch_execz .LBB71_11
; %bb.10:                               ;   in Loop: Header=BB71_3 Depth=1
	s_waitcnt vmcnt(0)
	flat_load_dwordx2 v[2:3], v[6:7]
	v_add_u32_e32 v14, -8, v34
	s_waitcnt vmcnt(0) lgkmcnt(0)
	v_and_b32_e32 v8, 0xff, v3
	v_and_b32_e32 v9, 0xff00, v3
	;; [unrolled: 1-line block ×4, first 2 shown]
	v_or_b32_e32 v8, v8, v9
	v_or3_b32 v2, v2, 0, 0
	v_or3_b32 v3, v8, v12, v3
	v_lshl_add_u64 v[8:9], v[6:7], 0, 8
.LBB71_11:                              ;   in Loop: Header=BB71_3 Depth=1
	s_or_b64 exec, exec, s[0:1]
	v_cmp_gt_u32_e32 vcc, 8, v14
                                        ; implicit-def: $vgpr12_vgpr13
                                        ; implicit-def: $sgpr10
	s_and_saveexec_b64 s[0:1], vcc
	s_xor_b64 s[0:1], exec, s[0:1]
	s_cbranch_execz .LBB71_17
; %bb.12:                               ;   in Loop: Header=BB71_3 Depth=1
	v_cmp_ne_u32_e32 vcc, 0, v14
	v_mov_b64_e32 v[12:13], 0
	s_and_saveexec_b64 s[10:11], vcc
	s_cbranch_execz .LBB71_16
; %bb.13:                               ;   in Loop: Header=BB71_3 Depth=1
	s_mov_b64 s[12:13], 0
	v_mov_b64_e32 v[12:13], 0
	s_mov_b64 s[14:15], 0
	s_mov_b64 s[16:17], 0
.LBB71_14:                              ;   Parent Loop BB71_3 Depth=1
                                        ; =>  This Inner Loop Header: Depth=2
	v_lshl_add_u64 v[16:17], v[8:9], 0, s[16:17]
	flat_load_ubyte v15, v[16:17]
	s_add_u32 s16, s16, 1
	v_mov_b32_e32 v17, s18
	s_addc_u32 s17, s17, 0
	v_cmp_eq_u32_e32 vcc, s16, v14
	s_waitcnt vmcnt(0) lgkmcnt(0)
	v_and_b32_e32 v16, 0xffff, v15
	v_lshlrev_b64 v[16:17], s14, v[16:17]
	s_add_u32 s14, s14, 8
	s_addc_u32 s15, s15, 0
	v_or_b32_e32 v13, v17, v13
	s_or_b64 s[12:13], vcc, s[12:13]
	v_or_b32_e32 v12, v16, v12
	s_andn2_b64 exec, exec, s[12:13]
	s_cbranch_execnz .LBB71_14
; %bb.15:                               ;   in Loop: Header=BB71_3 Depth=1
	s_or_b64 exec, exec, s[12:13]
.LBB71_16:                              ;   in Loop: Header=BB71_3 Depth=1
	s_or_b64 exec, exec, s[10:11]
	s_mov_b32 s10, 0
                                        ; implicit-def: $vgpr14
.LBB71_17:                              ;   in Loop: Header=BB71_3 Depth=1
	s_or_saveexec_b64 s[0:1], s[0:1]
	v_mov_b32_e32 v16, s10
	s_xor_b64 exec, exec, s[0:1]
	s_cbranch_execz .LBB71_19
; %bb.18:                               ;   in Loop: Header=BB71_3 Depth=1
	flat_load_dwordx2 v[12:13], v[8:9]
	v_add_u32_e32 v16, -8, v14
	v_lshl_add_u64 v[8:9], v[8:9], 0, 8
	s_waitcnt vmcnt(0) lgkmcnt(0)
	v_and_b32_e32 v14, 0xff, v13
	v_and_b32_e32 v15, 0xff00, v13
	;; [unrolled: 1-line block ×4, first 2 shown]
	v_or_b32_e32 v14, v14, v15
	v_or3_b32 v12, v12, 0, 0
	v_or3_b32 v13, v14, v17, v13
.LBB71_19:                              ;   in Loop: Header=BB71_3 Depth=1
	s_or_b64 exec, exec, s[0:1]
	v_cmp_gt_u32_e32 vcc, 8, v16
                                        ; implicit-def: $sgpr10
	s_and_saveexec_b64 s[0:1], vcc
	s_xor_b64 s[0:1], exec, s[0:1]
	s_cbranch_execz .LBB71_25
; %bb.20:                               ;   in Loop: Header=BB71_3 Depth=1
	v_cmp_ne_u32_e32 vcc, 0, v16
	v_mov_b64_e32 v[14:15], 0
	s_and_saveexec_b64 s[10:11], vcc
	s_cbranch_execz .LBB71_24
; %bb.21:                               ;   in Loop: Header=BB71_3 Depth=1
	s_mov_b64 s[12:13], 0
	v_mov_b64_e32 v[14:15], 0
	s_mov_b64 s[14:15], 0
	s_mov_b64 s[16:17], 0
.LBB71_22:                              ;   Parent Loop BB71_3 Depth=1
                                        ; =>  This Inner Loop Header: Depth=2
	v_lshl_add_u64 v[18:19], v[8:9], 0, s[16:17]
	flat_load_ubyte v17, v[18:19]
	s_add_u32 s16, s16, 1
	v_mov_b32_e32 v19, s18
	s_addc_u32 s17, s17, 0
	v_cmp_eq_u32_e32 vcc, s16, v16
	s_waitcnt vmcnt(0) lgkmcnt(0)
	v_and_b32_e32 v18, 0xffff, v17
	v_lshlrev_b64 v[18:19], s14, v[18:19]
	s_add_u32 s14, s14, 8
	s_addc_u32 s15, s15, 0
	v_or_b32_e32 v15, v19, v15
	s_or_b64 s[12:13], vcc, s[12:13]
	v_or_b32_e32 v14, v18, v14
	s_andn2_b64 exec, exec, s[12:13]
	s_cbranch_execnz .LBB71_22
; %bb.23:                               ;   in Loop: Header=BB71_3 Depth=1
	s_or_b64 exec, exec, s[12:13]
.LBB71_24:                              ;   in Loop: Header=BB71_3 Depth=1
	s_or_b64 exec, exec, s[10:11]
	s_mov_b32 s10, 0
                                        ; implicit-def: $vgpr16
.LBB71_25:                              ;   in Loop: Header=BB71_3 Depth=1
	s_or_saveexec_b64 s[0:1], s[0:1]
	v_mov_b32_e32 v18, s10
	s_xor_b64 exec, exec, s[0:1]
	s_cbranch_execz .LBB71_27
; %bb.26:                               ;   in Loop: Header=BB71_3 Depth=1
	flat_load_dwordx2 v[14:15], v[8:9]
	v_add_u32_e32 v18, -8, v16
	v_lshl_add_u64 v[8:9], v[8:9], 0, 8
	s_waitcnt vmcnt(0) lgkmcnt(0)
	v_and_b32_e32 v16, 0xff, v15
	v_and_b32_e32 v17, 0xff00, v15
	;; [unrolled: 1-line block ×4, first 2 shown]
	v_or_b32_e32 v16, v16, v17
	v_or3_b32 v14, v14, 0, 0
	v_or3_b32 v15, v16, v19, v15
.LBB71_27:                              ;   in Loop: Header=BB71_3 Depth=1
	s_or_b64 exec, exec, s[0:1]
	v_cmp_gt_u32_e32 vcc, 8, v18
                                        ; implicit-def: $vgpr16_vgpr17
                                        ; implicit-def: $sgpr10
	s_and_saveexec_b64 s[0:1], vcc
	s_xor_b64 s[0:1], exec, s[0:1]
	s_cbranch_execz .LBB71_33
; %bb.28:                               ;   in Loop: Header=BB71_3 Depth=1
	v_cmp_ne_u32_e32 vcc, 0, v18
	v_mov_b64_e32 v[16:17], 0
	s_and_saveexec_b64 s[10:11], vcc
	s_cbranch_execz .LBB71_32
; %bb.29:                               ;   in Loop: Header=BB71_3 Depth=1
	s_mov_b64 s[12:13], 0
	v_mov_b64_e32 v[16:17], 0
	s_mov_b64 s[14:15], 0
	s_mov_b64 s[16:17], 0
.LBB71_30:                              ;   Parent Loop BB71_3 Depth=1
                                        ; =>  This Inner Loop Header: Depth=2
	v_lshl_add_u64 v[20:21], v[8:9], 0, s[16:17]
	flat_load_ubyte v19, v[20:21]
	s_add_u32 s16, s16, 1
	v_mov_b32_e32 v21, s18
	s_addc_u32 s17, s17, 0
	v_cmp_eq_u32_e32 vcc, s16, v18
	s_waitcnt vmcnt(0) lgkmcnt(0)
	v_and_b32_e32 v20, 0xffff, v19
	v_lshlrev_b64 v[20:21], s14, v[20:21]
	s_add_u32 s14, s14, 8
	s_addc_u32 s15, s15, 0
	v_or_b32_e32 v17, v21, v17
	s_or_b64 s[12:13], vcc, s[12:13]
	v_or_b32_e32 v16, v20, v16
	s_andn2_b64 exec, exec, s[12:13]
	s_cbranch_execnz .LBB71_30
; %bb.31:                               ;   in Loop: Header=BB71_3 Depth=1
	s_or_b64 exec, exec, s[12:13]
.LBB71_32:                              ;   in Loop: Header=BB71_3 Depth=1
	s_or_b64 exec, exec, s[10:11]
	s_mov_b32 s10, 0
                                        ; implicit-def: $vgpr18
.LBB71_33:                              ;   in Loop: Header=BB71_3 Depth=1
	s_or_saveexec_b64 s[0:1], s[0:1]
	v_mov_b32_e32 v20, s10
	s_xor_b64 exec, exec, s[0:1]
	s_cbranch_execz .LBB71_35
; %bb.34:                               ;   in Loop: Header=BB71_3 Depth=1
	flat_load_dwordx2 v[16:17], v[8:9]
	v_add_u32_e32 v20, -8, v18
	v_lshl_add_u64 v[8:9], v[8:9], 0, 8
	s_waitcnt vmcnt(0) lgkmcnt(0)
	v_and_b32_e32 v18, 0xff, v17
	v_and_b32_e32 v19, 0xff00, v17
	;; [unrolled: 1-line block ×4, first 2 shown]
	v_or_b32_e32 v18, v18, v19
	v_or3_b32 v16, v16, 0, 0
	v_or3_b32 v17, v18, v21, v17
.LBB71_35:                              ;   in Loop: Header=BB71_3 Depth=1
	s_or_b64 exec, exec, s[0:1]
	v_cmp_gt_u32_e32 vcc, 8, v20
                                        ; implicit-def: $sgpr10
	s_and_saveexec_b64 s[0:1], vcc
	s_xor_b64 s[0:1], exec, s[0:1]
	s_cbranch_execz .LBB71_41
; %bb.36:                               ;   in Loop: Header=BB71_3 Depth=1
	v_cmp_ne_u32_e32 vcc, 0, v20
	v_mov_b64_e32 v[18:19], 0
	s_and_saveexec_b64 s[10:11], vcc
	s_cbranch_execz .LBB71_40
; %bb.37:                               ;   in Loop: Header=BB71_3 Depth=1
	s_mov_b64 s[12:13], 0
	v_mov_b64_e32 v[18:19], 0
	s_mov_b64 s[14:15], 0
	s_mov_b64 s[16:17], 0
.LBB71_38:                              ;   Parent Loop BB71_3 Depth=1
                                        ; =>  This Inner Loop Header: Depth=2
	v_lshl_add_u64 v[22:23], v[8:9], 0, s[16:17]
	flat_load_ubyte v21, v[22:23]
	s_add_u32 s16, s16, 1
	v_mov_b32_e32 v23, s18
	s_addc_u32 s17, s17, 0
	v_cmp_eq_u32_e32 vcc, s16, v20
	s_waitcnt vmcnt(0) lgkmcnt(0)
	v_and_b32_e32 v22, 0xffff, v21
	v_lshlrev_b64 v[22:23], s14, v[22:23]
	s_add_u32 s14, s14, 8
	s_addc_u32 s15, s15, 0
	v_or_b32_e32 v19, v23, v19
	s_or_b64 s[12:13], vcc, s[12:13]
	v_or_b32_e32 v18, v22, v18
	s_andn2_b64 exec, exec, s[12:13]
	s_cbranch_execnz .LBB71_38
; %bb.39:                               ;   in Loop: Header=BB71_3 Depth=1
	s_or_b64 exec, exec, s[12:13]
.LBB71_40:                              ;   in Loop: Header=BB71_3 Depth=1
	s_or_b64 exec, exec, s[10:11]
	s_mov_b32 s10, 0
                                        ; implicit-def: $vgpr20
.LBB71_41:                              ;   in Loop: Header=BB71_3 Depth=1
	s_or_saveexec_b64 s[0:1], s[0:1]
	v_mov_b32_e32 v22, s10
	s_xor_b64 exec, exec, s[0:1]
	s_cbranch_execz .LBB71_43
; %bb.42:                               ;   in Loop: Header=BB71_3 Depth=1
	flat_load_dwordx2 v[18:19], v[8:9]
	v_add_u32_e32 v22, -8, v20
	v_lshl_add_u64 v[8:9], v[8:9], 0, 8
	s_waitcnt vmcnt(0) lgkmcnt(0)
	v_and_b32_e32 v20, 0xff, v19
	v_and_b32_e32 v21, 0xff00, v19
	;; [unrolled: 1-line block ×4, first 2 shown]
	v_or_b32_e32 v20, v20, v21
	v_or3_b32 v18, v18, 0, 0
	v_or3_b32 v19, v20, v23, v19
.LBB71_43:                              ;   in Loop: Header=BB71_3 Depth=1
	s_or_b64 exec, exec, s[0:1]
	v_cmp_gt_u32_e32 vcc, 8, v22
                                        ; implicit-def: $vgpr20_vgpr21
                                        ; implicit-def: $sgpr10
	s_and_saveexec_b64 s[0:1], vcc
	s_xor_b64 s[0:1], exec, s[0:1]
	s_cbranch_execz .LBB71_49
; %bb.44:                               ;   in Loop: Header=BB71_3 Depth=1
	v_cmp_ne_u32_e32 vcc, 0, v22
	v_mov_b64_e32 v[20:21], 0
	s_and_saveexec_b64 s[10:11], vcc
	s_cbranch_execz .LBB71_48
; %bb.45:                               ;   in Loop: Header=BB71_3 Depth=1
	s_mov_b64 s[12:13], 0
	v_mov_b64_e32 v[20:21], 0
	s_mov_b64 s[14:15], 0
	s_mov_b64 s[16:17], 0
.LBB71_46:                              ;   Parent Loop BB71_3 Depth=1
                                        ; =>  This Inner Loop Header: Depth=2
	v_lshl_add_u64 v[24:25], v[8:9], 0, s[16:17]
	flat_load_ubyte v23, v[24:25]
	s_add_u32 s16, s16, 1
	v_mov_b32_e32 v25, s18
	s_addc_u32 s17, s17, 0
	v_cmp_eq_u32_e32 vcc, s16, v22
	s_waitcnt vmcnt(0) lgkmcnt(0)
	v_and_b32_e32 v24, 0xffff, v23
	v_lshlrev_b64 v[24:25], s14, v[24:25]
	s_add_u32 s14, s14, 8
	s_addc_u32 s15, s15, 0
	v_or_b32_e32 v21, v25, v21
	s_or_b64 s[12:13], vcc, s[12:13]
	v_or_b32_e32 v20, v24, v20
	s_andn2_b64 exec, exec, s[12:13]
	s_cbranch_execnz .LBB71_46
; %bb.47:                               ;   in Loop: Header=BB71_3 Depth=1
	s_or_b64 exec, exec, s[12:13]
.LBB71_48:                              ;   in Loop: Header=BB71_3 Depth=1
	s_or_b64 exec, exec, s[10:11]
	s_mov_b32 s10, 0
                                        ; implicit-def: $vgpr22
.LBB71_49:                              ;   in Loop: Header=BB71_3 Depth=1
	s_or_saveexec_b64 s[0:1], s[0:1]
	v_mov_b32_e32 v24, s10
	s_xor_b64 exec, exec, s[0:1]
	s_cbranch_execz .LBB71_51
; %bb.50:                               ;   in Loop: Header=BB71_3 Depth=1
	flat_load_dwordx2 v[20:21], v[8:9]
	v_add_u32_e32 v24, -8, v22
	v_lshl_add_u64 v[8:9], v[8:9], 0, 8
	s_waitcnt vmcnt(0) lgkmcnt(0)
	v_and_b32_e32 v22, 0xff, v21
	v_and_b32_e32 v23, 0xff00, v21
	;; [unrolled: 1-line block ×4, first 2 shown]
	v_or_b32_e32 v22, v22, v23
	v_or3_b32 v20, v20, 0, 0
	v_or3_b32 v21, v22, v25, v21
.LBB71_51:                              ;   in Loop: Header=BB71_3 Depth=1
	s_or_b64 exec, exec, s[0:1]
	v_cmp_gt_u32_e32 vcc, 8, v24
	s_and_saveexec_b64 s[0:1], vcc
	s_xor_b64 s[0:1], exec, s[0:1]
	s_cbranch_execz .LBB71_57
; %bb.52:                               ;   in Loop: Header=BB71_3 Depth=1
	v_cmp_ne_u32_e32 vcc, 0, v24
	v_mov_b64_e32 v[22:23], 0
	s_and_saveexec_b64 s[10:11], vcc
	s_cbranch_execz .LBB71_56
; %bb.53:                               ;   in Loop: Header=BB71_3 Depth=1
	s_mov_b64 s[12:13], 0
	v_mov_b64_e32 v[22:23], 0
	s_mov_b64 s[14:15], 0
.LBB71_54:                              ;   Parent Loop BB71_3 Depth=1
                                        ; =>  This Inner Loop Header: Depth=2
	flat_load_ubyte v25, v[8:9]
	v_mov_b32_e32 v27, s18
	v_add_u32_e32 v24, -1, v24
	v_cmp_eq_u32_e32 vcc, 0, v24
	v_lshl_add_u64 v[8:9], v[8:9], 0, 1
	s_waitcnt vmcnt(0) lgkmcnt(0)
	v_and_b32_e32 v26, 0xffff, v25
	v_lshlrev_b64 v[26:27], s14, v[26:27]
	s_add_u32 s14, s14, 8
	s_addc_u32 s15, s15, 0
	v_or_b32_e32 v23, v27, v23
	s_or_b64 s[12:13], vcc, s[12:13]
	v_or_b32_e32 v22, v26, v22
	s_andn2_b64 exec, exec, s[12:13]
	s_cbranch_execnz .LBB71_54
; %bb.55:                               ;   in Loop: Header=BB71_3 Depth=1
	s_or_b64 exec, exec, s[12:13]
.LBB71_56:                              ;   in Loop: Header=BB71_3 Depth=1
	s_or_b64 exec, exec, s[10:11]
                                        ; implicit-def: $vgpr8_vgpr9
.LBB71_57:                              ;   in Loop: Header=BB71_3 Depth=1
	s_andn2_saveexec_b64 s[0:1], s[0:1]
	s_cbranch_execz .LBB71_59
; %bb.58:                               ;   in Loop: Header=BB71_3 Depth=1
	flat_load_dwordx2 v[8:9], v[8:9]
	s_waitcnt vmcnt(0) lgkmcnt(0)
	v_and_b32_e32 v22, 0xff, v9
	v_and_b32_e32 v23, 0xff00, v9
	;; [unrolled: 1-line block ×4, first 2 shown]
	v_or_b32_e32 v22, v22, v23
	v_or3_b32 v23, v22, v24, v9
	v_or3_b32 v22, v8, 0, 0
.LBB71_59:                              ;   in Loop: Header=BB71_3 Depth=1
	s_or_b64 exec, exec, s[0:1]
	v_readfirstlane_b32 s0, v32
	v_mov_b64_e32 v[8:9], 0
	s_nop 0
	v_cmp_eq_u32_e64 s[0:1], s0, v32
	s_and_saveexec_b64 s[10:11], s[0:1]
	s_cbranch_execz .LBB71_65
; %bb.60:                               ;   in Loop: Header=BB71_3 Depth=1
	s_waitcnt lgkmcnt(0)
	global_load_dwordx2 v[26:27], v31, s[6:7] offset:24 sc0 sc1
	s_waitcnt vmcnt(0)
	buffer_inv sc0 sc1
	global_load_dwordx2 v[8:9], v31, s[6:7] offset:40
	global_load_dwordx2 v[24:25], v31, s[6:7]
	s_waitcnt vmcnt(1)
	v_and_b32_e32 v8, v8, v26
	v_and_b32_e32 v9, v9, v27
	v_mul_lo_u32 v9, v9, 24
	v_mul_hi_u32 v29, v8, 24
	v_add_u32_e32 v9, v29, v9
	v_mul_lo_u32 v8, v8, 24
	s_waitcnt vmcnt(0)
	v_lshl_add_u64 v[8:9], v[24:25], 0, v[8:9]
	global_load_dwordx2 v[24:25], v[8:9], off sc0 sc1
	s_waitcnt vmcnt(0)
	global_atomic_cmpswap_x2 v[8:9], v31, v[24:27], s[6:7] offset:24 sc0 sc1
	s_waitcnt vmcnt(0)
	buffer_inv sc0 sc1
	v_cmp_ne_u64_e32 vcc, v[8:9], v[26:27]
	s_and_saveexec_b64 s[12:13], vcc
	s_cbranch_execz .LBB71_64
; %bb.61:                               ;   in Loop: Header=BB71_3 Depth=1
	s_mov_b64 s[14:15], 0
.LBB71_62:                              ;   Parent Loop BB71_3 Depth=1
                                        ; =>  This Inner Loop Header: Depth=2
	s_sleep 1
	global_load_dwordx2 v[24:25], v31, s[6:7] offset:40
	global_load_dwordx2 v[36:37], v31, s[6:7]
	v_mov_b64_e32 v[26:27], v[8:9]
	s_waitcnt vmcnt(1)
	v_and_b32_e32 v8, v24, v26
	s_waitcnt vmcnt(0)
	v_mad_u64_u32 v[8:9], s[16:17], v8, 24, v[36:37]
	v_and_b32_e32 v25, v25, v27
	v_mov_b32_e32 v24, v9
	v_mad_u64_u32 v[24:25], s[16:17], v25, 24, v[24:25]
	v_mov_b32_e32 v9, v24
	global_load_dwordx2 v[24:25], v[8:9], off sc0 sc1
	s_waitcnt vmcnt(0)
	global_atomic_cmpswap_x2 v[8:9], v31, v[24:27], s[6:7] offset:24 sc0 sc1
	s_waitcnt vmcnt(0)
	buffer_inv sc0 sc1
	v_cmp_eq_u64_e32 vcc, v[8:9], v[26:27]
	s_or_b64 s[14:15], vcc, s[14:15]
	s_andn2_b64 exec, exec, s[14:15]
	s_cbranch_execnz .LBB71_62
; %bb.63:                               ;   in Loop: Header=BB71_3 Depth=1
	s_or_b64 exec, exec, s[14:15]
.LBB71_64:                              ;   in Loop: Header=BB71_3 Depth=1
	s_or_b64 exec, exec, s[12:13]
.LBB71_65:                              ;   in Loop: Header=BB71_3 Depth=1
	s_or_b64 exec, exec, s[10:11]
	s_waitcnt lgkmcnt(0)
	global_load_dwordx2 v[36:37], v31, s[6:7] offset:40
	global_load_dwordx4 v[24:27], v31, s[6:7]
	v_readfirstlane_b32 s10, v8
	v_readfirstlane_b32 s11, v9
	s_mov_b64 s[12:13], exec
	s_waitcnt vmcnt(1)
	v_readfirstlane_b32 s14, v36
	v_readfirstlane_b32 s15, v37
	s_and_b64 s[14:15], s[10:11], s[14:15]
	s_mul_i32 s16, s15, 24
	s_mul_hi_u32 s17, s14, 24
	s_add_i32 s17, s17, s16
	s_mul_i32 s16, s14, 24
	s_waitcnt vmcnt(0)
	v_lshl_add_u64 v[36:37], v[24:25], 0, s[16:17]
	s_and_saveexec_b64 s[16:17], s[0:1]
	s_cbranch_execz .LBB71_67
; %bb.66:                               ;   in Loop: Header=BB71_3 Depth=1
	v_mov_b64_e32 v[8:9], s[12:13]
	global_store_dwordx4 v[36:37], v[8:11], off offset:8
.LBB71_67:                              ;   in Loop: Header=BB71_3 Depth=1
	s_or_b64 exec, exec, s[16:17]
	s_lshl_b64 s[12:13], s[14:15], 12
	v_lshl_add_u64 v[8:9], v[26:27], 0, s[12:13]
	v_or_b32_e32 v26, 0, v1
	v_cmp_lt_u64_e32 vcc, 56, v[4:5]
	v_or_b32_e32 v27, v0, v28
	v_lshlrev_b32_e32 v30, 6, v32
	v_cndmask_b32_e32 v1, v26, v1, vcc
	v_lshl_add_u32 v26, v34, 2, 28
	v_cndmask_b32_e32 v0, v27, v0, vcc
	v_and_b32_e32 v26, 0x1e0, v26
	v_and_or_b32 v0, v0, s19, v26
	v_readfirstlane_b32 s12, v8
	v_readfirstlane_b32 s13, v9
	s_nop 4
	global_store_dwordx4 v30, v[0:3], s[12:13]
	global_store_dwordx4 v30, v[12:15], s[12:13] offset:16
	global_store_dwordx4 v30, v[16:19], s[12:13] offset:32
	;; [unrolled: 1-line block ×3, first 2 shown]
	s_and_saveexec_b64 s[12:13], s[0:1]
	s_cbranch_execz .LBB71_75
; %bb.68:                               ;   in Loop: Header=BB71_3 Depth=1
	global_load_dwordx2 v[16:17], v31, s[6:7] offset:32 sc0 sc1
	global_load_dwordx2 v[0:1], v31, s[6:7] offset:40
	v_mov_b32_e32 v14, s10
	v_mov_b32_e32 v15, s11
	s_waitcnt vmcnt(0)
	v_readfirstlane_b32 s14, v0
	v_readfirstlane_b32 s15, v1
	s_and_b64 s[14:15], s[14:15], s[10:11]
	s_mul_i32 s15, s15, 24
	s_mul_hi_u32 s16, s14, 24
	s_mul_i32 s14, s14, 24
	s_add_i32 s15, s16, s15
	v_lshl_add_u64 v[12:13], v[24:25], 0, s[14:15]
	global_store_dwordx2 v[12:13], v[16:17], off
	buffer_wbl2 sc0 sc1
	s_waitcnt vmcnt(0)
	global_atomic_cmpswap_x2 v[2:3], v31, v[14:17], s[6:7] offset:32 sc0 sc1
	s_waitcnt vmcnt(0)
	v_cmp_ne_u64_e32 vcc, v[2:3], v[16:17]
	s_and_saveexec_b64 s[14:15], vcc
	s_cbranch_execz .LBB71_71
; %bb.69:                               ;   in Loop: Header=BB71_3 Depth=1
	s_mov_b64 s[16:17], 0
.LBB71_70:                              ;   Parent Loop BB71_3 Depth=1
                                        ; =>  This Inner Loop Header: Depth=2
	s_sleep 1
	global_store_dwordx2 v[12:13], v[2:3], off
	v_mov_b32_e32 v0, s10
	v_mov_b32_e32 v1, s11
	buffer_wbl2 sc0 sc1
	s_waitcnt vmcnt(0)
	global_atomic_cmpswap_x2 v[0:1], v31, v[0:3], s[6:7] offset:32 sc0 sc1
	s_waitcnt vmcnt(0)
	v_cmp_eq_u64_e32 vcc, v[0:1], v[2:3]
	s_or_b64 s[16:17], vcc, s[16:17]
	v_mov_b64_e32 v[2:3], v[0:1]
	s_andn2_b64 exec, exec, s[16:17]
	s_cbranch_execnz .LBB71_70
.LBB71_71:                              ;   in Loop: Header=BB71_3 Depth=1
	s_or_b64 exec, exec, s[14:15]
	global_load_dwordx2 v[0:1], v31, s[6:7] offset:16
	s_mov_b64 s[16:17], exec
	v_mbcnt_lo_u32_b32 v2, s16, 0
	v_mbcnt_hi_u32_b32 v2, s17, v2
	v_cmp_eq_u32_e32 vcc, 0, v2
	s_and_saveexec_b64 s[14:15], vcc
	s_cbranch_execz .LBB71_73
; %bb.72:                               ;   in Loop: Header=BB71_3 Depth=1
	s_bcnt1_i32_b64 s16, s[16:17]
	v_mov_b32_e32 v2, s16
	v_mov_b32_e32 v3, v31
	buffer_wbl2 sc0 sc1
	s_waitcnt vmcnt(0)
	global_atomic_add_x2 v[0:1], v[2:3], off offset:8 sc1
.LBB71_73:                              ;   in Loop: Header=BB71_3 Depth=1
	s_or_b64 exec, exec, s[14:15]
	s_waitcnt vmcnt(0)
	global_load_dwordx2 v[2:3], v[0:1], off offset:16
	s_waitcnt vmcnt(0)
	v_cmp_eq_u64_e32 vcc, 0, v[2:3]
	s_cbranch_vccnz .LBB71_75
; %bb.74:                               ;   in Loop: Header=BB71_3 Depth=1
	global_load_dword v0, v[0:1], off offset:24
	v_mov_b32_e32 v1, v31
	buffer_wbl2 sc0 sc1
	s_waitcnt vmcnt(0)
	global_store_dwordx2 v[2:3], v[0:1], off sc0 sc1
	v_and_b32_e32 v0, 0xffffff, v0
	s_nop 0
	v_readfirstlane_b32 m0, v0
	s_sendmsg sendmsg(MSG_INTERRUPT)
.LBB71_75:                              ;   in Loop: Header=BB71_3 Depth=1
	s_or_b64 exec, exec, s[12:13]
	v_lshl_add_u64 v[0:1], v[8:9], 0, v[30:31]
	s_branch .LBB71_79
.LBB71_76:                              ;   in Loop: Header=BB71_79 Depth=2
	s_or_b64 exec, exec, s[12:13]
	v_readfirstlane_b32 s12, v2
	s_cmp_eq_u32 s12, 0
	s_cbranch_scc1 .LBB71_78
; %bb.77:                               ;   in Loop: Header=BB71_79 Depth=2
	s_sleep 1
	s_cbranch_execnz .LBB71_79
	s_branch .LBB71_81
.LBB71_78:                              ;   in Loop: Header=BB71_3 Depth=1
	s_branch .LBB71_81
.LBB71_79:                              ;   Parent Loop BB71_3 Depth=1
                                        ; =>  This Inner Loop Header: Depth=2
	v_mov_b32_e32 v2, 1
	s_and_saveexec_b64 s[12:13], s[0:1]
	s_cbranch_execz .LBB71_76
; %bb.80:                               ;   in Loop: Header=BB71_79 Depth=2
	global_load_dword v2, v[36:37], off offset:20 sc0 sc1
	s_waitcnt vmcnt(0)
	buffer_inv sc0 sc1
	v_and_b32_e32 v2, 1, v2
	s_branch .LBB71_76
.LBB71_81:                              ;   in Loop: Header=BB71_3 Depth=1
	global_load_dwordx4 v[0:3], v[0:1], off
	s_and_saveexec_b64 s[12:13], s[0:1]
	s_cbranch_execz .LBB71_2
; %bb.82:                               ;   in Loop: Header=BB71_3 Depth=1
	global_load_dwordx2 v[2:3], v31, s[6:7] offset:40
	global_load_dwordx2 v[8:9], v31, s[6:7] offset:24 sc0 sc1
	global_load_dwordx2 v[16:17], v31, s[6:7]
	s_waitcnt vmcnt(2)
	v_lshl_add_u64 v[12:13], v[2:3], 0, 1
	v_lshl_add_u64 v[18:19], v[12:13], 0, s[10:11]
	v_cmp_eq_u64_e32 vcc, 0, v[18:19]
	s_waitcnt vmcnt(1)
	v_mov_b32_e32 v14, v8
	v_cndmask_b32_e32 v13, v19, v13, vcc
	v_cndmask_b32_e32 v12, v18, v12, vcc
	v_and_b32_e32 v3, v13, v3
	v_and_b32_e32 v2, v12, v2
	v_mul_lo_u32 v3, v3, 24
	v_mul_hi_u32 v15, v2, 24
	v_mul_lo_u32 v2, v2, 24
	v_add_u32_e32 v3, v15, v3
	s_waitcnt vmcnt(0)
	v_lshl_add_u64 v[2:3], v[16:17], 0, v[2:3]
	global_store_dwordx2 v[2:3], v[8:9], off
	v_mov_b32_e32 v15, v9
	buffer_wbl2 sc0 sc1
	s_waitcnt vmcnt(0)
	global_atomic_cmpswap_x2 v[14:15], v31, v[12:15], s[6:7] offset:24 sc0 sc1
	s_waitcnt vmcnt(0)
	v_cmp_ne_u64_e32 vcc, v[14:15], v[8:9]
	s_and_b64 exec, exec, vcc
	s_cbranch_execz .LBB71_2
; %bb.83:                               ;   in Loop: Header=BB71_3 Depth=1
	s_mov_b64 s[0:1], 0
.LBB71_84:                              ;   Parent Loop BB71_3 Depth=1
                                        ; =>  This Inner Loop Header: Depth=2
	s_sleep 1
	global_store_dwordx2 v[2:3], v[14:15], off
	buffer_wbl2 sc0 sc1
	s_waitcnt vmcnt(0)
	global_atomic_cmpswap_x2 v[8:9], v31, v[12:15], s[6:7] offset:24 sc0 sc1
	s_waitcnt vmcnt(0)
	v_cmp_eq_u64_e32 vcc, v[8:9], v[14:15]
	s_or_b64 s[0:1], vcc, s[0:1]
	v_mov_b64_e32 v[14:15], v[8:9]
	s_andn2_b64 exec, exec, s[0:1]
	s_cbranch_execnz .LBB71_84
	s_branch .LBB71_2
.LBB71_85:
	s_or_b64 exec, exec, s[2:3]
                                        ; implicit-def: $vgpr2
                                        ; implicit-def: $vgpr3
.LBB71_86:
	s_andn2_saveexec_b64 s[2:3], s[4:5]
	s_cbranch_execz .LBB71_109
; %bb.87:
	s_load_dwordx2 s[4:5], s[8:9], 0x50
	s_waitcnt vmcnt(0)
	v_mbcnt_hi_u32_b32 v3, -1, v3
	v_mov_b64_e32 v[8:9], 0
	v_readfirstlane_b32 s0, v3
	s_nop 1
	v_cmp_eq_u32_e64 s[0:1], s0, v3
	s_and_saveexec_b64 s[6:7], s[0:1]
	s_cbranch_execz .LBB71_93
; %bb.88:
	v_mov_b32_e32 v0, 0
	s_waitcnt lgkmcnt(0)
	global_load_dwordx2 v[6:7], v0, s[4:5] offset:24 sc0 sc1
	s_waitcnt vmcnt(0)
	buffer_inv sc0 sc1
	global_load_dwordx2 v[4:5], v0, s[4:5] offset:40
	global_load_dwordx2 v[8:9], v0, s[4:5]
	s_waitcnt vmcnt(1)
	v_and_b32_e32 v4, v4, v6
	v_and_b32_e32 v5, v5, v7
	v_mul_lo_u32 v5, v5, 24
	v_mul_hi_u32 v10, v4, 24
	v_add_u32_e32 v5, v10, v5
	v_mul_lo_u32 v4, v4, 24
	s_waitcnt vmcnt(0)
	v_lshl_add_u64 v[4:5], v[8:9], 0, v[4:5]
	global_load_dwordx2 v[4:5], v[4:5], off sc0 sc1
	s_waitcnt vmcnt(0)
	global_atomic_cmpswap_x2 v[8:9], v0, v[4:7], s[4:5] offset:24 sc0 sc1
	s_waitcnt vmcnt(0)
	buffer_inv sc0 sc1
	v_cmp_ne_u64_e32 vcc, v[8:9], v[6:7]
	s_and_saveexec_b64 s[8:9], vcc
	s_cbranch_execz .LBB71_92
; %bb.89:
	s_mov_b64 s[10:11], 0
.LBB71_90:                              ; =>This Inner Loop Header: Depth=1
	s_sleep 1
	global_load_dwordx2 v[4:5], v0, s[4:5] offset:40
	global_load_dwordx2 v[10:11], v0, s[4:5]
	v_mov_b64_e32 v[6:7], v[8:9]
	s_waitcnt vmcnt(1)
	v_and_b32_e32 v4, v4, v6
	v_and_b32_e32 v9, v5, v7
	s_waitcnt vmcnt(0)
	v_mad_u64_u32 v[4:5], s[12:13], v4, 24, v[10:11]
	v_mov_b32_e32 v8, v5
	v_mad_u64_u32 v[8:9], s[12:13], v9, 24, v[8:9]
	v_mov_b32_e32 v5, v8
	global_load_dwordx2 v[4:5], v[4:5], off sc0 sc1
	s_waitcnt vmcnt(0)
	global_atomic_cmpswap_x2 v[8:9], v0, v[4:7], s[4:5] offset:24 sc0 sc1
	s_waitcnt vmcnt(0)
	buffer_inv sc0 sc1
	v_cmp_eq_u64_e32 vcc, v[8:9], v[6:7]
	s_or_b64 s[10:11], vcc, s[10:11]
	s_andn2_b64 exec, exec, s[10:11]
	s_cbranch_execnz .LBB71_90
; %bb.91:
	s_or_b64 exec, exec, s[10:11]
.LBB71_92:
	s_or_b64 exec, exec, s[8:9]
.LBB71_93:
	s_or_b64 exec, exec, s[6:7]
	v_mov_b32_e32 v11, 0
	s_waitcnt lgkmcnt(0)
	global_load_dwordx2 v[12:13], v11, s[4:5] offset:40
	global_load_dwordx4 v[4:7], v11, s[4:5]
	v_readfirstlane_b32 s6, v8
	v_readfirstlane_b32 s7, v9
	s_mov_b64 s[8:9], exec
	s_waitcnt vmcnt(1)
	v_readfirstlane_b32 s10, v12
	v_readfirstlane_b32 s11, v13
	s_and_b64 s[10:11], s[6:7], s[10:11]
	s_mul_i32 s12, s11, 24
	s_mul_hi_u32 s13, s10, 24
	s_add_i32 s13, s13, s12
	s_mul_i32 s12, s10, 24
	s_waitcnt vmcnt(0)
	v_lshl_add_u64 v[8:9], v[4:5], 0, s[12:13]
	s_and_saveexec_b64 s[12:13], s[0:1]
	s_cbranch_execz .LBB71_95
; %bb.94:
	v_mov_b64_e32 v[12:13], s[8:9]
	v_mov_b32_e32 v14, 2
	v_mov_b32_e32 v15, 1
	global_store_dwordx4 v[8:9], v[12:15], off offset:8
.LBB71_95:
	s_or_b64 exec, exec, s[12:13]
	s_lshl_b64 s[8:9], s[10:11], 12
	v_lshl_add_u64 v[6:7], v[6:7], 0, s[8:9]
	s_movk_i32 s8, 0xff1f
	v_and_or_b32 v0, v2, s8, 32
	s_mov_b32 s8, 0
	v_lshlrev_b32_e32 v10, 6, v3
	v_mov_b32_e32 v2, v11
	v_mov_b32_e32 v3, v11
	v_readfirstlane_b32 s12, v6
	v_readfirstlane_b32 s13, v7
	s_mov_b32 s9, s8
	s_mov_b32 s10, s8
	;; [unrolled: 1-line block ×3, first 2 shown]
	s_nop 1
	global_store_dwordx4 v10, v[0:3], s[12:13]
	s_nop 1
	v_mov_b64_e32 v[0:1], s[8:9]
	v_mov_b64_e32 v[2:3], s[10:11]
	global_store_dwordx4 v10, v[0:3], s[12:13] offset:16
	global_store_dwordx4 v10, v[0:3], s[12:13] offset:32
	global_store_dwordx4 v10, v[0:3], s[12:13] offset:48
	s_and_saveexec_b64 s[8:9], s[0:1]
	s_cbranch_execz .LBB71_103
; %bb.96:
	v_mov_b32_e32 v12, 0
	global_load_dwordx2 v[16:17], v12, s[4:5] offset:32 sc0 sc1
	global_load_dwordx2 v[0:1], v12, s[4:5] offset:40
	v_mov_b32_e32 v14, s6
	v_mov_b32_e32 v15, s7
	s_waitcnt vmcnt(0)
	v_and_b32_e32 v0, s6, v0
	v_and_b32_e32 v1, s7, v1
	v_mul_lo_u32 v1, v1, 24
	v_mul_hi_u32 v2, v0, 24
	v_mul_lo_u32 v0, v0, 24
	v_add_u32_e32 v1, v2, v1
	v_lshl_add_u64 v[4:5], v[4:5], 0, v[0:1]
	global_store_dwordx2 v[4:5], v[16:17], off
	buffer_wbl2 sc0 sc1
	s_waitcnt vmcnt(0)
	global_atomic_cmpswap_x2 v[2:3], v12, v[14:17], s[4:5] offset:32 sc0 sc1
	s_waitcnt vmcnt(0)
	v_cmp_ne_u64_e32 vcc, v[2:3], v[16:17]
	s_and_saveexec_b64 s[10:11], vcc
	s_cbranch_execz .LBB71_99
; %bb.97:
	s_mov_b64 s[12:13], 0
.LBB71_98:                              ; =>This Inner Loop Header: Depth=1
	s_sleep 1
	global_store_dwordx2 v[4:5], v[2:3], off
	v_mov_b32_e32 v0, s6
	v_mov_b32_e32 v1, s7
	buffer_wbl2 sc0 sc1
	s_waitcnt vmcnt(0)
	global_atomic_cmpswap_x2 v[0:1], v12, v[0:3], s[4:5] offset:32 sc0 sc1
	s_waitcnt vmcnt(0)
	v_cmp_eq_u64_e32 vcc, v[0:1], v[2:3]
	s_or_b64 s[12:13], vcc, s[12:13]
	v_mov_b64_e32 v[2:3], v[0:1]
	s_andn2_b64 exec, exec, s[12:13]
	s_cbranch_execnz .LBB71_98
.LBB71_99:
	s_or_b64 exec, exec, s[10:11]
	v_mov_b32_e32 v3, 0
	global_load_dwordx2 v[0:1], v3, s[4:5] offset:16
	s_mov_b64 s[10:11], exec
	v_mbcnt_lo_u32_b32 v2, s10, 0
	v_mbcnt_hi_u32_b32 v2, s11, v2
	v_cmp_eq_u32_e32 vcc, 0, v2
	s_and_saveexec_b64 s[12:13], vcc
	s_cbranch_execz .LBB71_101
; %bb.100:
	s_bcnt1_i32_b64 s10, s[10:11]
	v_mov_b32_e32 v2, s10
	buffer_wbl2 sc0 sc1
	s_waitcnt vmcnt(0)
	global_atomic_add_x2 v[0:1], v[2:3], off offset:8 sc1
.LBB71_101:
	s_or_b64 exec, exec, s[12:13]
	s_waitcnt vmcnt(0)
	global_load_dwordx2 v[2:3], v[0:1], off offset:16
	s_waitcnt vmcnt(0)
	v_cmp_eq_u64_e32 vcc, 0, v[2:3]
	s_cbranch_vccnz .LBB71_103
; %bb.102:
	global_load_dword v0, v[0:1], off offset:24
	v_mov_b32_e32 v1, 0
	buffer_wbl2 sc0 sc1
	s_waitcnt vmcnt(0)
	global_store_dwordx2 v[2:3], v[0:1], off sc0 sc1
	v_and_b32_e32 v0, 0xffffff, v0
	s_nop 0
	v_readfirstlane_b32 m0, v0
	s_sendmsg sendmsg(MSG_INTERRUPT)
.LBB71_103:
	s_or_b64 exec, exec, s[8:9]
	v_lshl_add_u64 v[0:1], v[6:7], 0, v[10:11]
	s_branch .LBB71_107
.LBB71_104:                             ;   in Loop: Header=BB71_107 Depth=1
	s_or_b64 exec, exec, s[8:9]
	v_readfirstlane_b32 s8, v2
	s_cmp_eq_u32 s8, 0
	s_cbranch_scc1 .LBB71_106
; %bb.105:                              ;   in Loop: Header=BB71_107 Depth=1
	s_sleep 1
	s_cbranch_execnz .LBB71_107
	s_branch .LBB71_110
.LBB71_106:
	s_branch .LBB71_110
.LBB71_107:                             ; =>This Inner Loop Header: Depth=1
	v_mov_b32_e32 v2, 1
	s_and_saveexec_b64 s[8:9], s[0:1]
	s_cbranch_execz .LBB71_104
; %bb.108:                              ;   in Loop: Header=BB71_107 Depth=1
	global_load_dword v2, v[8:9], off offset:20 sc0 sc1
	s_waitcnt vmcnt(0)
	buffer_inv sc0 sc1
	v_and_b32_e32 v2, 1, v2
	s_branch .LBB71_104
.LBB71_109:
	s_or_b64 exec, exec, s[2:3]
	s_waitcnt vmcnt(0) lgkmcnt(0)
	s_setpc_b64 s[30:31]
.LBB71_110:
	global_load_dwordx2 v[0:1], v[0:1], off
	s_and_saveexec_b64 s[8:9], s[0:1]
	s_cbranch_execz .LBB71_113
; %bb.111:
	v_mov_b32_e32 v8, 0
	global_load_dwordx2 v[6:7], v8, s[4:5] offset:40
	global_load_dwordx2 v[10:11], v8, s[4:5] offset:24 sc0 sc1
	global_load_dwordx2 v[12:13], v8, s[4:5]
	s_mov_b64 s[0:1], 0
	s_waitcnt vmcnt(2)
	v_lshl_add_u64 v[2:3], v[6:7], 0, 1
	v_lshl_add_u64 v[14:15], v[2:3], 0, s[6:7]
	v_cmp_eq_u64_e32 vcc, 0, v[14:15]
	s_waitcnt vmcnt(1)
	v_mov_b32_e32 v4, v10
	v_cndmask_b32_e32 v3, v15, v3, vcc
	v_cndmask_b32_e32 v2, v14, v2, vcc
	v_and_b32_e32 v5, v3, v7
	v_and_b32_e32 v6, v2, v6
	v_mul_lo_u32 v5, v5, 24
	v_mul_hi_u32 v7, v6, 24
	v_mul_lo_u32 v6, v6, 24
	v_add_u32_e32 v7, v7, v5
	s_waitcnt vmcnt(0)
	v_lshl_add_u64 v[6:7], v[12:13], 0, v[6:7]
	global_store_dwordx2 v[6:7], v[10:11], off
	v_mov_b32_e32 v5, v11
	buffer_wbl2 sc0 sc1
	s_waitcnt vmcnt(0)
	global_atomic_cmpswap_x2 v[4:5], v8, v[2:5], s[4:5] offset:24 sc0 sc1
	s_waitcnt vmcnt(0)
	v_cmp_ne_u64_e32 vcc, v[4:5], v[10:11]
	s_and_b64 exec, exec, vcc
	s_cbranch_execz .LBB71_113
.LBB71_112:                             ; =>This Inner Loop Header: Depth=1
	s_sleep 1
	global_store_dwordx2 v[6:7], v[4:5], off
	buffer_wbl2 sc0 sc1
	s_waitcnt vmcnt(0)
	global_atomic_cmpswap_x2 v[10:11], v8, v[2:5], s[4:5] offset:24 sc0 sc1
	s_waitcnt vmcnt(0)
	v_cmp_eq_u64_e32 vcc, v[10:11], v[4:5]
	s_or_b64 s[0:1], vcc, s[0:1]
	v_mov_b64_e32 v[4:5], v[10:11]
	s_andn2_b64 exec, exec, s[0:1]
	s_cbranch_execnz .LBB71_112
.LBB71_113:
	s_or_b64 exec, exec, s[8:9]
	s_or_b64 exec, exec, s[2:3]
	s_waitcnt vmcnt(0) lgkmcnt(0)
	s_setpc_b64 s[30:31]
.Lfunc_end71:
	.size	__ockl_printf_append_string_n, .Lfunc_end71-__ockl_printf_append_string_n
                                        ; -- End function
	.section	.AMDGPU.csdata,"",@progbits
; Function info:
; codeLenInByte = 4200
; NumSgprs: 38
; NumVgprs: 38
; NumAgprs: 0
; TotalNumVgprs: 38
; ScratchSize: 0
; MemoryBound: 0
	.text
	.p2align	2                               ; -- Begin function __ockl_printf_append_args
	.type	__ockl_printf_append_args,@function
__ockl_printf_append_args:              ; @__ockl_printf_append_args
; %bb.0:
	s_waitcnt vmcnt(0) expcnt(0) lgkmcnt(0)
	s_load_dwordx2 s[2:3], s[8:9], 0x50
	v_mbcnt_lo_u32_b32 v5, -1, 0
	v_mbcnt_hi_u32_b32 v5, -1, v5
	v_mov_b64_e32 v[10:11], 0
	v_readfirstlane_b32 s0, v5
	s_nop 1
	v_cmp_eq_u32_e64 s[0:1], s0, v5
	s_and_saveexec_b64 s[4:5], s[0:1]
	s_cbranch_execz .LBB72_6
; %bb.1:
	v_mov_b32_e32 v6, 0
	s_waitcnt lgkmcnt(0)
	global_load_dwordx2 v[12:13], v6, s[2:3] offset:24 sc0 sc1
	s_waitcnt vmcnt(0)
	buffer_inv sc0 sc1
	global_load_dwordx2 v[8:9], v6, s[2:3] offset:40
	global_load_dwordx2 v[10:11], v6, s[2:3]
	s_waitcnt vmcnt(1)
	v_and_b32_e32 v7, v8, v12
	v_and_b32_e32 v8, v9, v13
	v_mul_lo_u32 v8, v8, 24
	v_mul_hi_u32 v9, v7, 24
	v_add_u32_e32 v9, v9, v8
	v_mul_lo_u32 v8, v7, 24
	s_waitcnt vmcnt(0)
	v_lshl_add_u64 v[8:9], v[10:11], 0, v[8:9]
	global_load_dwordx2 v[10:11], v[8:9], off sc0 sc1
	s_waitcnt vmcnt(0)
	global_atomic_cmpswap_x2 v[10:11], v6, v[10:13], s[2:3] offset:24 sc0 sc1
	s_waitcnt vmcnt(0)
	buffer_inv sc0 sc1
	v_cmp_ne_u64_e32 vcc, v[10:11], v[12:13]
	s_and_saveexec_b64 s[6:7], vcc
	s_cbranch_execz .LBB72_5
; %bb.2:
	s_mov_b64 s[8:9], 0
.LBB72_3:                               ; =>This Inner Loop Header: Depth=1
	s_sleep 1
	global_load_dwordx2 v[8:9], v6, s[2:3] offset:40
	global_load_dwordx2 v[14:15], v6, s[2:3]
	v_mov_b64_e32 v[12:13], v[10:11]
	s_waitcnt vmcnt(1)
	v_and_b32_e32 v8, v8, v12
	v_and_b32_e32 v7, v9, v13
	s_waitcnt vmcnt(0)
	v_mad_u64_u32 v[8:9], s[10:11], v8, 24, v[14:15]
	v_mov_b32_e32 v10, v9
	v_mad_u64_u32 v[10:11], s[10:11], v7, 24, v[10:11]
	v_mov_b32_e32 v9, v10
	global_load_dwordx2 v[10:11], v[8:9], off sc0 sc1
	s_waitcnt vmcnt(0)
	global_atomic_cmpswap_x2 v[10:11], v6, v[10:13], s[2:3] offset:24 sc0 sc1
	s_waitcnt vmcnt(0)
	buffer_inv sc0 sc1
	v_cmp_eq_u64_e32 vcc, v[10:11], v[12:13]
	s_or_b64 s[8:9], vcc, s[8:9]
	s_andn2_b64 exec, exec, s[8:9]
	s_cbranch_execnz .LBB72_3
; %bb.4:
	s_or_b64 exec, exec, s[8:9]
.LBB72_5:
	s_or_b64 exec, exec, s[6:7]
.LBB72_6:
	s_or_b64 exec, exec, s[4:5]
	v_mov_b32_e32 v14, 0
	s_waitcnt lgkmcnt(0)
	global_load_dwordx2 v[12:13], v14, s[2:3] offset:40
	global_load_dwordx4 v[6:9], v14, s[2:3]
	v_readfirstlane_b32 s4, v10
	v_readfirstlane_b32 s5, v11
	s_mov_b64 s[6:7], exec
	s_waitcnt vmcnt(1)
	v_readfirstlane_b32 s8, v12
	v_readfirstlane_b32 s9, v13
	s_and_b64 s[8:9], s[4:5], s[8:9]
	s_mul_i32 s10, s9, 24
	s_mul_hi_u32 s11, s8, 24
	s_add_i32 s11, s11, s10
	s_mul_i32 s10, s8, 24
	s_waitcnt vmcnt(0)
	v_lshl_add_u64 v[10:11], v[6:7], 0, s[10:11]
	s_and_saveexec_b64 s[10:11], s[0:1]
	s_cbranch_execz .LBB72_8
; %bb.7:
	v_mov_b64_e32 v[12:13], s[6:7]
	v_mov_b32_e32 v14, 2
	v_mov_b32_e32 v15, 1
	global_store_dwordx4 v[10:11], v[12:15], off offset:8
.LBB72_8:
	s_or_b64 exec, exec, s[10:11]
	s_lshl_b64 s[6:7], s[8:9], 12
	v_or_b32_e32 v12, 2, v0
	v_cmp_eq_u32_e32 vcc, 0, v4
	v_lshl_add_u64 v[8:9], v[8:9], 0, s[6:7]
	s_mov_b32 s8, 0
	v_cndmask_b32_e32 v0, v12, v0, vcc
	s_movk_i32 s6, 0xff1f
	v_and_or_b32 v0, v0, s6, 32
	v_lshlrev_b32_e32 v4, 6, v5
	v_readfirstlane_b32 s6, v8
	v_readfirstlane_b32 s7, v9
	s_mov_b32 s9, s8
	s_mov_b32 s10, s8
	;; [unrolled: 1-line block ×3, first 2 shown]
	s_nop 1
	global_store_dwordx4 v4, v[0:3], s[6:7]
	s_nop 1
	v_mov_b64_e32 v[0:1], s[8:9]
	v_mov_b64_e32 v[2:3], s[10:11]
	global_store_dwordx4 v4, v[0:3], s[6:7] offset:16
	global_store_dwordx4 v4, v[0:3], s[6:7] offset:32
	global_store_dwordx4 v4, v[0:3], s[6:7] offset:48
	s_and_saveexec_b64 s[6:7], s[0:1]
	s_cbranch_execz .LBB72_16
; %bb.9:
	v_mov_b32_e32 v8, 0
	global_load_dwordx2 v[14:15], v8, s[2:3] offset:32 sc0 sc1
	global_load_dwordx2 v[0:1], v8, s[2:3] offset:40
	v_mov_b32_e32 v12, s4
	v_mov_b32_e32 v13, s5
	s_waitcnt vmcnt(0)
	v_and_b32_e32 v0, s4, v0
	v_and_b32_e32 v1, s5, v1
	v_mul_lo_u32 v1, v1, 24
	v_mul_hi_u32 v2, v0, 24
	v_mul_lo_u32 v0, v0, 24
	v_add_u32_e32 v1, v2, v1
	v_lshl_add_u64 v[4:5], v[6:7], 0, v[0:1]
	global_store_dwordx2 v[4:5], v[14:15], off
	buffer_wbl2 sc0 sc1
	s_waitcnt vmcnt(0)
	global_atomic_cmpswap_x2 v[2:3], v8, v[12:15], s[2:3] offset:32 sc0 sc1
	s_waitcnt vmcnt(0)
	v_cmp_ne_u64_e32 vcc, v[2:3], v[14:15]
	s_and_saveexec_b64 s[8:9], vcc
	s_cbranch_execz .LBB72_12
; %bb.10:
	s_mov_b64 s[10:11], 0
.LBB72_11:                              ; =>This Inner Loop Header: Depth=1
	s_sleep 1
	global_store_dwordx2 v[4:5], v[2:3], off
	v_mov_b32_e32 v0, s4
	v_mov_b32_e32 v1, s5
	buffer_wbl2 sc0 sc1
	s_waitcnt vmcnt(0)
	global_atomic_cmpswap_x2 v[0:1], v8, v[0:3], s[2:3] offset:32 sc0 sc1
	s_waitcnt vmcnt(0)
	v_cmp_eq_u64_e32 vcc, v[0:1], v[2:3]
	s_or_b64 s[10:11], vcc, s[10:11]
	v_mov_b64_e32 v[2:3], v[0:1]
	s_andn2_b64 exec, exec, s[10:11]
	s_cbranch_execnz .LBB72_11
.LBB72_12:
	s_or_b64 exec, exec, s[8:9]
	v_mov_b32_e32 v3, 0
	global_load_dwordx2 v[0:1], v3, s[2:3] offset:16
	s_mov_b64 s[8:9], exec
	v_mbcnt_lo_u32_b32 v2, s8, 0
	v_mbcnt_hi_u32_b32 v2, s9, v2
	v_cmp_eq_u32_e32 vcc, 0, v2
	s_and_saveexec_b64 s[10:11], vcc
	s_cbranch_execz .LBB72_14
; %bb.13:
	s_bcnt1_i32_b64 s8, s[8:9]
	v_mov_b32_e32 v2, s8
	buffer_wbl2 sc0 sc1
	s_waitcnt vmcnt(0)
	global_atomic_add_x2 v[0:1], v[2:3], off offset:8 sc1
.LBB72_14:
	s_or_b64 exec, exec, s[10:11]
	s_waitcnt vmcnt(0)
	global_load_dwordx2 v[2:3], v[0:1], off offset:16
	s_waitcnt vmcnt(0)
	v_cmp_eq_u64_e32 vcc, 0, v[2:3]
	s_cbranch_vccnz .LBB72_16
; %bb.15:
	global_load_dword v0, v[0:1], off offset:24
	v_mov_b32_e32 v1, 0
	buffer_wbl2 sc0 sc1
	s_waitcnt vmcnt(0)
	global_store_dwordx2 v[2:3], v[0:1], off sc0 sc1
	v_and_b32_e32 v0, 0xffffff, v0
	s_nop 0
	v_readfirstlane_b32 m0, v0
	s_sendmsg sendmsg(MSG_INTERRUPT)
.LBB72_16:
	s_or_b64 exec, exec, s[6:7]
	s_branch .LBB72_20
.LBB72_17:                              ;   in Loop: Header=BB72_20 Depth=1
	s_or_b64 exec, exec, s[6:7]
	v_readfirstlane_b32 s6, v0
	s_cmp_eq_u32 s6, 0
	s_cbranch_scc1 .LBB72_19
; %bb.18:                               ;   in Loop: Header=BB72_20 Depth=1
	s_sleep 1
	s_cbranch_execnz .LBB72_20
	s_branch .LBB72_22
.LBB72_19:
	s_branch .LBB72_22
.LBB72_20:                              ; =>This Inner Loop Header: Depth=1
	v_mov_b32_e32 v0, 1
	s_and_saveexec_b64 s[6:7], s[0:1]
	s_cbranch_execz .LBB72_17
; %bb.21:                               ;   in Loop: Header=BB72_20 Depth=1
	global_load_dword v0, v[10:11], off offset:20 sc0 sc1
	s_waitcnt vmcnt(0)
	buffer_inv sc0 sc1
	v_and_b32_e32 v0, 1, v0
	s_branch .LBB72_17
.LBB72_22:
	s_and_saveexec_b64 s[6:7], s[0:1]
	s_cbranch_execz .LBB72_25
; %bb.23:
	v_mov_b32_e32 v6, 0
	global_load_dwordx2 v[4:5], v6, s[2:3] offset:40
	global_load_dwordx2 v[8:9], v6, s[2:3] offset:24 sc0 sc1
	global_load_dwordx2 v[10:11], v6, s[2:3]
	s_mov_b64 s[0:1], 0
	s_waitcnt vmcnt(2)
	v_lshl_add_u64 v[0:1], v[4:5], 0, 1
	v_lshl_add_u64 v[12:13], v[0:1], 0, s[4:5]
	v_cmp_eq_u64_e32 vcc, 0, v[12:13]
	s_waitcnt vmcnt(1)
	v_mov_b32_e32 v2, v8
	v_cndmask_b32_e32 v1, v13, v1, vcc
	v_cndmask_b32_e32 v0, v12, v0, vcc
	v_and_b32_e32 v3, v1, v5
	v_and_b32_e32 v4, v0, v4
	v_mul_lo_u32 v3, v3, 24
	v_mul_hi_u32 v5, v4, 24
	v_mul_lo_u32 v4, v4, 24
	v_add_u32_e32 v5, v5, v3
	s_waitcnt vmcnt(0)
	v_lshl_add_u64 v[4:5], v[10:11], 0, v[4:5]
	global_store_dwordx2 v[4:5], v[8:9], off
	v_mov_b32_e32 v3, v9
	buffer_wbl2 sc0 sc1
	s_waitcnt vmcnt(0)
	global_atomic_cmpswap_x2 v[2:3], v6, v[0:3], s[2:3] offset:24 sc0 sc1
	s_waitcnt vmcnt(0)
	v_cmp_ne_u64_e32 vcc, v[2:3], v[8:9]
	s_and_b64 exec, exec, vcc
	s_cbranch_execz .LBB72_25
.LBB72_24:                              ; =>This Inner Loop Header: Depth=1
	s_sleep 1
	global_store_dwordx2 v[4:5], v[2:3], off
	buffer_wbl2 sc0 sc1
	s_waitcnt vmcnt(0)
	global_atomic_cmpswap_x2 v[8:9], v6, v[0:3], s[2:3] offset:24 sc0 sc1
	s_waitcnt vmcnt(0)
	v_cmp_eq_u64_e32 vcc, v[8:9], v[2:3]
	s_or_b64 s[0:1], vcc, s[0:1]
	v_mov_b64_e32 v[2:3], v[8:9]
	s_andn2_b64 exec, exec, s[0:1]
	s_cbranch_execnz .LBB72_24
.LBB72_25:
	s_or_b64 exec, exec, s[6:7]
	s_waitcnt vmcnt(0) lgkmcnt(0)
	s_setpc_b64 s[30:31]
.Lfunc_end72:
	.size	__ockl_printf_append_args, .Lfunc_end72-__ockl_printf_append_args
                                        ; -- End function
	.section	.AMDGPU.csdata,"",@progbits
; Function info:
; codeLenInByte = 1224
; NumSgprs: 38
; NumVgprs: 16
; NumAgprs: 0
; TotalNumVgprs: 16
; ScratchSize: 0
; MemoryBound: 0
	.text
	.p2align	2                               ; -- Begin function _ZL14no_device_codePKciS0_iS0_
	.type	_ZL14no_device_codePKciS0_iS0_,@function
_ZL14no_device_codePKciS0_iS0_:         ; @_ZL14no_device_codePKciS0_iS0_
; %bb.0:
	s_waitcnt vmcnt(0) expcnt(0) lgkmcnt(0)
	s_mov_b32 s22, s33
	s_mov_b32 s33, s32
	s_xor_saveexec_b64 s[0:1], -1
	scratch_store_dword off, v38, s33       ; 4-byte Folded Spill
	s_mov_b64 exec, s[0:1]
	v_writelane_b32 v38, s30, 0
	s_add_i32 s32, s32, 16
	s_nop 0
	v_writelane_b32 v38, s31, 1
	s_load_dwordx2 s[2:3], s[8:9], 0x50
	v_mbcnt_lo_u32_b32 v0, -1, 0
	v_mbcnt_hi_u32_b32 v36, -1, v0
	v_mov_b64_e32 v[4:5], 0
	v_readfirstlane_b32 s0, v36
	s_nop 1
	v_cmp_eq_u32_e64 s[0:1], s0, v36
	s_and_saveexec_b64 s[4:5], s[0:1]
	s_cbranch_execz .LBB73_6
; %bb.1:
	v_mov_b32_e32 v0, 0
	s_waitcnt lgkmcnt(0)
	global_load_dwordx2 v[6:7], v0, s[2:3] offset:24 sc0 sc1
	s_waitcnt vmcnt(0)
	buffer_inv sc0 sc1
	global_load_dwordx2 v[2:3], v0, s[2:3] offset:40
	global_load_dwordx2 v[4:5], v0, s[2:3]
	s_waitcnt vmcnt(1)
	v_and_b32_e32 v1, v2, v6
	v_and_b32_e32 v2, v3, v7
	v_mul_lo_u32 v2, v2, 24
	v_mul_hi_u32 v3, v1, 24
	v_add_u32_e32 v3, v3, v2
	v_mul_lo_u32 v2, v1, 24
	s_waitcnt vmcnt(0)
	v_lshl_add_u64 v[2:3], v[4:5], 0, v[2:3]
	global_load_dwordx2 v[4:5], v[2:3], off sc0 sc1
	s_waitcnt vmcnt(0)
	global_atomic_cmpswap_x2 v[4:5], v0, v[4:7], s[2:3] offset:24 sc0 sc1
	s_waitcnt vmcnt(0)
	buffer_inv sc0 sc1
	v_cmp_ne_u64_e32 vcc, v[4:5], v[6:7]
	s_and_saveexec_b64 s[6:7], vcc
	s_cbranch_execz .LBB73_5
; %bb.2:
	s_mov_b64 s[10:11], 0
.LBB73_3:                               ; =>This Inner Loop Header: Depth=1
	s_sleep 1
	global_load_dwordx2 v[2:3], v0, s[2:3] offset:40
	global_load_dwordx2 v[8:9], v0, s[2:3]
	v_mov_b64_e32 v[6:7], v[4:5]
	s_waitcnt vmcnt(1)
	v_and_b32_e32 v2, v2, v6
	v_and_b32_e32 v1, v3, v7
	s_waitcnt vmcnt(0)
	v_mad_u64_u32 v[2:3], s[12:13], v2, 24, v[8:9]
	v_mov_b32_e32 v4, v3
	v_mad_u64_u32 v[4:5], s[12:13], v1, 24, v[4:5]
	v_mov_b32_e32 v3, v4
	global_load_dwordx2 v[4:5], v[2:3], off sc0 sc1
	s_waitcnt vmcnt(0)
	global_atomic_cmpswap_x2 v[4:5], v0, v[4:7], s[2:3] offset:24 sc0 sc1
	s_waitcnt vmcnt(0)
	buffer_inv sc0 sc1
	v_cmp_eq_u64_e32 vcc, v[4:5], v[6:7]
	s_or_b64 s[10:11], vcc, s[10:11]
	s_andn2_b64 exec, exec, s[10:11]
	s_cbranch_execnz .LBB73_3
; %bb.4:
	s_or_b64 exec, exec, s[10:11]
.LBB73_5:
	s_or_b64 exec, exec, s[6:7]
.LBB73_6:
	s_or_b64 exec, exec, s[4:5]
	v_mov_b32_e32 v29, 0
	s_waitcnt lgkmcnt(0)
	global_load_dwordx2 v[6:7], v29, s[2:3] offset:40
	global_load_dwordx4 v[0:3], v29, s[2:3]
	v_readfirstlane_b32 s4, v4
	v_readfirstlane_b32 s5, v5
	s_mov_b64 s[6:7], exec
	s_waitcnt vmcnt(1)
	v_readfirstlane_b32 s10, v6
	v_readfirstlane_b32 s11, v7
	s_and_b64 s[10:11], s[4:5], s[10:11]
	s_mul_i32 s12, s11, 24
	s_mul_hi_u32 s13, s10, 24
	s_add_i32 s13, s13, s12
	s_mul_i32 s12, s10, 24
	s_waitcnt vmcnt(0)
	v_lshl_add_u64 v[4:5], v[0:1], 0, s[12:13]
	s_and_saveexec_b64 s[12:13], s[0:1]
	s_cbranch_execz .LBB73_8
; %bb.7:
	v_mov_b64_e32 v[6:7], s[6:7]
	v_mov_b32_e32 v8, 2
	v_mov_b32_e32 v9, 1
	global_store_dwordx4 v[4:5], v[6:9], off offset:8
.LBB73_8:
	s_or_b64 exec, exec, s[12:13]
	s_lshl_b64 s[6:7], s[10:11], 12
	v_lshl_add_u64 v[6:7], v[2:3], 0, s[6:7]
	s_mov_b32 s12, 0
	v_lshlrev_b32_e32 v28, 6, v36
	v_mov_b32_e32 v8, 33
	v_mov_b32_e32 v9, v29
	;; [unrolled: 1-line block ×4, first 2 shown]
	v_readfirstlane_b32 s6, v6
	v_readfirstlane_b32 s7, v7
	s_mov_b32 s13, s12
	s_mov_b32 s14, s12
	;; [unrolled: 1-line block ×3, first 2 shown]
	s_nop 1
	global_store_dwordx4 v28, v[8:11], s[6:7]
	s_nop 1
	v_mov_b64_e32 v[8:9], s[12:13]
	v_mov_b64_e32 v[10:11], s[14:15]
	global_store_dwordx4 v28, v[8:11], s[6:7] offset:16
	global_store_dwordx4 v28, v[8:11], s[6:7] offset:32
	;; [unrolled: 1-line block ×3, first 2 shown]
	s_and_saveexec_b64 s[6:7], s[0:1]
	s_cbranch_execz .LBB73_16
; %bb.9:
	v_mov_b32_e32 v10, 0
	global_load_dwordx2 v[14:15], v10, s[2:3] offset:32 sc0 sc1
	global_load_dwordx2 v[2:3], v10, s[2:3] offset:40
	v_mov_b32_e32 v12, s4
	v_mov_b32_e32 v13, s5
	s_waitcnt vmcnt(0)
	v_and_b32_e32 v2, s4, v2
	v_and_b32_e32 v3, s5, v3
	v_mul_lo_u32 v3, v3, 24
	v_mul_hi_u32 v8, v2, 24
	v_mul_lo_u32 v2, v2, 24
	v_add_u32_e32 v3, v8, v3
	v_lshl_add_u64 v[8:9], v[0:1], 0, v[2:3]
	global_store_dwordx2 v[8:9], v[14:15], off
	buffer_wbl2 sc0 sc1
	s_waitcnt vmcnt(0)
	global_atomic_cmpswap_x2 v[2:3], v10, v[12:15], s[2:3] offset:32 sc0 sc1
	s_waitcnt vmcnt(0)
	v_cmp_ne_u64_e32 vcc, v[2:3], v[14:15]
	s_and_saveexec_b64 s[10:11], vcc
	s_cbranch_execz .LBB73_12
; %bb.10:
	s_mov_b64 s[12:13], 0
.LBB73_11:                              ; =>This Inner Loop Header: Depth=1
	s_sleep 1
	global_store_dwordx2 v[8:9], v[2:3], off
	v_mov_b32_e32 v0, s4
	v_mov_b32_e32 v1, s5
	buffer_wbl2 sc0 sc1
	s_waitcnt vmcnt(0)
	global_atomic_cmpswap_x2 v[0:1], v10, v[0:3], s[2:3] offset:32 sc0 sc1
	s_waitcnt vmcnt(0)
	v_cmp_eq_u64_e32 vcc, v[0:1], v[2:3]
	s_or_b64 s[12:13], vcc, s[12:13]
	v_mov_b64_e32 v[2:3], v[0:1]
	s_andn2_b64 exec, exec, s[12:13]
	s_cbranch_execnz .LBB73_11
.LBB73_12:
	s_or_b64 exec, exec, s[10:11]
	v_mov_b32_e32 v3, 0
	global_load_dwordx2 v[0:1], v3, s[2:3] offset:16
	s_mov_b64 s[10:11], exec
	v_mbcnt_lo_u32_b32 v2, s10, 0
	v_mbcnt_hi_u32_b32 v2, s11, v2
	v_cmp_eq_u32_e32 vcc, 0, v2
	s_and_saveexec_b64 s[12:13], vcc
	s_cbranch_execz .LBB73_14
; %bb.13:
	s_bcnt1_i32_b64 s10, s[10:11]
	v_mov_b32_e32 v2, s10
	buffer_wbl2 sc0 sc1
	s_waitcnt vmcnt(0)
	global_atomic_add_x2 v[0:1], v[2:3], off offset:8 sc1
.LBB73_14:
	s_or_b64 exec, exec, s[12:13]
	s_waitcnt vmcnt(0)
	global_load_dwordx2 v[2:3], v[0:1], off offset:16
	s_waitcnt vmcnt(0)
	v_cmp_eq_u64_e32 vcc, 0, v[2:3]
	s_cbranch_vccnz .LBB73_16
; %bb.15:
	global_load_dword v0, v[0:1], off offset:24
	v_mov_b32_e32 v1, 0
	buffer_wbl2 sc0 sc1
	s_waitcnt vmcnt(0)
	global_store_dwordx2 v[2:3], v[0:1], off sc0 sc1
	v_and_b32_e32 v0, 0xffffff, v0
	s_nop 0
	v_readfirstlane_b32 m0, v0
	s_sendmsg sendmsg(MSG_INTERRUPT)
.LBB73_16:
	s_or_b64 exec, exec, s[6:7]
	v_lshl_add_u64 v[0:1], v[6:7], 0, v[28:29]
	s_branch .LBB73_20
.LBB73_17:                              ;   in Loop: Header=BB73_20 Depth=1
	s_or_b64 exec, exec, s[6:7]
	v_readfirstlane_b32 s6, v2
	s_cmp_eq_u32 s6, 0
	s_cbranch_scc1 .LBB73_19
; %bb.18:                               ;   in Loop: Header=BB73_20 Depth=1
	s_sleep 1
	s_cbranch_execnz .LBB73_20
	s_branch .LBB73_22
.LBB73_19:
	s_branch .LBB73_22
.LBB73_20:                              ; =>This Inner Loop Header: Depth=1
	v_mov_b32_e32 v2, 1
	s_and_saveexec_b64 s[6:7], s[0:1]
	s_cbranch_execz .LBB73_17
; %bb.21:                               ;   in Loop: Header=BB73_20 Depth=1
	global_load_dword v2, v[4:5], off offset:20 sc0 sc1
	s_waitcnt vmcnt(0)
	buffer_inv sc0 sc1
	v_and_b32_e32 v2, 1, v2
	s_branch .LBB73_17
.LBB73_22:
	global_load_dwordx2 v[4:5], v[0:1], off
	s_and_saveexec_b64 s[6:7], s[0:1]
	s_cbranch_execz .LBB73_25
; %bb.23:
	v_mov_b32_e32 v8, 0
	global_load_dwordx2 v[6:7], v8, s[2:3] offset:40
	global_load_dwordx2 v[10:11], v8, s[2:3] offset:24 sc0 sc1
	global_load_dwordx2 v[12:13], v8, s[2:3]
	s_mov_b64 s[0:1], 0
	s_waitcnt vmcnt(2)
	v_lshl_add_u64 v[0:1], v[6:7], 0, 1
	v_lshl_add_u64 v[14:15], v[0:1], 0, s[4:5]
	v_cmp_eq_u64_e32 vcc, 0, v[14:15]
	s_waitcnt vmcnt(1)
	v_mov_b32_e32 v2, v10
	v_cndmask_b32_e32 v1, v15, v1, vcc
	v_cndmask_b32_e32 v0, v14, v0, vcc
	v_and_b32_e32 v3, v1, v7
	v_and_b32_e32 v6, v0, v6
	v_mul_lo_u32 v3, v3, 24
	v_mul_hi_u32 v7, v6, 24
	v_mul_lo_u32 v6, v6, 24
	v_add_u32_e32 v7, v7, v3
	s_waitcnt vmcnt(0)
	v_lshl_add_u64 v[6:7], v[12:13], 0, v[6:7]
	global_store_dwordx2 v[6:7], v[10:11], off
	v_mov_b32_e32 v3, v11
	buffer_wbl2 sc0 sc1
	s_waitcnt vmcnt(0)
	global_atomic_cmpswap_x2 v[2:3], v8, v[0:3], s[2:3] offset:24 sc0 sc1
	s_waitcnt vmcnt(0)
	v_cmp_ne_u64_e32 vcc, v[2:3], v[10:11]
	s_and_b64 exec, exec, vcc
	s_cbranch_execz .LBB73_25
.LBB73_24:                              ; =>This Inner Loop Header: Depth=1
	s_sleep 1
	global_store_dwordx2 v[6:7], v[2:3], off
	buffer_wbl2 sc0 sc1
	s_waitcnt vmcnt(0)
	global_atomic_cmpswap_x2 v[10:11], v8, v[0:3], s[2:3] offset:24 sc0 sc1
	s_waitcnt vmcnt(0)
	v_cmp_eq_u64_e32 vcc, v[10:11], v[2:3]
	s_or_b64 s[0:1], vcc, s[0:1]
	v_mov_b64_e32 v[2:3], v[10:11]
	s_andn2_b64 exec, exec, s[0:1]
	s_cbranch_execnz .LBB73_24
.LBB73_25:
	s_or_b64 exec, exec, s[6:7]
	s_getpc_b64 s[4:5]
	s_add_u32 s4, s4, .str.3@rel32@lo+4
	s_addc_u32 s5, s5, .str.3@rel32@hi+12
	s_cmp_lg_u64 s[4:5], 0
	s_cbranch_scc0 .LBB73_109
; %bb.26:
	s_waitcnt vmcnt(0)
	v_and_b32_e32 v26, 2, v4
	v_mov_b32_e32 v31, 0
	v_and_b32_e32 v0, -3, v4
	v_mov_b32_e32 v1, v5
	s_mov_b64 s[6:7], 0x4d
	v_mov_b32_e32 v8, 2
	v_mov_b32_e32 v9, 1
	s_branch .LBB73_28
.LBB73_27:                              ;   in Loop: Header=BB73_28 Depth=1
	s_or_b64 exec, exec, s[14:15]
	s_sub_u32 s6, s6, s10
	s_subb_u32 s7, s7, s11
	s_add_u32 s4, s4, s10
	s_addc_u32 s5, s5, s11
	s_cmp_lg_u64 s[6:7], 0
	s_cbranch_scc0 .LBB73_110
.LBB73_28:                              ; =>This Loop Header: Depth=1
                                        ;     Child Loop BB73_31 Depth 2
                                        ;     Child Loop BB73_38 Depth 2
	;; [unrolled: 1-line block ×11, first 2 shown]
	v_cmp_lt_u64_e64 s[0:1], s[6:7], 56
	s_and_b64 s[0:1], s[0:1], exec
	v_cmp_gt_u64_e64 s[0:1], s[6:7], 7
	s_cselect_b32 s11, s7, 0
	s_cselect_b32 s10, s6, 56
	s_and_b64 vcc, exec, s[0:1]
	s_cbranch_vccnz .LBB73_33
; %bb.29:                               ;   in Loop: Header=BB73_28 Depth=1
	s_mov_b64 s[0:1], 0
	s_cmp_eq_u64 s[6:7], 0
	s_waitcnt vmcnt(0)
	v_mov_b64_e32 v[2:3], 0
	s_cbranch_scc1 .LBB73_32
; %bb.30:                               ;   in Loop: Header=BB73_28 Depth=1
	s_lshl_b64 s[12:13], s[10:11], 3
	s_mov_b64 s[14:15], 0
	v_mov_b64_e32 v[2:3], 0
	s_mov_b64 s[16:17], s[4:5]
.LBB73_31:                              ;   Parent Loop BB73_28 Depth=1
                                        ; =>  This Inner Loop Header: Depth=2
	global_load_ubyte v6, v31, s[16:17]
	s_waitcnt vmcnt(0)
	v_and_b32_e32 v30, 0xffff, v6
	v_lshlrev_b64 v[6:7], s14, v[30:31]
	s_add_u32 s14, s14, 8
	s_addc_u32 s15, s15, 0
	s_add_u32 s16, s16, 1
	s_addc_u32 s17, s17, 0
	v_or_b32_e32 v2, v6, v2
	s_cmp_lg_u32 s12, s14
	v_or_b32_e32 v3, v7, v3
	s_cbranch_scc1 .LBB73_31
.LBB73_32:                              ;   in Loop: Header=BB73_28 Depth=1
	s_mov_b32 s16, 0
	s_andn2_b64 vcc, exec, s[0:1]
	s_mov_b64 s[0:1], s[4:5]
	s_cbranch_vccz .LBB73_34
	s_branch .LBB73_35
.LBB73_33:                              ;   in Loop: Header=BB73_28 Depth=1
                                        ; implicit-def: $vgpr2_vgpr3
                                        ; implicit-def: $sgpr16
	s_mov_b64 s[0:1], s[4:5]
.LBB73_34:                              ;   in Loop: Header=BB73_28 Depth=1
	global_load_dwordx2 v[2:3], v31, s[4:5]
	s_add_i32 s16, s10, -8
	s_add_u32 s0, s4, 8
	s_addc_u32 s1, s5, 0
.LBB73_35:                              ;   in Loop: Header=BB73_28 Depth=1
	s_cmp_gt_u32 s16, 7
	s_cbranch_scc1 .LBB73_39
; %bb.36:                               ;   in Loop: Header=BB73_28 Depth=1
	s_cmp_eq_u32 s16, 0
	s_cbranch_scc1 .LBB73_40
; %bb.37:                               ;   in Loop: Header=BB73_28 Depth=1
	s_mov_b64 s[12:13], 0
	v_mov_b64_e32 v[10:11], 0
	s_mov_b64 s[14:15], 0
.LBB73_38:                              ;   Parent Loop BB73_28 Depth=1
                                        ; =>  This Inner Loop Header: Depth=2
	s_add_u32 s18, s0, s14
	s_addc_u32 s19, s1, s15
	global_load_ubyte v6, v31, s[18:19]
	s_add_u32 s14, s14, 1
	s_addc_u32 s15, s15, 0
	s_waitcnt vmcnt(0)
	v_and_b32_e32 v30, 0xffff, v6
	v_lshlrev_b64 v[6:7], s12, v[30:31]
	s_add_u32 s12, s12, 8
	s_addc_u32 s13, s13, 0
	v_or_b32_e32 v10, v6, v10
	s_cmp_lg_u32 s16, s14
	v_or_b32_e32 v11, v7, v11
	s_cbranch_scc1 .LBB73_38
	s_branch .LBB73_41
.LBB73_39:                              ;   in Loop: Header=BB73_28 Depth=1
                                        ; implicit-def: $vgpr10_vgpr11
                                        ; implicit-def: $sgpr17
	s_branch .LBB73_42
.LBB73_40:                              ;   in Loop: Header=BB73_28 Depth=1
	v_mov_b64_e32 v[10:11], 0
.LBB73_41:                              ;   in Loop: Header=BB73_28 Depth=1
	s_mov_b32 s17, 0
	s_cbranch_execnz .LBB73_43
.LBB73_42:                              ;   in Loop: Header=BB73_28 Depth=1
	global_load_dwordx2 v[10:11], v31, s[0:1]
	s_add_i32 s17, s16, -8
	s_add_u32 s0, s0, 8
	s_addc_u32 s1, s1, 0
.LBB73_43:                              ;   in Loop: Header=BB73_28 Depth=1
	s_cmp_gt_u32 s17, 7
	s_cbranch_scc1 .LBB73_47
; %bb.44:                               ;   in Loop: Header=BB73_28 Depth=1
	s_cmp_eq_u32 s17, 0
	s_cbranch_scc1 .LBB73_48
; %bb.45:                               ;   in Loop: Header=BB73_28 Depth=1
	s_mov_b64 s[12:13], 0
	v_mov_b64_e32 v[12:13], 0
	s_mov_b64 s[14:15], 0
.LBB73_46:                              ;   Parent Loop BB73_28 Depth=1
                                        ; =>  This Inner Loop Header: Depth=2
	s_add_u32 s18, s0, s14
	s_addc_u32 s19, s1, s15
	global_load_ubyte v6, v31, s[18:19]
	s_add_u32 s14, s14, 1
	s_addc_u32 s15, s15, 0
	s_waitcnt vmcnt(0)
	v_and_b32_e32 v30, 0xffff, v6
	v_lshlrev_b64 v[6:7], s12, v[30:31]
	s_add_u32 s12, s12, 8
	s_addc_u32 s13, s13, 0
	v_or_b32_e32 v12, v6, v12
	s_cmp_lg_u32 s17, s14
	v_or_b32_e32 v13, v7, v13
	s_cbranch_scc1 .LBB73_46
	s_branch .LBB73_49
.LBB73_47:                              ;   in Loop: Header=BB73_28 Depth=1
                                        ; implicit-def: $sgpr16
	s_branch .LBB73_50
.LBB73_48:                              ;   in Loop: Header=BB73_28 Depth=1
	v_mov_b64_e32 v[12:13], 0
.LBB73_49:                              ;   in Loop: Header=BB73_28 Depth=1
	s_mov_b32 s16, 0
	s_cbranch_execnz .LBB73_51
.LBB73_50:                              ;   in Loop: Header=BB73_28 Depth=1
	global_load_dwordx2 v[12:13], v31, s[0:1]
	s_add_i32 s16, s17, -8
	s_add_u32 s0, s0, 8
	s_addc_u32 s1, s1, 0
.LBB73_51:                              ;   in Loop: Header=BB73_28 Depth=1
	s_cmp_gt_u32 s16, 7
	s_cbranch_scc1 .LBB73_55
; %bb.52:                               ;   in Loop: Header=BB73_28 Depth=1
	s_cmp_eq_u32 s16, 0
	s_cbranch_scc1 .LBB73_56
; %bb.53:                               ;   in Loop: Header=BB73_28 Depth=1
	s_mov_b64 s[12:13], 0
	v_mov_b64_e32 v[14:15], 0
	s_mov_b64 s[14:15], 0
.LBB73_54:                              ;   Parent Loop BB73_28 Depth=1
                                        ; =>  This Inner Loop Header: Depth=2
	s_add_u32 s18, s0, s14
	s_addc_u32 s19, s1, s15
	global_load_ubyte v6, v31, s[18:19]
	s_add_u32 s14, s14, 1
	s_addc_u32 s15, s15, 0
	s_waitcnt vmcnt(0)
	v_and_b32_e32 v30, 0xffff, v6
	v_lshlrev_b64 v[6:7], s12, v[30:31]
	s_add_u32 s12, s12, 8
	s_addc_u32 s13, s13, 0
	v_or_b32_e32 v14, v6, v14
	s_cmp_lg_u32 s16, s14
	v_or_b32_e32 v15, v7, v15
	s_cbranch_scc1 .LBB73_54
	s_branch .LBB73_57
.LBB73_55:                              ;   in Loop: Header=BB73_28 Depth=1
                                        ; implicit-def: $vgpr14_vgpr15
                                        ; implicit-def: $sgpr17
	s_branch .LBB73_58
.LBB73_56:                              ;   in Loop: Header=BB73_28 Depth=1
	v_mov_b64_e32 v[14:15], 0
.LBB73_57:                              ;   in Loop: Header=BB73_28 Depth=1
	s_mov_b32 s17, 0
	s_cbranch_execnz .LBB73_59
.LBB73_58:                              ;   in Loop: Header=BB73_28 Depth=1
	global_load_dwordx2 v[14:15], v31, s[0:1]
	s_add_i32 s17, s16, -8
	s_add_u32 s0, s0, 8
	s_addc_u32 s1, s1, 0
.LBB73_59:                              ;   in Loop: Header=BB73_28 Depth=1
	s_cmp_gt_u32 s17, 7
	s_cbranch_scc1 .LBB73_63
; %bb.60:                               ;   in Loop: Header=BB73_28 Depth=1
	s_cmp_eq_u32 s17, 0
	s_cbranch_scc1 .LBB73_64
; %bb.61:                               ;   in Loop: Header=BB73_28 Depth=1
	s_mov_b64 s[12:13], 0
	v_mov_b64_e32 v[16:17], 0
	s_mov_b64 s[14:15], 0
.LBB73_62:                              ;   Parent Loop BB73_28 Depth=1
                                        ; =>  This Inner Loop Header: Depth=2
	s_add_u32 s18, s0, s14
	s_addc_u32 s19, s1, s15
	global_load_ubyte v6, v31, s[18:19]
	s_add_u32 s14, s14, 1
	s_addc_u32 s15, s15, 0
	s_waitcnt vmcnt(0)
	v_and_b32_e32 v30, 0xffff, v6
	v_lshlrev_b64 v[6:7], s12, v[30:31]
	s_add_u32 s12, s12, 8
	s_addc_u32 s13, s13, 0
	v_or_b32_e32 v16, v6, v16
	s_cmp_lg_u32 s17, s14
	v_or_b32_e32 v17, v7, v17
	s_cbranch_scc1 .LBB73_62
	s_branch .LBB73_65
.LBB73_63:                              ;   in Loop: Header=BB73_28 Depth=1
                                        ; implicit-def: $sgpr16
	s_branch .LBB73_66
.LBB73_64:                              ;   in Loop: Header=BB73_28 Depth=1
	v_mov_b64_e32 v[16:17], 0
.LBB73_65:                              ;   in Loop: Header=BB73_28 Depth=1
	s_mov_b32 s16, 0
	s_cbranch_execnz .LBB73_67
.LBB73_66:                              ;   in Loop: Header=BB73_28 Depth=1
	global_load_dwordx2 v[16:17], v31, s[0:1]
	s_add_i32 s16, s17, -8
	s_add_u32 s0, s0, 8
	s_addc_u32 s1, s1, 0
.LBB73_67:                              ;   in Loop: Header=BB73_28 Depth=1
	s_cmp_gt_u32 s16, 7
	s_cbranch_scc1 .LBB73_71
; %bb.68:                               ;   in Loop: Header=BB73_28 Depth=1
	s_cmp_eq_u32 s16, 0
	s_cbranch_scc1 .LBB73_72
; %bb.69:                               ;   in Loop: Header=BB73_28 Depth=1
	s_mov_b64 s[12:13], 0
	v_mov_b64_e32 v[18:19], 0
	s_mov_b64 s[14:15], 0
.LBB73_70:                              ;   Parent Loop BB73_28 Depth=1
                                        ; =>  This Inner Loop Header: Depth=2
	s_add_u32 s18, s0, s14
	s_addc_u32 s19, s1, s15
	global_load_ubyte v6, v31, s[18:19]
	s_add_u32 s14, s14, 1
	s_addc_u32 s15, s15, 0
	s_waitcnt vmcnt(0)
	v_and_b32_e32 v30, 0xffff, v6
	v_lshlrev_b64 v[6:7], s12, v[30:31]
	s_add_u32 s12, s12, 8
	s_addc_u32 s13, s13, 0
	v_or_b32_e32 v18, v6, v18
	s_cmp_lg_u32 s16, s14
	v_or_b32_e32 v19, v7, v19
	s_cbranch_scc1 .LBB73_70
	s_branch .LBB73_73
.LBB73_71:                              ;   in Loop: Header=BB73_28 Depth=1
                                        ; implicit-def: $vgpr18_vgpr19
                                        ; implicit-def: $sgpr17
	s_branch .LBB73_74
.LBB73_72:                              ;   in Loop: Header=BB73_28 Depth=1
	v_mov_b64_e32 v[18:19], 0
.LBB73_73:                              ;   in Loop: Header=BB73_28 Depth=1
	s_mov_b32 s17, 0
	s_cbranch_execnz .LBB73_75
.LBB73_74:                              ;   in Loop: Header=BB73_28 Depth=1
	global_load_dwordx2 v[18:19], v31, s[0:1]
	s_add_i32 s17, s16, -8
	s_add_u32 s0, s0, 8
	s_addc_u32 s1, s1, 0
.LBB73_75:                              ;   in Loop: Header=BB73_28 Depth=1
	s_cmp_gt_u32 s17, 7
	s_cbranch_scc1 .LBB73_79
; %bb.76:                               ;   in Loop: Header=BB73_28 Depth=1
	s_cmp_eq_u32 s17, 0
	s_cbranch_scc1 .LBB73_80
; %bb.77:                               ;   in Loop: Header=BB73_28 Depth=1
	s_mov_b64 s[12:13], 0
	v_mov_b64_e32 v[20:21], 0
	s_mov_b64 s[14:15], s[0:1]
.LBB73_78:                              ;   Parent Loop BB73_28 Depth=1
                                        ; =>  This Inner Loop Header: Depth=2
	global_load_ubyte v6, v31, s[14:15]
	s_add_i32 s17, s17, -1
	s_waitcnt vmcnt(0)
	v_and_b32_e32 v30, 0xffff, v6
	v_lshlrev_b64 v[6:7], s12, v[30:31]
	s_add_u32 s12, s12, 8
	s_addc_u32 s13, s13, 0
	s_add_u32 s14, s14, 1
	s_addc_u32 s15, s15, 0
	v_or_b32_e32 v20, v6, v20
	s_cmp_lg_u32 s17, 0
	v_or_b32_e32 v21, v7, v21
	s_cbranch_scc1 .LBB73_78
	s_branch .LBB73_81
.LBB73_79:                              ;   in Loop: Header=BB73_28 Depth=1
	s_branch .LBB73_82
.LBB73_80:                              ;   in Loop: Header=BB73_28 Depth=1
	v_mov_b64_e32 v[20:21], 0
.LBB73_81:                              ;   in Loop: Header=BB73_28 Depth=1
	s_cbranch_execnz .LBB73_83
.LBB73_82:                              ;   in Loop: Header=BB73_28 Depth=1
	global_load_dwordx2 v[20:21], v31, s[0:1]
.LBB73_83:                              ;   in Loop: Header=BB73_28 Depth=1
	v_readfirstlane_b32 s0, v36
	v_mov_b64_e32 v[6:7], 0
	s_nop 0
	v_cmp_eq_u32_e64 s[0:1], s0, v36
	s_and_saveexec_b64 s[12:13], s[0:1]
	s_cbranch_execz .LBB73_89
; %bb.84:                               ;   in Loop: Header=BB73_28 Depth=1
	global_load_dwordx2 v[24:25], v31, s[2:3] offset:24 sc0 sc1
	s_waitcnt vmcnt(0)
	buffer_inv sc0 sc1
	global_load_dwordx2 v[6:7], v31, s[2:3] offset:40
	global_load_dwordx2 v[22:23], v31, s[2:3]
	s_waitcnt vmcnt(1)
	v_and_b32_e32 v6, v6, v24
	v_and_b32_e32 v7, v7, v25
	v_mul_lo_u32 v7, v7, 24
	v_mul_hi_u32 v27, v6, 24
	v_add_u32_e32 v7, v27, v7
	v_mul_lo_u32 v6, v6, 24
	s_waitcnt vmcnt(0)
	v_lshl_add_u64 v[6:7], v[22:23], 0, v[6:7]
	global_load_dwordx2 v[22:23], v[6:7], off sc0 sc1
	s_waitcnt vmcnt(0)
	global_atomic_cmpswap_x2 v[6:7], v31, v[22:25], s[2:3] offset:24 sc0 sc1
	s_waitcnt vmcnt(0)
	buffer_inv sc0 sc1
	v_cmp_ne_u64_e32 vcc, v[6:7], v[24:25]
	s_and_saveexec_b64 s[14:15], vcc
	s_cbranch_execz .LBB73_88
; %bb.85:                               ;   in Loop: Header=BB73_28 Depth=1
	s_mov_b64 s[16:17], 0
.LBB73_86:                              ;   Parent Loop BB73_28 Depth=1
                                        ; =>  This Inner Loop Header: Depth=2
	s_sleep 1
	global_load_dwordx2 v[22:23], v31, s[2:3] offset:40
	global_load_dwordx2 v[32:33], v31, s[2:3]
	v_mov_b64_e32 v[24:25], v[6:7]
	s_waitcnt vmcnt(1)
	v_and_b32_e32 v6, v22, v24
	s_waitcnt vmcnt(0)
	v_mad_u64_u32 v[6:7], s[18:19], v6, 24, v[32:33]
	v_and_b32_e32 v23, v23, v25
	v_mov_b32_e32 v22, v7
	v_mad_u64_u32 v[22:23], s[18:19], v23, 24, v[22:23]
	v_mov_b32_e32 v7, v22
	global_load_dwordx2 v[22:23], v[6:7], off sc0 sc1
	s_waitcnt vmcnt(0)
	global_atomic_cmpswap_x2 v[6:7], v31, v[22:25], s[2:3] offset:24 sc0 sc1
	s_waitcnt vmcnt(0)
	buffer_inv sc0 sc1
	v_cmp_eq_u64_e32 vcc, v[6:7], v[24:25]
	s_or_b64 s[16:17], vcc, s[16:17]
	s_andn2_b64 exec, exec, s[16:17]
	s_cbranch_execnz .LBB73_86
; %bb.87:                               ;   in Loop: Header=BB73_28 Depth=1
	s_or_b64 exec, exec, s[16:17]
.LBB73_88:                              ;   in Loop: Header=BB73_28 Depth=1
	s_or_b64 exec, exec, s[14:15]
.LBB73_89:                              ;   in Loop: Header=BB73_28 Depth=1
	s_or_b64 exec, exec, s[12:13]
	global_load_dwordx2 v[32:33], v31, s[2:3] offset:40
	global_load_dwordx4 v[22:25], v31, s[2:3]
	v_readfirstlane_b32 s12, v6
	v_readfirstlane_b32 s13, v7
	s_mov_b64 s[14:15], exec
	s_waitcnt vmcnt(1)
	v_readfirstlane_b32 s16, v32
	v_readfirstlane_b32 s17, v33
	s_and_b64 s[16:17], s[12:13], s[16:17]
	s_mul_i32 s18, s17, 24
	s_mul_hi_u32 s19, s16, 24
	s_add_i32 s19, s19, s18
	s_mul_i32 s18, s16, 24
	s_waitcnt vmcnt(0)
	v_lshl_add_u64 v[32:33], v[22:23], 0, s[18:19]
	s_and_saveexec_b64 s[18:19], s[0:1]
	s_cbranch_execz .LBB73_91
; %bb.90:                               ;   in Loop: Header=BB73_28 Depth=1
	v_mov_b64_e32 v[6:7], s[14:15]
	global_store_dwordx4 v[32:33], v[6:9], off offset:8
.LBB73_91:                              ;   in Loop: Header=BB73_28 Depth=1
	s_or_b64 exec, exec, s[18:19]
	s_lshl_b64 s[14:15], s[16:17], 12
	v_lshl_add_u64 v[6:7], v[24:25], 0, s[14:15]
	v_or_b32_e32 v25, v0, v26
	v_cmp_gt_u64_e64 vcc, s[6:7], 56
	s_lshl_b32 s14, s10, 2
	s_add_i32 s14, s14, 28
	v_cndmask_b32_e32 v0, v25, v0, vcc
	v_or_b32_e32 v24, 0, v1
	s_and_b32 s14, s14, 0x1e0
	v_and_b32_e32 v0, 0xffffff1f, v0
	v_cndmask_b32_e32 v1, v24, v1, vcc
	v_or_b32_e32 v0, s14, v0
	v_readfirstlane_b32 s14, v6
	v_readfirstlane_b32 s15, v7
	s_nop 4
	global_store_dwordx4 v28, v[0:3], s[14:15]
	global_store_dwordx4 v28, v[10:13], s[14:15] offset:16
	global_store_dwordx4 v28, v[14:17], s[14:15] offset:32
	;; [unrolled: 1-line block ×3, first 2 shown]
	s_and_saveexec_b64 s[14:15], s[0:1]
	s_cbranch_execz .LBB73_99
; %bb.92:                               ;   in Loop: Header=BB73_28 Depth=1
	global_load_dwordx2 v[14:15], v31, s[2:3] offset:32 sc0 sc1
	global_load_dwordx2 v[0:1], v31, s[2:3] offset:40
	v_mov_b32_e32 v12, s12
	v_mov_b32_e32 v13, s13
	s_waitcnt vmcnt(0)
	v_readfirstlane_b32 s16, v0
	v_readfirstlane_b32 s17, v1
	s_and_b64 s[16:17], s[16:17], s[12:13]
	s_mul_i32 s17, s17, 24
	s_mul_hi_u32 s18, s16, 24
	s_mul_i32 s16, s16, 24
	s_add_i32 s17, s18, s17
	v_lshl_add_u64 v[10:11], v[22:23], 0, s[16:17]
	global_store_dwordx2 v[10:11], v[14:15], off
	buffer_wbl2 sc0 sc1
	s_waitcnt vmcnt(0)
	global_atomic_cmpswap_x2 v[2:3], v31, v[12:15], s[2:3] offset:32 sc0 sc1
	s_waitcnt vmcnt(0)
	v_cmp_ne_u64_e32 vcc, v[2:3], v[14:15]
	s_and_saveexec_b64 s[16:17], vcc
	s_cbranch_execz .LBB73_95
; %bb.93:                               ;   in Loop: Header=BB73_28 Depth=1
	s_mov_b64 s[18:19], 0
.LBB73_94:                              ;   Parent Loop BB73_28 Depth=1
                                        ; =>  This Inner Loop Header: Depth=2
	s_sleep 1
	global_store_dwordx2 v[10:11], v[2:3], off
	v_mov_b32_e32 v0, s12
	v_mov_b32_e32 v1, s13
	buffer_wbl2 sc0 sc1
	s_waitcnt vmcnt(0)
	global_atomic_cmpswap_x2 v[0:1], v31, v[0:3], s[2:3] offset:32 sc0 sc1
	s_waitcnt vmcnt(0)
	v_cmp_eq_u64_e32 vcc, v[0:1], v[2:3]
	s_or_b64 s[18:19], vcc, s[18:19]
	v_mov_b64_e32 v[2:3], v[0:1]
	s_andn2_b64 exec, exec, s[18:19]
	s_cbranch_execnz .LBB73_94
.LBB73_95:                              ;   in Loop: Header=BB73_28 Depth=1
	s_or_b64 exec, exec, s[16:17]
	global_load_dwordx2 v[0:1], v31, s[2:3] offset:16
	s_mov_b64 s[18:19], exec
	v_mbcnt_lo_u32_b32 v2, s18, 0
	v_mbcnt_hi_u32_b32 v2, s19, v2
	v_cmp_eq_u32_e32 vcc, 0, v2
	s_and_saveexec_b64 s[16:17], vcc
	s_cbranch_execz .LBB73_97
; %bb.96:                               ;   in Loop: Header=BB73_28 Depth=1
	s_bcnt1_i32_b64 s18, s[18:19]
	v_mov_b32_e32 v30, s18
	buffer_wbl2 sc0 sc1
	s_waitcnt vmcnt(0)
	global_atomic_add_x2 v[0:1], v[30:31], off offset:8 sc1
.LBB73_97:                              ;   in Loop: Header=BB73_28 Depth=1
	s_or_b64 exec, exec, s[16:17]
	s_waitcnt vmcnt(0)
	global_load_dwordx2 v[2:3], v[0:1], off offset:16
	s_waitcnt vmcnt(0)
	v_cmp_eq_u64_e32 vcc, 0, v[2:3]
	s_cbranch_vccnz .LBB73_99
; %bb.98:                               ;   in Loop: Header=BB73_28 Depth=1
	global_load_dword v30, v[0:1], off offset:24
	s_waitcnt vmcnt(0)
	v_and_b32_e32 v0, 0xffffff, v30
	s_nop 0
	v_readfirstlane_b32 m0, v0
	buffer_wbl2 sc0 sc1
	global_store_dwordx2 v[2:3], v[30:31], off sc0 sc1
	s_sendmsg sendmsg(MSG_INTERRUPT)
.LBB73_99:                              ;   in Loop: Header=BB73_28 Depth=1
	s_or_b64 exec, exec, s[14:15]
	v_mov_b32_e32 v29, v31
	v_lshl_add_u64 v[0:1], v[6:7], 0, v[28:29]
	s_branch .LBB73_103
.LBB73_100:                             ;   in Loop: Header=BB73_103 Depth=2
	s_or_b64 exec, exec, s[14:15]
	v_readfirstlane_b32 s14, v2
	s_cmp_eq_u32 s14, 0
	s_cbranch_scc1 .LBB73_102
; %bb.101:                              ;   in Loop: Header=BB73_103 Depth=2
	s_sleep 1
	s_cbranch_execnz .LBB73_103
	s_branch .LBB73_105
.LBB73_102:                             ;   in Loop: Header=BB73_28 Depth=1
	s_branch .LBB73_105
.LBB73_103:                             ;   Parent Loop BB73_28 Depth=1
                                        ; =>  This Inner Loop Header: Depth=2
	v_mov_b32_e32 v2, 1
	s_and_saveexec_b64 s[14:15], s[0:1]
	s_cbranch_execz .LBB73_100
; %bb.104:                              ;   in Loop: Header=BB73_103 Depth=2
	global_load_dword v2, v[32:33], off offset:20 sc0 sc1
	s_waitcnt vmcnt(0)
	buffer_inv sc0 sc1
	v_and_b32_e32 v2, 1, v2
	s_branch .LBB73_100
.LBB73_105:                             ;   in Loop: Header=BB73_28 Depth=1
	global_load_dwordx4 v[0:3], v[0:1], off
	s_and_saveexec_b64 s[14:15], s[0:1]
	s_cbranch_execz .LBB73_27
; %bb.106:                              ;   in Loop: Header=BB73_28 Depth=1
	global_load_dwordx2 v[2:3], v31, s[2:3] offset:40
	global_load_dwordx2 v[6:7], v31, s[2:3] offset:24 sc0 sc1
	global_load_dwordx2 v[14:15], v31, s[2:3]
	s_waitcnt vmcnt(2)
	v_lshl_add_u64 v[10:11], v[2:3], 0, 1
	v_lshl_add_u64 v[16:17], v[10:11], 0, s[12:13]
	v_cmp_eq_u64_e32 vcc, 0, v[16:17]
	s_waitcnt vmcnt(1)
	v_mov_b32_e32 v12, v6
	v_cndmask_b32_e32 v11, v17, v11, vcc
	v_cndmask_b32_e32 v10, v16, v10, vcc
	v_and_b32_e32 v3, v11, v3
	v_and_b32_e32 v2, v10, v2
	v_mul_lo_u32 v3, v3, 24
	v_mul_hi_u32 v13, v2, 24
	v_mul_lo_u32 v2, v2, 24
	v_add_u32_e32 v3, v13, v3
	s_waitcnt vmcnt(0)
	v_lshl_add_u64 v[2:3], v[14:15], 0, v[2:3]
	global_store_dwordx2 v[2:3], v[6:7], off
	v_mov_b32_e32 v13, v7
	buffer_wbl2 sc0 sc1
	s_waitcnt vmcnt(0)
	global_atomic_cmpswap_x2 v[12:13], v31, v[10:13], s[2:3] offset:24 sc0 sc1
	s_waitcnt vmcnt(0)
	v_cmp_ne_u64_e32 vcc, v[12:13], v[6:7]
	s_and_b64 exec, exec, vcc
	s_cbranch_execz .LBB73_27
; %bb.107:                              ;   in Loop: Header=BB73_28 Depth=1
	s_mov_b64 s[0:1], 0
.LBB73_108:                             ;   Parent Loop BB73_28 Depth=1
                                        ; =>  This Inner Loop Header: Depth=2
	s_sleep 1
	global_store_dwordx2 v[2:3], v[12:13], off
	buffer_wbl2 sc0 sc1
	s_waitcnt vmcnt(0)
	global_atomic_cmpswap_x2 v[6:7], v31, v[10:13], s[2:3] offset:24 sc0 sc1
	s_waitcnt vmcnt(0)
	v_cmp_eq_u64_e32 vcc, v[6:7], v[12:13]
	s_or_b64 s[0:1], vcc, s[0:1]
	v_mov_b64_e32 v[12:13], v[6:7]
	s_andn2_b64 exec, exec, s[0:1]
	s_cbranch_execnz .LBB73_108
	s_branch .LBB73_27
.LBB73_109:
                                        ; implicit-def: $vgpr0_vgpr1
	s_cbranch_execnz .LBB73_111
	s_branch .LBB73_137
.LBB73_110:
	s_branch .LBB73_137
.LBB73_111:
	v_readfirstlane_b32 s0, v36
	v_mov_b64_e32 v[6:7], 0
	s_nop 0
	v_cmp_eq_u32_e64 s[0:1], s0, v36
	s_and_saveexec_b64 s[4:5], s[0:1]
	s_cbranch_execz .LBB73_117
; %bb.112:
	s_waitcnt vmcnt(0)
	v_mov_b32_e32 v0, 0
	global_load_dwordx2 v[8:9], v0, s[2:3] offset:24 sc0 sc1
	s_waitcnt vmcnt(0)
	buffer_inv sc0 sc1
	global_load_dwordx2 v[2:3], v0, s[2:3] offset:40
	global_load_dwordx2 v[6:7], v0, s[2:3]
	s_waitcnt vmcnt(1)
	v_and_b32_e32 v1, v2, v8
	v_and_b32_e32 v2, v3, v9
	v_mul_lo_u32 v2, v2, 24
	v_mul_hi_u32 v3, v1, 24
	v_add_u32_e32 v3, v3, v2
	v_mul_lo_u32 v2, v1, 24
	s_waitcnt vmcnt(0)
	v_lshl_add_u64 v[2:3], v[6:7], 0, v[2:3]
	global_load_dwordx2 v[6:7], v[2:3], off sc0 sc1
	s_waitcnt vmcnt(0)
	global_atomic_cmpswap_x2 v[6:7], v0, v[6:9], s[2:3] offset:24 sc0 sc1
	s_waitcnt vmcnt(0)
	buffer_inv sc0 sc1
	v_cmp_ne_u64_e32 vcc, v[6:7], v[8:9]
	s_and_saveexec_b64 s[6:7], vcc
	s_cbranch_execz .LBB73_116
; %bb.113:
	s_mov_b64 s[10:11], 0
.LBB73_114:                             ; =>This Inner Loop Header: Depth=1
	s_sleep 1
	global_load_dwordx2 v[2:3], v0, s[2:3] offset:40
	global_load_dwordx2 v[10:11], v0, s[2:3]
	v_mov_b64_e32 v[8:9], v[6:7]
	s_waitcnt vmcnt(1)
	v_and_b32_e32 v2, v2, v8
	v_and_b32_e32 v1, v3, v9
	s_waitcnt vmcnt(0)
	v_mad_u64_u32 v[2:3], s[12:13], v2, 24, v[10:11]
	v_mov_b32_e32 v6, v3
	v_mad_u64_u32 v[6:7], s[12:13], v1, 24, v[6:7]
	v_mov_b32_e32 v3, v6
	global_load_dwordx2 v[6:7], v[2:3], off sc0 sc1
	s_waitcnt vmcnt(0)
	global_atomic_cmpswap_x2 v[6:7], v0, v[6:9], s[2:3] offset:24 sc0 sc1
	s_waitcnt vmcnt(0)
	buffer_inv sc0 sc1
	v_cmp_eq_u64_e32 vcc, v[6:7], v[8:9]
	s_or_b64 s[10:11], vcc, s[10:11]
	s_andn2_b64 exec, exec, s[10:11]
	s_cbranch_execnz .LBB73_114
; %bb.115:
	s_or_b64 exec, exec, s[10:11]
.LBB73_116:
	s_or_b64 exec, exec, s[6:7]
.LBB73_117:
	s_or_b64 exec, exec, s[4:5]
	v_mov_b32_e32 v29, 0
	global_load_dwordx2 v[8:9], v29, s[2:3] offset:40
	global_load_dwordx4 v[0:3], v29, s[2:3]
	v_readfirstlane_b32 s4, v6
	v_readfirstlane_b32 s5, v7
	s_mov_b64 s[6:7], exec
	s_waitcnt vmcnt(1)
	v_readfirstlane_b32 s10, v8
	v_readfirstlane_b32 s11, v9
	s_and_b64 s[10:11], s[4:5], s[10:11]
	s_mul_i32 s12, s11, 24
	s_mul_hi_u32 s13, s10, 24
	s_add_i32 s13, s13, s12
	s_mul_i32 s12, s10, 24
	s_waitcnt vmcnt(0)
	v_lshl_add_u64 v[8:9], v[0:1], 0, s[12:13]
	s_and_saveexec_b64 s[12:13], s[0:1]
	s_cbranch_execz .LBB73_119
; %bb.118:
	v_mov_b64_e32 v[10:11], s[6:7]
	v_mov_b32_e32 v12, 2
	v_mov_b32_e32 v13, 1
	global_store_dwordx4 v[8:9], v[10:13], off offset:8
.LBB73_119:
	s_or_b64 exec, exec, s[12:13]
	s_lshl_b64 s[6:7], s[10:11], 12
	v_lshl_add_u64 v[10:11], v[2:3], 0, s[6:7]
	s_movk_i32 s6, 0xff1f
	s_mov_b32 s12, 0
	v_and_or_b32 v4, v4, s6, 32
	v_mov_b32_e32 v6, v29
	v_mov_b32_e32 v7, v29
	v_readfirstlane_b32 s6, v10
	v_readfirstlane_b32 s7, v11
	s_mov_b32 s13, s12
	s_mov_b32 s14, s12
	;; [unrolled: 1-line block ×3, first 2 shown]
	s_nop 1
	global_store_dwordx4 v28, v[4:7], s[6:7]
	v_mov_b64_e32 v[2:3], s[12:13]
	s_nop 0
	v_mov_b64_e32 v[4:5], s[14:15]
	global_store_dwordx4 v28, v[2:5], s[6:7] offset:16
	global_store_dwordx4 v28, v[2:5], s[6:7] offset:32
	;; [unrolled: 1-line block ×3, first 2 shown]
	s_and_saveexec_b64 s[6:7], s[0:1]
	s_cbranch_execz .LBB73_127
; %bb.120:
	v_mov_b32_e32 v6, 0
	global_load_dwordx2 v[14:15], v6, s[2:3] offset:32 sc0 sc1
	global_load_dwordx2 v[2:3], v6, s[2:3] offset:40
	v_mov_b32_e32 v12, s4
	v_mov_b32_e32 v13, s5
	s_waitcnt vmcnt(0)
	v_readfirstlane_b32 s10, v2
	v_readfirstlane_b32 s11, v3
	s_and_b64 s[10:11], s[10:11], s[4:5]
	s_mul_i32 s11, s11, 24
	s_mul_hi_u32 s12, s10, 24
	s_mul_i32 s10, s10, 24
	s_add_i32 s11, s12, s11
	v_lshl_add_u64 v[4:5], v[0:1], 0, s[10:11]
	global_store_dwordx2 v[4:5], v[14:15], off
	buffer_wbl2 sc0 sc1
	s_waitcnt vmcnt(0)
	global_atomic_cmpswap_x2 v[2:3], v6, v[12:15], s[2:3] offset:32 sc0 sc1
	s_waitcnt vmcnt(0)
	v_cmp_ne_u64_e32 vcc, v[2:3], v[14:15]
	s_and_saveexec_b64 s[10:11], vcc
	s_cbranch_execz .LBB73_123
; %bb.121:
	s_mov_b64 s[12:13], 0
.LBB73_122:                             ; =>This Inner Loop Header: Depth=1
	s_sleep 1
	global_store_dwordx2 v[4:5], v[2:3], off
	v_mov_b32_e32 v0, s4
	v_mov_b32_e32 v1, s5
	buffer_wbl2 sc0 sc1
	s_waitcnt vmcnt(0)
	global_atomic_cmpswap_x2 v[0:1], v6, v[0:3], s[2:3] offset:32 sc0 sc1
	s_waitcnt vmcnt(0)
	v_cmp_eq_u64_e32 vcc, v[0:1], v[2:3]
	s_or_b64 s[12:13], vcc, s[12:13]
	v_mov_b64_e32 v[2:3], v[0:1]
	s_andn2_b64 exec, exec, s[12:13]
	s_cbranch_execnz .LBB73_122
.LBB73_123:
	s_or_b64 exec, exec, s[10:11]
	v_mov_b32_e32 v3, 0
	global_load_dwordx2 v[0:1], v3, s[2:3] offset:16
	s_mov_b64 s[10:11], exec
	v_mbcnt_lo_u32_b32 v2, s10, 0
	v_mbcnt_hi_u32_b32 v2, s11, v2
	v_cmp_eq_u32_e32 vcc, 0, v2
	s_and_saveexec_b64 s[12:13], vcc
	s_cbranch_execz .LBB73_125
; %bb.124:
	s_bcnt1_i32_b64 s10, s[10:11]
	v_mov_b32_e32 v2, s10
	buffer_wbl2 sc0 sc1
	s_waitcnt vmcnt(0)
	global_atomic_add_x2 v[0:1], v[2:3], off offset:8 sc1
.LBB73_125:
	s_or_b64 exec, exec, s[12:13]
	s_waitcnt vmcnt(0)
	global_load_dwordx2 v[2:3], v[0:1], off offset:16
	s_waitcnt vmcnt(0)
	v_cmp_eq_u64_e32 vcc, 0, v[2:3]
	s_cbranch_vccnz .LBB73_127
; %bb.126:
	global_load_dword v0, v[0:1], off offset:24
	v_mov_b32_e32 v1, 0
	buffer_wbl2 sc0 sc1
	s_waitcnt vmcnt(0)
	global_store_dwordx2 v[2:3], v[0:1], off sc0 sc1
	v_and_b32_e32 v0, 0xffffff, v0
	s_nop 0
	v_readfirstlane_b32 m0, v0
	s_sendmsg sendmsg(MSG_INTERRUPT)
.LBB73_127:
	s_or_b64 exec, exec, s[6:7]
	v_lshl_add_u64 v[0:1], v[10:11], 0, v[28:29]
	s_branch .LBB73_131
.LBB73_128:                             ;   in Loop: Header=BB73_131 Depth=1
	s_or_b64 exec, exec, s[6:7]
	v_readfirstlane_b32 s6, v2
	s_cmp_eq_u32 s6, 0
	s_cbranch_scc1 .LBB73_130
; %bb.129:                              ;   in Loop: Header=BB73_131 Depth=1
	s_sleep 1
	s_cbranch_execnz .LBB73_131
	s_branch .LBB73_133
.LBB73_130:
	s_branch .LBB73_133
.LBB73_131:                             ; =>This Inner Loop Header: Depth=1
	v_mov_b32_e32 v2, 1
	s_and_saveexec_b64 s[6:7], s[0:1]
	s_cbranch_execz .LBB73_128
; %bb.132:                              ;   in Loop: Header=BB73_131 Depth=1
	global_load_dword v2, v[8:9], off offset:20 sc0 sc1
	s_waitcnt vmcnt(0)
	buffer_inv sc0 sc1
	v_and_b32_e32 v2, 1, v2
	s_branch .LBB73_128
.LBB73_133:
	global_load_dwordx2 v[0:1], v[0:1], off
	s_and_saveexec_b64 s[6:7], s[0:1]
	s_cbranch_execz .LBB73_136
; %bb.134:
	v_mov_b32_e32 v8, 0
	global_load_dwordx2 v[6:7], v8, s[2:3] offset:40
	global_load_dwordx2 v[10:11], v8, s[2:3] offset:24 sc0 sc1
	global_load_dwordx2 v[12:13], v8, s[2:3]
	s_mov_b64 s[0:1], 0
	s_waitcnt vmcnt(2)
	v_lshl_add_u64 v[2:3], v[6:7], 0, 1
	v_lshl_add_u64 v[14:15], v[2:3], 0, s[4:5]
	v_cmp_eq_u64_e32 vcc, 0, v[14:15]
	s_waitcnt vmcnt(1)
	v_mov_b32_e32 v4, v10
	v_cndmask_b32_e32 v3, v15, v3, vcc
	v_cndmask_b32_e32 v2, v14, v2, vcc
	v_and_b32_e32 v5, v3, v7
	v_and_b32_e32 v6, v2, v6
	v_mul_lo_u32 v5, v5, 24
	v_mul_hi_u32 v7, v6, 24
	v_mul_lo_u32 v6, v6, 24
	v_add_u32_e32 v7, v7, v5
	s_waitcnt vmcnt(0)
	v_lshl_add_u64 v[6:7], v[12:13], 0, v[6:7]
	global_store_dwordx2 v[6:7], v[10:11], off
	v_mov_b32_e32 v5, v11
	buffer_wbl2 sc0 sc1
	s_waitcnt vmcnt(0)
	global_atomic_cmpswap_x2 v[4:5], v8, v[2:5], s[2:3] offset:24 sc0 sc1
	s_waitcnt vmcnt(0)
	v_cmp_ne_u64_e32 vcc, v[4:5], v[10:11]
	s_and_b64 exec, exec, vcc
	s_cbranch_execz .LBB73_136
.LBB73_135:                             ; =>This Inner Loop Header: Depth=1
	s_sleep 1
	global_store_dwordx2 v[6:7], v[4:5], off
	buffer_wbl2 sc0 sc1
	s_waitcnt vmcnt(0)
	global_atomic_cmpswap_x2 v[10:11], v8, v[2:5], s[2:3] offset:24 sc0 sc1
	s_waitcnt vmcnt(0)
	v_cmp_eq_u64_e32 vcc, v[10:11], v[4:5]
	s_or_b64 s[0:1], vcc, s[0:1]
	v_mov_b64_e32 v[4:5], v[10:11]
	s_andn2_b64 exec, exec, s[0:1]
	s_cbranch_execnz .LBB73_135
.LBB73_136:
	s_or_b64 exec, exec, s[6:7]
.LBB73_137:
	s_getpc_b64 s[4:5]
	s_add_u32 s4, s4, .str.1@rel32@lo+4
	s_addc_u32 s5, s5, .str.1@rel32@hi+12
	s_cmp_lg_u64 s[4:5], 0
	s_cselect_b64 s[0:1], -1, 0
	s_cmp_eq_u64 s[4:5], 0
	s_mov_b64 s[4:5], 0
	s_cbranch_scc1 .LBB73_141
; %bb.138:
	s_waitcnt vmcnt(0)
	v_mov_b32_e32 v2, 0
	s_getpc_b64 s[4:5]
	s_add_u32 s4, s4, .str.1@rel32@lo+3
	s_addc_u32 s5, s5, .str.1@rel32@hi+11
.LBB73_139:                             ; =>This Inner Loop Header: Depth=1
	global_load_ubyte v3, v2, s[4:5] offset:1
	s_add_u32 s6, s4, 1
	s_addc_u32 s7, s5, 0
	s_mov_b64 s[4:5], s[6:7]
	s_waitcnt vmcnt(0)
	v_cmp_ne_u16_e32 vcc, 0, v3
	s_cbranch_vccnz .LBB73_139
; %bb.140:
	s_getpc_b64 s[4:5]
	s_add_u32 s4, s4, .str.1@rel32@lo+4
	s_addc_u32 s5, s5, .str.1@rel32@hi+12
	s_sub_u32 s4, s6, s4
	s_subb_u32 s5, s7, s5
	s_add_u32 s4, s4, 1
	s_addc_u32 s5, s5, 0
.LBB73_141:
	s_and_b64 vcc, exec, s[0:1]
	s_cbranch_vccz .LBB73_225
; %bb.142:
	s_waitcnt vmcnt(0)
	v_and_b32_e32 v30, 2, v0
	v_mov_b32_e32 v33, 0
	v_and_b32_e32 v2, -3, v0
	v_mov_b32_e32 v3, v1
	v_mov_b32_e32 v6, 2
	;; [unrolled: 1-line block ×3, first 2 shown]
	s_getpc_b64 s[6:7]
	s_add_u32 s6, s6, .str.1@rel32@lo+4
	s_addc_u32 s7, s7, .str.1@rel32@hi+12
	s_branch .LBB73_144
.LBB73_143:                             ;   in Loop: Header=BB73_144 Depth=1
	s_or_b64 exec, exec, s[14:15]
	s_sub_u32 s4, s4, s10
	s_subb_u32 s5, s5, s11
	s_add_u32 s6, s6, s10
	s_addc_u32 s7, s7, s11
	s_cmp_lg_u64 s[4:5], 0
	s_cbranch_scc0 .LBB73_226
.LBB73_144:                             ; =>This Loop Header: Depth=1
                                        ;     Child Loop BB73_147 Depth 2
                                        ;     Child Loop BB73_154 Depth 2
	;; [unrolled: 1-line block ×11, first 2 shown]
	v_cmp_lt_u64_e64 s[0:1], s[4:5], 56
	s_and_b64 s[0:1], s[0:1], exec
	v_cmp_gt_u64_e64 s[0:1], s[4:5], 7
	s_cselect_b32 s11, s5, 0
	s_cselect_b32 s10, s4, 56
	s_and_b64 vcc, exec, s[0:1]
	s_cbranch_vccnz .LBB73_149
; %bb.145:                              ;   in Loop: Header=BB73_144 Depth=1
	s_mov_b64 s[0:1], 0
	s_cmp_eq_u64 s[4:5], 0
	v_mov_b64_e32 v[10:11], 0
	s_cbranch_scc1 .LBB73_148
; %bb.146:                              ;   in Loop: Header=BB73_144 Depth=1
	s_lshl_b64 s[12:13], s[10:11], 3
	s_mov_b64 s[14:15], 0
	v_mov_b64_e32 v[10:11], 0
	s_mov_b64 s[16:17], s[6:7]
.LBB73_147:                             ;   Parent Loop BB73_144 Depth=1
                                        ; =>  This Inner Loop Header: Depth=2
	global_load_ubyte v4, v33, s[16:17]
	s_waitcnt vmcnt(0)
	v_and_b32_e32 v32, 0xffff, v4
	v_lshlrev_b64 v[4:5], s14, v[32:33]
	s_add_u32 s14, s14, 8
	s_addc_u32 s15, s15, 0
	s_add_u32 s16, s16, 1
	s_addc_u32 s17, s17, 0
	v_or_b32_e32 v10, v4, v10
	s_cmp_lg_u32 s12, s14
	v_or_b32_e32 v11, v5, v11
	s_cbranch_scc1 .LBB73_147
.LBB73_148:                             ;   in Loop: Header=BB73_144 Depth=1
	s_mov_b32 s16, 0
	s_andn2_b64 vcc, exec, s[0:1]
	s_mov_b64 s[0:1], s[6:7]
	s_cbranch_vccz .LBB73_150
	s_branch .LBB73_151
.LBB73_149:                             ;   in Loop: Header=BB73_144 Depth=1
                                        ; implicit-def: $vgpr10_vgpr11
                                        ; implicit-def: $sgpr16
	s_mov_b64 s[0:1], s[6:7]
.LBB73_150:                             ;   in Loop: Header=BB73_144 Depth=1
	global_load_dwordx2 v[10:11], v33, s[6:7]
	s_add_i32 s16, s10, -8
	s_add_u32 s0, s6, 8
	s_addc_u32 s1, s7, 0
.LBB73_151:                             ;   in Loop: Header=BB73_144 Depth=1
	s_cmp_gt_u32 s16, 7
	s_cbranch_scc1 .LBB73_155
; %bb.152:                              ;   in Loop: Header=BB73_144 Depth=1
	s_cmp_eq_u32 s16, 0
	s_cbranch_scc1 .LBB73_156
; %bb.153:                              ;   in Loop: Header=BB73_144 Depth=1
	s_mov_b64 s[12:13], 0
	v_mov_b64_e32 v[12:13], 0
	s_mov_b64 s[14:15], 0
.LBB73_154:                             ;   Parent Loop BB73_144 Depth=1
                                        ; =>  This Inner Loop Header: Depth=2
	s_add_u32 s18, s0, s14
	s_addc_u32 s19, s1, s15
	global_load_ubyte v4, v33, s[18:19]
	s_add_u32 s14, s14, 1
	s_addc_u32 s15, s15, 0
	s_waitcnt vmcnt(0)
	v_and_b32_e32 v32, 0xffff, v4
	v_lshlrev_b64 v[4:5], s12, v[32:33]
	s_add_u32 s12, s12, 8
	s_addc_u32 s13, s13, 0
	v_or_b32_e32 v12, v4, v12
	s_cmp_lg_u32 s16, s14
	v_or_b32_e32 v13, v5, v13
	s_cbranch_scc1 .LBB73_154
	s_branch .LBB73_157
.LBB73_155:                             ;   in Loop: Header=BB73_144 Depth=1
                                        ; implicit-def: $vgpr12_vgpr13
                                        ; implicit-def: $sgpr17
	s_branch .LBB73_158
.LBB73_156:                             ;   in Loop: Header=BB73_144 Depth=1
	v_mov_b64_e32 v[12:13], 0
.LBB73_157:                             ;   in Loop: Header=BB73_144 Depth=1
	s_mov_b32 s17, 0
	s_cbranch_execnz .LBB73_159
.LBB73_158:                             ;   in Loop: Header=BB73_144 Depth=1
	global_load_dwordx2 v[12:13], v33, s[0:1]
	s_add_i32 s17, s16, -8
	s_add_u32 s0, s0, 8
	s_addc_u32 s1, s1, 0
.LBB73_159:                             ;   in Loop: Header=BB73_144 Depth=1
	s_cmp_gt_u32 s17, 7
	s_cbranch_scc1 .LBB73_163
; %bb.160:                              ;   in Loop: Header=BB73_144 Depth=1
	s_cmp_eq_u32 s17, 0
	s_cbranch_scc1 .LBB73_164
; %bb.161:                              ;   in Loop: Header=BB73_144 Depth=1
	s_mov_b64 s[12:13], 0
	v_mov_b64_e32 v[14:15], 0
	s_mov_b64 s[14:15], 0
.LBB73_162:                             ;   Parent Loop BB73_144 Depth=1
                                        ; =>  This Inner Loop Header: Depth=2
	s_add_u32 s18, s0, s14
	s_addc_u32 s19, s1, s15
	global_load_ubyte v4, v33, s[18:19]
	s_add_u32 s14, s14, 1
	s_addc_u32 s15, s15, 0
	s_waitcnt vmcnt(0)
	v_and_b32_e32 v32, 0xffff, v4
	v_lshlrev_b64 v[4:5], s12, v[32:33]
	s_add_u32 s12, s12, 8
	s_addc_u32 s13, s13, 0
	v_or_b32_e32 v14, v4, v14
	s_cmp_lg_u32 s17, s14
	v_or_b32_e32 v15, v5, v15
	s_cbranch_scc1 .LBB73_162
	s_branch .LBB73_165
.LBB73_163:                             ;   in Loop: Header=BB73_144 Depth=1
                                        ; implicit-def: $sgpr16
	s_branch .LBB73_166
.LBB73_164:                             ;   in Loop: Header=BB73_144 Depth=1
	v_mov_b64_e32 v[14:15], 0
.LBB73_165:                             ;   in Loop: Header=BB73_144 Depth=1
	s_mov_b32 s16, 0
	s_cbranch_execnz .LBB73_167
.LBB73_166:                             ;   in Loop: Header=BB73_144 Depth=1
	global_load_dwordx2 v[14:15], v33, s[0:1]
	s_add_i32 s16, s17, -8
	s_add_u32 s0, s0, 8
	s_addc_u32 s1, s1, 0
.LBB73_167:                             ;   in Loop: Header=BB73_144 Depth=1
	s_cmp_gt_u32 s16, 7
	s_cbranch_scc1 .LBB73_171
; %bb.168:                              ;   in Loop: Header=BB73_144 Depth=1
	s_cmp_eq_u32 s16, 0
	s_cbranch_scc1 .LBB73_172
; %bb.169:                              ;   in Loop: Header=BB73_144 Depth=1
	s_mov_b64 s[12:13], 0
	v_mov_b64_e32 v[16:17], 0
	s_mov_b64 s[14:15], 0
.LBB73_170:                             ;   Parent Loop BB73_144 Depth=1
                                        ; =>  This Inner Loop Header: Depth=2
	s_add_u32 s18, s0, s14
	s_addc_u32 s19, s1, s15
	global_load_ubyte v4, v33, s[18:19]
	s_add_u32 s14, s14, 1
	s_addc_u32 s15, s15, 0
	s_waitcnt vmcnt(0)
	v_and_b32_e32 v32, 0xffff, v4
	v_lshlrev_b64 v[4:5], s12, v[32:33]
	s_add_u32 s12, s12, 8
	s_addc_u32 s13, s13, 0
	v_or_b32_e32 v16, v4, v16
	s_cmp_lg_u32 s16, s14
	v_or_b32_e32 v17, v5, v17
	s_cbranch_scc1 .LBB73_170
	s_branch .LBB73_173
.LBB73_171:                             ;   in Loop: Header=BB73_144 Depth=1
                                        ; implicit-def: $vgpr16_vgpr17
                                        ; implicit-def: $sgpr17
	s_branch .LBB73_174
.LBB73_172:                             ;   in Loop: Header=BB73_144 Depth=1
	v_mov_b64_e32 v[16:17], 0
.LBB73_173:                             ;   in Loop: Header=BB73_144 Depth=1
	s_mov_b32 s17, 0
	s_cbranch_execnz .LBB73_175
.LBB73_174:                             ;   in Loop: Header=BB73_144 Depth=1
	global_load_dwordx2 v[16:17], v33, s[0:1]
	s_add_i32 s17, s16, -8
	s_add_u32 s0, s0, 8
	s_addc_u32 s1, s1, 0
.LBB73_175:                             ;   in Loop: Header=BB73_144 Depth=1
	s_cmp_gt_u32 s17, 7
	s_cbranch_scc1 .LBB73_179
; %bb.176:                              ;   in Loop: Header=BB73_144 Depth=1
	s_cmp_eq_u32 s17, 0
	s_cbranch_scc1 .LBB73_180
; %bb.177:                              ;   in Loop: Header=BB73_144 Depth=1
	s_mov_b64 s[12:13], 0
	v_mov_b64_e32 v[18:19], 0
	s_mov_b64 s[14:15], 0
.LBB73_178:                             ;   Parent Loop BB73_144 Depth=1
                                        ; =>  This Inner Loop Header: Depth=2
	s_add_u32 s18, s0, s14
	s_addc_u32 s19, s1, s15
	global_load_ubyte v4, v33, s[18:19]
	s_add_u32 s14, s14, 1
	s_addc_u32 s15, s15, 0
	s_waitcnt vmcnt(0)
	v_and_b32_e32 v32, 0xffff, v4
	v_lshlrev_b64 v[4:5], s12, v[32:33]
	s_add_u32 s12, s12, 8
	s_addc_u32 s13, s13, 0
	v_or_b32_e32 v18, v4, v18
	s_cmp_lg_u32 s17, s14
	v_or_b32_e32 v19, v5, v19
	s_cbranch_scc1 .LBB73_178
	s_branch .LBB73_181
.LBB73_179:                             ;   in Loop: Header=BB73_144 Depth=1
                                        ; implicit-def: $sgpr16
	s_branch .LBB73_182
.LBB73_180:                             ;   in Loop: Header=BB73_144 Depth=1
	v_mov_b64_e32 v[18:19], 0
.LBB73_181:                             ;   in Loop: Header=BB73_144 Depth=1
	s_mov_b32 s16, 0
	s_cbranch_execnz .LBB73_183
.LBB73_182:                             ;   in Loop: Header=BB73_144 Depth=1
	global_load_dwordx2 v[18:19], v33, s[0:1]
	s_add_i32 s16, s17, -8
	s_add_u32 s0, s0, 8
	s_addc_u32 s1, s1, 0
.LBB73_183:                             ;   in Loop: Header=BB73_144 Depth=1
	s_cmp_gt_u32 s16, 7
	s_cbranch_scc1 .LBB73_187
; %bb.184:                              ;   in Loop: Header=BB73_144 Depth=1
	s_cmp_eq_u32 s16, 0
	s_cbranch_scc1 .LBB73_188
; %bb.185:                              ;   in Loop: Header=BB73_144 Depth=1
	s_mov_b64 s[12:13], 0
	v_mov_b64_e32 v[20:21], 0
	s_mov_b64 s[14:15], 0
.LBB73_186:                             ;   Parent Loop BB73_144 Depth=1
                                        ; =>  This Inner Loop Header: Depth=2
	s_add_u32 s18, s0, s14
	s_addc_u32 s19, s1, s15
	global_load_ubyte v4, v33, s[18:19]
	s_add_u32 s14, s14, 1
	s_addc_u32 s15, s15, 0
	s_waitcnt vmcnt(0)
	v_and_b32_e32 v32, 0xffff, v4
	v_lshlrev_b64 v[4:5], s12, v[32:33]
	s_add_u32 s12, s12, 8
	s_addc_u32 s13, s13, 0
	v_or_b32_e32 v20, v4, v20
	s_cmp_lg_u32 s16, s14
	v_or_b32_e32 v21, v5, v21
	s_cbranch_scc1 .LBB73_186
	s_branch .LBB73_189
.LBB73_187:                             ;   in Loop: Header=BB73_144 Depth=1
                                        ; implicit-def: $vgpr20_vgpr21
                                        ; implicit-def: $sgpr17
	s_branch .LBB73_190
.LBB73_188:                             ;   in Loop: Header=BB73_144 Depth=1
	v_mov_b64_e32 v[20:21], 0
.LBB73_189:                             ;   in Loop: Header=BB73_144 Depth=1
	s_mov_b32 s17, 0
	s_cbranch_execnz .LBB73_191
.LBB73_190:                             ;   in Loop: Header=BB73_144 Depth=1
	global_load_dwordx2 v[20:21], v33, s[0:1]
	s_add_i32 s17, s16, -8
	s_add_u32 s0, s0, 8
	s_addc_u32 s1, s1, 0
.LBB73_191:                             ;   in Loop: Header=BB73_144 Depth=1
	s_cmp_gt_u32 s17, 7
	s_cbranch_scc1 .LBB73_195
; %bb.192:                              ;   in Loop: Header=BB73_144 Depth=1
	s_cmp_eq_u32 s17, 0
	s_cbranch_scc1 .LBB73_196
; %bb.193:                              ;   in Loop: Header=BB73_144 Depth=1
	s_mov_b64 s[12:13], 0
	v_mov_b64_e32 v[22:23], 0
	s_mov_b64 s[14:15], s[0:1]
.LBB73_194:                             ;   Parent Loop BB73_144 Depth=1
                                        ; =>  This Inner Loop Header: Depth=2
	global_load_ubyte v4, v33, s[14:15]
	s_add_i32 s17, s17, -1
	s_waitcnt vmcnt(0)
	v_and_b32_e32 v32, 0xffff, v4
	v_lshlrev_b64 v[4:5], s12, v[32:33]
	s_add_u32 s12, s12, 8
	s_addc_u32 s13, s13, 0
	s_add_u32 s14, s14, 1
	s_addc_u32 s15, s15, 0
	v_or_b32_e32 v22, v4, v22
	s_cmp_lg_u32 s17, 0
	v_or_b32_e32 v23, v5, v23
	s_cbranch_scc1 .LBB73_194
	s_branch .LBB73_197
.LBB73_195:                             ;   in Loop: Header=BB73_144 Depth=1
	s_branch .LBB73_198
.LBB73_196:                             ;   in Loop: Header=BB73_144 Depth=1
	v_mov_b64_e32 v[22:23], 0
.LBB73_197:                             ;   in Loop: Header=BB73_144 Depth=1
	s_cbranch_execnz .LBB73_199
.LBB73_198:                             ;   in Loop: Header=BB73_144 Depth=1
	global_load_dwordx2 v[22:23], v33, s[0:1]
.LBB73_199:                             ;   in Loop: Header=BB73_144 Depth=1
	v_readfirstlane_b32 s0, v36
	s_waitcnt vmcnt(0)
	v_mov_b64_e32 v[4:5], 0
	v_cmp_eq_u32_e64 s[0:1], s0, v36
	s_and_saveexec_b64 s[12:13], s[0:1]
	s_cbranch_execz .LBB73_205
; %bb.200:                              ;   in Loop: Header=BB73_144 Depth=1
	global_load_dwordx2 v[26:27], v33, s[2:3] offset:24 sc0 sc1
	s_waitcnt vmcnt(0)
	buffer_inv sc0 sc1
	global_load_dwordx2 v[4:5], v33, s[2:3] offset:40
	global_load_dwordx2 v[8:9], v33, s[2:3]
	s_waitcnt vmcnt(1)
	v_and_b32_e32 v4, v4, v26
	v_and_b32_e32 v5, v5, v27
	v_mul_lo_u32 v5, v5, 24
	v_mul_hi_u32 v24, v4, 24
	v_add_u32_e32 v5, v24, v5
	v_mul_lo_u32 v4, v4, 24
	s_waitcnt vmcnt(0)
	v_lshl_add_u64 v[4:5], v[8:9], 0, v[4:5]
	global_load_dwordx2 v[24:25], v[4:5], off sc0 sc1
	s_waitcnt vmcnt(0)
	global_atomic_cmpswap_x2 v[4:5], v33, v[24:27], s[2:3] offset:24 sc0 sc1
	s_waitcnt vmcnt(0)
	buffer_inv sc0 sc1
	v_cmp_ne_u64_e32 vcc, v[4:5], v[26:27]
	s_and_saveexec_b64 s[14:15], vcc
	s_cbranch_execz .LBB73_204
; %bb.201:                              ;   in Loop: Header=BB73_144 Depth=1
	s_mov_b64 s[16:17], 0
.LBB73_202:                             ;   Parent Loop BB73_144 Depth=1
                                        ; =>  This Inner Loop Header: Depth=2
	s_sleep 1
	global_load_dwordx2 v[8:9], v33, s[2:3] offset:40
	global_load_dwordx2 v[24:25], v33, s[2:3]
	v_mov_b64_e32 v[26:27], v[4:5]
	s_waitcnt vmcnt(1)
	v_and_b32_e32 v4, v8, v26
	s_waitcnt vmcnt(0)
	v_mad_u64_u32 v[4:5], s[18:19], v4, 24, v[24:25]
	v_and_b32_e32 v9, v9, v27
	v_mov_b32_e32 v8, v5
	v_mad_u64_u32 v[8:9], s[18:19], v9, 24, v[8:9]
	v_mov_b32_e32 v5, v8
	global_load_dwordx2 v[24:25], v[4:5], off sc0 sc1
	s_waitcnt vmcnt(0)
	global_atomic_cmpswap_x2 v[4:5], v33, v[24:27], s[2:3] offset:24 sc0 sc1
	s_waitcnt vmcnt(0)
	buffer_inv sc0 sc1
	v_cmp_eq_u64_e32 vcc, v[4:5], v[26:27]
	s_or_b64 s[16:17], vcc, s[16:17]
	s_andn2_b64 exec, exec, s[16:17]
	s_cbranch_execnz .LBB73_202
; %bb.203:                              ;   in Loop: Header=BB73_144 Depth=1
	s_or_b64 exec, exec, s[16:17]
.LBB73_204:                             ;   in Loop: Header=BB73_144 Depth=1
	s_or_b64 exec, exec, s[14:15]
.LBB73_205:                             ;   in Loop: Header=BB73_144 Depth=1
	s_or_b64 exec, exec, s[12:13]
	global_load_dwordx2 v[8:9], v33, s[2:3] offset:40
	global_load_dwordx4 v[24:27], v33, s[2:3]
	v_readfirstlane_b32 s12, v4
	v_readfirstlane_b32 s13, v5
	s_mov_b64 s[14:15], exec
	s_waitcnt vmcnt(1)
	v_readfirstlane_b32 s16, v8
	v_readfirstlane_b32 s17, v9
	s_and_b64 s[16:17], s[12:13], s[16:17]
	s_mul_i32 s18, s17, 24
	s_mul_hi_u32 s19, s16, 24
	s_add_i32 s19, s19, s18
	s_mul_i32 s18, s16, 24
	s_waitcnt vmcnt(0)
	v_lshl_add_u64 v[34:35], v[24:25], 0, s[18:19]
	s_and_saveexec_b64 s[18:19], s[0:1]
	s_cbranch_execz .LBB73_207
; %bb.206:                              ;   in Loop: Header=BB73_144 Depth=1
	v_mov_b64_e32 v[4:5], s[14:15]
	global_store_dwordx4 v[34:35], v[4:7], off offset:8
.LBB73_207:                             ;   in Loop: Header=BB73_144 Depth=1
	s_or_b64 exec, exec, s[18:19]
	s_lshl_b64 s[14:15], s[16:17], 12
	v_lshl_add_u64 v[26:27], v[26:27], 0, s[14:15]
	v_or_b32_e32 v5, v2, v30
	v_cmp_gt_u64_e64 vcc, s[4:5], 56
	s_lshl_b32 s14, s10, 2
	s_add_i32 s14, s14, 28
	v_cndmask_b32_e32 v2, v5, v2, vcc
	v_or_b32_e32 v4, 0, v3
	s_and_b32 s14, s14, 0x1e0
	v_and_b32_e32 v2, 0xffffff1f, v2
	v_cndmask_b32_e32 v9, v4, v3, vcc
	v_or_b32_e32 v8, s14, v2
	v_readfirstlane_b32 s14, v26
	v_readfirstlane_b32 s15, v27
	s_nop 4
	global_store_dwordx4 v28, v[8:11], s[14:15]
	global_store_dwordx4 v28, v[12:15], s[14:15] offset:16
	global_store_dwordx4 v28, v[16:19], s[14:15] offset:32
	;; [unrolled: 1-line block ×3, first 2 shown]
	s_and_saveexec_b64 s[14:15], s[0:1]
	s_cbranch_execz .LBB73_215
; %bb.208:                              ;   in Loop: Header=BB73_144 Depth=1
	global_load_dwordx2 v[12:13], v33, s[2:3] offset:32 sc0 sc1
	global_load_dwordx2 v[2:3], v33, s[2:3] offset:40
	v_mov_b32_e32 v10, s12
	v_mov_b32_e32 v11, s13
	s_waitcnt vmcnt(0)
	v_readfirstlane_b32 s16, v2
	v_readfirstlane_b32 s17, v3
	s_and_b64 s[16:17], s[16:17], s[12:13]
	s_mul_i32 s17, s17, 24
	s_mul_hi_u32 s18, s16, 24
	s_mul_i32 s16, s16, 24
	s_add_i32 s17, s18, s17
	v_lshl_add_u64 v[8:9], v[24:25], 0, s[16:17]
	global_store_dwordx2 v[8:9], v[12:13], off
	buffer_wbl2 sc0 sc1
	s_waitcnt vmcnt(0)
	global_atomic_cmpswap_x2 v[4:5], v33, v[10:13], s[2:3] offset:32 sc0 sc1
	s_waitcnt vmcnt(0)
	v_cmp_ne_u64_e32 vcc, v[4:5], v[12:13]
	s_and_saveexec_b64 s[16:17], vcc
	s_cbranch_execz .LBB73_211
; %bb.209:                              ;   in Loop: Header=BB73_144 Depth=1
	s_mov_b64 s[18:19], 0
.LBB73_210:                             ;   Parent Loop BB73_144 Depth=1
                                        ; =>  This Inner Loop Header: Depth=2
	s_sleep 1
	global_store_dwordx2 v[8:9], v[4:5], off
	v_mov_b32_e32 v2, s12
	v_mov_b32_e32 v3, s13
	buffer_wbl2 sc0 sc1
	s_waitcnt vmcnt(0)
	global_atomic_cmpswap_x2 v[2:3], v33, v[2:5], s[2:3] offset:32 sc0 sc1
	s_waitcnt vmcnt(0)
	v_cmp_eq_u64_e32 vcc, v[2:3], v[4:5]
	s_or_b64 s[18:19], vcc, s[18:19]
	v_mov_b64_e32 v[4:5], v[2:3]
	s_andn2_b64 exec, exec, s[18:19]
	s_cbranch_execnz .LBB73_210
.LBB73_211:                             ;   in Loop: Header=BB73_144 Depth=1
	s_or_b64 exec, exec, s[16:17]
	global_load_dwordx2 v[2:3], v33, s[2:3] offset:16
	s_mov_b64 s[18:19], exec
	v_mbcnt_lo_u32_b32 v4, s18, 0
	v_mbcnt_hi_u32_b32 v4, s19, v4
	v_cmp_eq_u32_e32 vcc, 0, v4
	s_and_saveexec_b64 s[16:17], vcc
	s_cbranch_execz .LBB73_213
; %bb.212:                              ;   in Loop: Header=BB73_144 Depth=1
	s_bcnt1_i32_b64 s18, s[18:19]
	v_mov_b32_e32 v32, s18
	buffer_wbl2 sc0 sc1
	s_waitcnt vmcnt(0)
	global_atomic_add_x2 v[2:3], v[32:33], off offset:8 sc1
.LBB73_213:                             ;   in Loop: Header=BB73_144 Depth=1
	s_or_b64 exec, exec, s[16:17]
	s_waitcnt vmcnt(0)
	global_load_dwordx2 v[4:5], v[2:3], off offset:16
	s_waitcnt vmcnt(0)
	v_cmp_eq_u64_e32 vcc, 0, v[4:5]
	s_cbranch_vccnz .LBB73_215
; %bb.214:                              ;   in Loop: Header=BB73_144 Depth=1
	global_load_dword v32, v[2:3], off offset:24
	s_waitcnt vmcnt(0)
	v_and_b32_e32 v2, 0xffffff, v32
	s_nop 0
	v_readfirstlane_b32 m0, v2
	buffer_wbl2 sc0 sc1
	global_store_dwordx2 v[4:5], v[32:33], off sc0 sc1
	s_sendmsg sendmsg(MSG_INTERRUPT)
.LBB73_215:                             ;   in Loop: Header=BB73_144 Depth=1
	s_or_b64 exec, exec, s[14:15]
	v_mov_b32_e32 v29, v33
	v_lshl_add_u64 v[2:3], v[26:27], 0, v[28:29]
	s_branch .LBB73_219
.LBB73_216:                             ;   in Loop: Header=BB73_219 Depth=2
	s_or_b64 exec, exec, s[14:15]
	v_readfirstlane_b32 s14, v4
	s_cmp_eq_u32 s14, 0
	s_cbranch_scc1 .LBB73_218
; %bb.217:                              ;   in Loop: Header=BB73_219 Depth=2
	s_sleep 1
	s_cbranch_execnz .LBB73_219
	s_branch .LBB73_221
.LBB73_218:                             ;   in Loop: Header=BB73_144 Depth=1
	s_branch .LBB73_221
.LBB73_219:                             ;   Parent Loop BB73_144 Depth=1
                                        ; =>  This Inner Loop Header: Depth=2
	v_mov_b32_e32 v4, 1
	s_and_saveexec_b64 s[14:15], s[0:1]
	s_cbranch_execz .LBB73_216
; %bb.220:                              ;   in Loop: Header=BB73_219 Depth=2
	global_load_dword v4, v[34:35], off offset:20 sc0 sc1
	s_waitcnt vmcnt(0)
	buffer_inv sc0 sc1
	v_and_b32_e32 v4, 1, v4
	s_branch .LBB73_216
.LBB73_221:                             ;   in Loop: Header=BB73_144 Depth=1
	global_load_dwordx4 v[2:5], v[2:3], off
	s_and_saveexec_b64 s[14:15], s[0:1]
	s_cbranch_execz .LBB73_143
; %bb.222:                              ;   in Loop: Header=BB73_144 Depth=1
	global_load_dwordx2 v[4:5], v33, s[2:3] offset:40
	global_load_dwordx2 v[12:13], v33, s[2:3] offset:24 sc0 sc1
	global_load_dwordx2 v[14:15], v33, s[2:3]
	s_waitcnt vmcnt(2)
	v_lshl_add_u64 v[8:9], v[4:5], 0, 1
	v_lshl_add_u64 v[16:17], v[8:9], 0, s[12:13]
	v_cmp_eq_u64_e32 vcc, 0, v[16:17]
	s_waitcnt vmcnt(1)
	v_mov_b32_e32 v10, v12
	v_cndmask_b32_e32 v9, v17, v9, vcc
	v_cndmask_b32_e32 v8, v16, v8, vcc
	v_and_b32_e32 v5, v9, v5
	v_and_b32_e32 v4, v8, v4
	v_mul_lo_u32 v5, v5, 24
	v_mul_hi_u32 v11, v4, 24
	v_mul_lo_u32 v4, v4, 24
	v_add_u32_e32 v5, v11, v5
	s_waitcnt vmcnt(0)
	v_lshl_add_u64 v[4:5], v[14:15], 0, v[4:5]
	global_store_dwordx2 v[4:5], v[12:13], off
	v_mov_b32_e32 v11, v13
	buffer_wbl2 sc0 sc1
	s_waitcnt vmcnt(0)
	global_atomic_cmpswap_x2 v[10:11], v33, v[8:11], s[2:3] offset:24 sc0 sc1
	s_waitcnt vmcnt(0)
	v_cmp_ne_u64_e32 vcc, v[10:11], v[12:13]
	s_and_b64 exec, exec, vcc
	s_cbranch_execz .LBB73_143
; %bb.223:                              ;   in Loop: Header=BB73_144 Depth=1
	s_mov_b64 s[0:1], 0
.LBB73_224:                             ;   Parent Loop BB73_144 Depth=1
                                        ; =>  This Inner Loop Header: Depth=2
	s_sleep 1
	global_store_dwordx2 v[4:5], v[10:11], off
	buffer_wbl2 sc0 sc1
	s_waitcnt vmcnt(0)
	global_atomic_cmpswap_x2 v[12:13], v33, v[8:11], s[2:3] offset:24 sc0 sc1
	s_waitcnt vmcnt(0)
	v_cmp_eq_u64_e32 vcc, v[12:13], v[10:11]
	s_or_b64 s[0:1], vcc, s[0:1]
	v_mov_b64_e32 v[10:11], v[12:13]
	s_andn2_b64 exec, exec, s[0:1]
	s_cbranch_execnz .LBB73_224
	s_branch .LBB73_143
.LBB73_225:
                                        ; implicit-def: $vgpr2_vgpr3
	s_cbranch_execnz .LBB73_227
	s_branch .LBB73_253
.LBB73_226:
	s_branch .LBB73_253
.LBB73_227:
	v_readfirstlane_b32 s0, v36
	s_waitcnt vmcnt(0)
	v_mov_b64_e32 v[2:3], 0
	v_cmp_eq_u32_e64 s[0:1], s0, v36
	s_and_saveexec_b64 s[4:5], s[0:1]
	s_cbranch_execz .LBB73_233
; %bb.228:
	v_mov_b32_e32 v4, 0
	global_load_dwordx2 v[8:9], v4, s[2:3] offset:24 sc0 sc1
	s_waitcnt vmcnt(0)
	buffer_inv sc0 sc1
	global_load_dwordx2 v[2:3], v4, s[2:3] offset:40
	global_load_dwordx2 v[6:7], v4, s[2:3]
	s_waitcnt vmcnt(1)
	v_and_b32_e32 v2, v2, v8
	v_and_b32_e32 v3, v3, v9
	v_mul_lo_u32 v3, v3, 24
	v_mul_hi_u32 v5, v2, 24
	v_add_u32_e32 v3, v5, v3
	v_mul_lo_u32 v2, v2, 24
	s_waitcnt vmcnt(0)
	v_lshl_add_u64 v[2:3], v[6:7], 0, v[2:3]
	global_load_dwordx2 v[6:7], v[2:3], off sc0 sc1
	s_waitcnt vmcnt(0)
	global_atomic_cmpswap_x2 v[2:3], v4, v[6:9], s[2:3] offset:24 sc0 sc1
	s_waitcnt vmcnt(0)
	buffer_inv sc0 sc1
	v_cmp_ne_u64_e32 vcc, v[2:3], v[8:9]
	s_and_saveexec_b64 s[6:7], vcc
	s_cbranch_execz .LBB73_232
; %bb.229:
	s_mov_b64 s[10:11], 0
.LBB73_230:                             ; =>This Inner Loop Header: Depth=1
	s_sleep 1
	global_load_dwordx2 v[6:7], v4, s[2:3] offset:40
	global_load_dwordx2 v[10:11], v4, s[2:3]
	v_mov_b64_e32 v[8:9], v[2:3]
	s_waitcnt vmcnt(1)
	v_and_b32_e32 v2, v6, v8
	s_waitcnt vmcnt(0)
	v_mad_u64_u32 v[2:3], s[12:13], v2, 24, v[10:11]
	v_and_b32_e32 v5, v7, v9
	v_mov_b32_e32 v6, v3
	v_mad_u64_u32 v[6:7], s[12:13], v5, 24, v[6:7]
	v_mov_b32_e32 v3, v6
	global_load_dwordx2 v[6:7], v[2:3], off sc0 sc1
	s_waitcnt vmcnt(0)
	global_atomic_cmpswap_x2 v[2:3], v4, v[6:9], s[2:3] offset:24 sc0 sc1
	s_waitcnt vmcnt(0)
	buffer_inv sc0 sc1
	v_cmp_eq_u64_e32 vcc, v[2:3], v[8:9]
	s_or_b64 s[10:11], vcc, s[10:11]
	s_andn2_b64 exec, exec, s[10:11]
	s_cbranch_execnz .LBB73_230
; %bb.231:
	s_or_b64 exec, exec, s[10:11]
.LBB73_232:
	s_or_b64 exec, exec, s[6:7]
.LBB73_233:
	s_or_b64 exec, exec, s[4:5]
	v_mov_b32_e32 v29, 0
	global_load_dwordx2 v[8:9], v29, s[2:3] offset:40
	global_load_dwordx4 v[4:7], v29, s[2:3]
	v_readfirstlane_b32 s4, v2
	v_readfirstlane_b32 s5, v3
	s_mov_b64 s[6:7], exec
	s_waitcnt vmcnt(1)
	v_readfirstlane_b32 s10, v8
	v_readfirstlane_b32 s11, v9
	s_and_b64 s[10:11], s[4:5], s[10:11]
	s_mul_i32 s12, s11, 24
	s_mul_hi_u32 s13, s10, 24
	s_add_i32 s13, s13, s12
	s_mul_i32 s12, s10, 24
	s_waitcnt vmcnt(0)
	v_lshl_add_u64 v[8:9], v[4:5], 0, s[12:13]
	s_and_saveexec_b64 s[12:13], s[0:1]
	s_cbranch_execz .LBB73_235
; %bb.234:
	v_mov_b64_e32 v[10:11], s[6:7]
	v_mov_b32_e32 v12, 2
	v_mov_b32_e32 v13, 1
	global_store_dwordx4 v[8:9], v[10:13], off offset:8
.LBB73_235:
	s_or_b64 exec, exec, s[12:13]
	s_lshl_b64 s[6:7], s[10:11], 12
	v_lshl_add_u64 v[6:7], v[6:7], 0, s[6:7]
	s_movk_i32 s6, 0xff1f
	s_mov_b32 s12, 0
	v_and_or_b32 v0, v0, s6, 32
	v_mov_b32_e32 v2, v29
	v_mov_b32_e32 v3, v29
	v_readfirstlane_b32 s6, v6
	v_readfirstlane_b32 s7, v7
	s_mov_b32 s13, s12
	s_mov_b32 s14, s12
	;; [unrolled: 1-line block ×3, first 2 shown]
	s_nop 1
	global_store_dwordx4 v28, v[0:3], s[6:7]
	s_nop 1
	v_mov_b64_e32 v[0:1], s[12:13]
	v_mov_b64_e32 v[2:3], s[14:15]
	global_store_dwordx4 v28, v[0:3], s[6:7] offset:16
	global_store_dwordx4 v28, v[0:3], s[6:7] offset:32
	global_store_dwordx4 v28, v[0:3], s[6:7] offset:48
	s_and_saveexec_b64 s[6:7], s[0:1]
	s_cbranch_execz .LBB73_243
; %bb.236:
	v_mov_b32_e32 v10, 0
	global_load_dwordx2 v[14:15], v10, s[2:3] offset:32 sc0 sc1
	global_load_dwordx2 v[0:1], v10, s[2:3] offset:40
	v_mov_b32_e32 v12, s4
	v_mov_b32_e32 v13, s5
	s_waitcnt vmcnt(0)
	v_readfirstlane_b32 s10, v0
	v_readfirstlane_b32 s11, v1
	s_and_b64 s[10:11], s[10:11], s[4:5]
	s_mul_i32 s11, s11, 24
	s_mul_hi_u32 s12, s10, 24
	s_mul_i32 s10, s10, 24
	s_add_i32 s11, s12, s11
	v_lshl_add_u64 v[4:5], v[4:5], 0, s[10:11]
	global_store_dwordx2 v[4:5], v[14:15], off
	buffer_wbl2 sc0 sc1
	s_waitcnt vmcnt(0)
	global_atomic_cmpswap_x2 v[2:3], v10, v[12:15], s[2:3] offset:32 sc0 sc1
	s_waitcnt vmcnt(0)
	v_cmp_ne_u64_e32 vcc, v[2:3], v[14:15]
	s_and_saveexec_b64 s[10:11], vcc
	s_cbranch_execz .LBB73_239
; %bb.237:
	s_mov_b64 s[12:13], 0
.LBB73_238:                             ; =>This Inner Loop Header: Depth=1
	s_sleep 1
	global_store_dwordx2 v[4:5], v[2:3], off
	v_mov_b32_e32 v0, s4
	v_mov_b32_e32 v1, s5
	buffer_wbl2 sc0 sc1
	s_waitcnt vmcnt(0)
	global_atomic_cmpswap_x2 v[0:1], v10, v[0:3], s[2:3] offset:32 sc0 sc1
	s_waitcnt vmcnt(0)
	v_cmp_eq_u64_e32 vcc, v[0:1], v[2:3]
	s_or_b64 s[12:13], vcc, s[12:13]
	v_mov_b64_e32 v[2:3], v[0:1]
	s_andn2_b64 exec, exec, s[12:13]
	s_cbranch_execnz .LBB73_238
.LBB73_239:
	s_or_b64 exec, exec, s[10:11]
	v_mov_b32_e32 v3, 0
	global_load_dwordx2 v[0:1], v3, s[2:3] offset:16
	s_mov_b64 s[10:11], exec
	v_mbcnt_lo_u32_b32 v2, s10, 0
	v_mbcnt_hi_u32_b32 v2, s11, v2
	v_cmp_eq_u32_e32 vcc, 0, v2
	s_and_saveexec_b64 s[12:13], vcc
	s_cbranch_execz .LBB73_241
; %bb.240:
	s_bcnt1_i32_b64 s10, s[10:11]
	v_mov_b32_e32 v2, s10
	buffer_wbl2 sc0 sc1
	s_waitcnt vmcnt(0)
	global_atomic_add_x2 v[0:1], v[2:3], off offset:8 sc1
.LBB73_241:
	s_or_b64 exec, exec, s[12:13]
	s_waitcnt vmcnt(0)
	global_load_dwordx2 v[2:3], v[0:1], off offset:16
	s_waitcnt vmcnt(0)
	v_cmp_eq_u64_e32 vcc, 0, v[2:3]
	s_cbranch_vccnz .LBB73_243
; %bb.242:
	global_load_dword v0, v[0:1], off offset:24
	v_mov_b32_e32 v1, 0
	buffer_wbl2 sc0 sc1
	s_waitcnt vmcnt(0)
	global_store_dwordx2 v[2:3], v[0:1], off sc0 sc1
	v_and_b32_e32 v0, 0xffffff, v0
	s_nop 0
	v_readfirstlane_b32 m0, v0
	s_sendmsg sendmsg(MSG_INTERRUPT)
.LBB73_243:
	s_or_b64 exec, exec, s[6:7]
	v_lshl_add_u64 v[0:1], v[6:7], 0, v[28:29]
	s_branch .LBB73_247
.LBB73_244:                             ;   in Loop: Header=BB73_247 Depth=1
	s_or_b64 exec, exec, s[6:7]
	v_readfirstlane_b32 s6, v2
	s_cmp_eq_u32 s6, 0
	s_cbranch_scc1 .LBB73_246
; %bb.245:                              ;   in Loop: Header=BB73_247 Depth=1
	s_sleep 1
	s_cbranch_execnz .LBB73_247
	s_branch .LBB73_249
.LBB73_246:
	s_branch .LBB73_249
.LBB73_247:                             ; =>This Inner Loop Header: Depth=1
	v_mov_b32_e32 v2, 1
	s_and_saveexec_b64 s[6:7], s[0:1]
	s_cbranch_execz .LBB73_244
; %bb.248:                              ;   in Loop: Header=BB73_247 Depth=1
	global_load_dword v2, v[8:9], off offset:20 sc0 sc1
	s_waitcnt vmcnt(0)
	buffer_inv sc0 sc1
	v_and_b32_e32 v2, 1, v2
	s_branch .LBB73_244
.LBB73_249:
	global_load_dwordx2 v[2:3], v[0:1], off
	s_and_saveexec_b64 s[6:7], s[0:1]
	s_cbranch_execz .LBB73_252
; %bb.250:
	v_mov_b32_e32 v8, 0
	global_load_dwordx2 v[0:1], v8, s[2:3] offset:40
	global_load_dwordx2 v[10:11], v8, s[2:3] offset:24 sc0 sc1
	global_load_dwordx2 v[12:13], v8, s[2:3]
	s_mov_b64 s[0:1], 0
	s_waitcnt vmcnt(2)
	v_lshl_add_u64 v[4:5], v[0:1], 0, 1
	v_lshl_add_u64 v[14:15], v[4:5], 0, s[4:5]
	v_cmp_eq_u64_e32 vcc, 0, v[14:15]
	s_waitcnt vmcnt(1)
	v_mov_b32_e32 v6, v10
	v_cndmask_b32_e32 v5, v15, v5, vcc
	v_cndmask_b32_e32 v4, v14, v4, vcc
	v_and_b32_e32 v1, v5, v1
	v_and_b32_e32 v0, v4, v0
	v_mul_lo_u32 v1, v1, 24
	v_mul_hi_u32 v7, v0, 24
	v_mul_lo_u32 v0, v0, 24
	v_add_u32_e32 v1, v7, v1
	s_waitcnt vmcnt(0)
	v_lshl_add_u64 v[0:1], v[12:13], 0, v[0:1]
	global_store_dwordx2 v[0:1], v[10:11], off
	v_mov_b32_e32 v7, v11
	buffer_wbl2 sc0 sc1
	s_waitcnt vmcnt(0)
	global_atomic_cmpswap_x2 v[6:7], v8, v[4:7], s[2:3] offset:24 sc0 sc1
	s_waitcnt vmcnt(0)
	v_cmp_ne_u64_e32 vcc, v[6:7], v[10:11]
	s_and_b64 exec, exec, vcc
	s_cbranch_execz .LBB73_252
.LBB73_251:                             ; =>This Inner Loop Header: Depth=1
	s_sleep 1
	global_store_dwordx2 v[0:1], v[6:7], off
	buffer_wbl2 sc0 sc1
	s_waitcnt vmcnt(0)
	global_atomic_cmpswap_x2 v[10:11], v8, v[4:7], s[2:3] offset:24 sc0 sc1
	s_waitcnt vmcnt(0)
	v_cmp_eq_u64_e32 vcc, v[10:11], v[6:7]
	s_or_b64 s[0:1], vcc, s[0:1]
	v_mov_b64_e32 v[6:7], v[10:11]
	s_andn2_b64 exec, exec, s[0:1]
	s_cbranch_execnz .LBB73_251
.LBB73_252:
	s_or_b64 exec, exec, s[6:7]
.LBB73_253:
	v_readfirstlane_b32 s0, v36
	s_waitcnt vmcnt(0)
	v_mov_b64_e32 v[0:1], 0
	v_cmp_eq_u32_e64 s[0:1], s0, v36
	s_and_saveexec_b64 s[4:5], s[0:1]
	s_cbranch_execz .LBB73_259
; %bb.254:
	v_mov_b32_e32 v4, 0
	global_load_dwordx2 v[8:9], v4, s[2:3] offset:24 sc0 sc1
	s_waitcnt vmcnt(0)
	buffer_inv sc0 sc1
	global_load_dwordx2 v[0:1], v4, s[2:3] offset:40
	global_load_dwordx2 v[6:7], v4, s[2:3]
	s_waitcnt vmcnt(1)
	v_and_b32_e32 v0, v0, v8
	v_and_b32_e32 v1, v1, v9
	v_mul_lo_u32 v1, v1, 24
	v_mul_hi_u32 v5, v0, 24
	v_add_u32_e32 v1, v5, v1
	v_mul_lo_u32 v0, v0, 24
	s_waitcnt vmcnt(0)
	v_lshl_add_u64 v[0:1], v[6:7], 0, v[0:1]
	global_load_dwordx2 v[6:7], v[0:1], off sc0 sc1
	s_waitcnt vmcnt(0)
	global_atomic_cmpswap_x2 v[0:1], v4, v[6:9], s[2:3] offset:24 sc0 sc1
	s_waitcnt vmcnt(0)
	buffer_inv sc0 sc1
	v_cmp_ne_u64_e32 vcc, v[0:1], v[8:9]
	s_and_saveexec_b64 s[6:7], vcc
	s_cbranch_execz .LBB73_258
; %bb.255:
	s_mov_b64 s[10:11], 0
.LBB73_256:                             ; =>This Inner Loop Header: Depth=1
	s_sleep 1
	global_load_dwordx2 v[6:7], v4, s[2:3] offset:40
	global_load_dwordx2 v[10:11], v4, s[2:3]
	v_mov_b64_e32 v[8:9], v[0:1]
	s_waitcnt vmcnt(1)
	v_and_b32_e32 v0, v6, v8
	s_waitcnt vmcnt(0)
	v_mad_u64_u32 v[0:1], s[12:13], v0, 24, v[10:11]
	v_and_b32_e32 v5, v7, v9
	v_mov_b32_e32 v6, v1
	v_mad_u64_u32 v[6:7], s[12:13], v5, 24, v[6:7]
	v_mov_b32_e32 v1, v6
	global_load_dwordx2 v[6:7], v[0:1], off sc0 sc1
	s_waitcnt vmcnt(0)
	global_atomic_cmpswap_x2 v[0:1], v4, v[6:9], s[2:3] offset:24 sc0 sc1
	s_waitcnt vmcnt(0)
	buffer_inv sc0 sc1
	v_cmp_eq_u64_e32 vcc, v[0:1], v[8:9]
	s_or_b64 s[10:11], vcc, s[10:11]
	s_andn2_b64 exec, exec, s[10:11]
	s_cbranch_execnz .LBB73_256
; %bb.257:
	s_or_b64 exec, exec, s[10:11]
.LBB73_258:
	s_or_b64 exec, exec, s[6:7]
.LBB73_259:
	s_or_b64 exec, exec, s[4:5]
	v_mov_b32_e32 v29, 0
	global_load_dwordx2 v[4:5], v29, s[2:3] offset:40
	global_load_dwordx4 v[6:9], v29, s[2:3]
	v_readfirstlane_b32 s4, v0
	v_readfirstlane_b32 s5, v1
	s_mov_b64 s[6:7], exec
	s_waitcnt vmcnt(1)
	v_readfirstlane_b32 s10, v4
	v_readfirstlane_b32 s11, v5
	s_and_b64 s[10:11], s[4:5], s[10:11]
	s_mul_i32 s12, s11, 24
	s_mul_hi_u32 s13, s10, 24
	s_add_i32 s13, s13, s12
	s_mul_i32 s12, s10, 24
	s_waitcnt vmcnt(0)
	v_lshl_add_u64 v[10:11], v[6:7], 0, s[12:13]
	s_and_saveexec_b64 s[12:13], s[0:1]
	s_cbranch_execz .LBB73_261
; %bb.260:
	v_mov_b64_e32 v[12:13], s[6:7]
	v_mov_b32_e32 v14, 2
	v_mov_b32_e32 v15, 1
	global_store_dwordx4 v[10:11], v[12:15], off offset:8
.LBB73_261:
	s_or_b64 exec, exec, s[12:13]
	s_lshl_b64 s[6:7], s[10:11], 12
	v_lshl_add_u64 v[8:9], v[8:9], 0, s[6:7]
	s_movk_i32 s6, 0xff1f
	s_mov_b32 s12, 0
	v_and_or_b32 v2, v2, s6, 32
	v_mov_b32_e32 v4, 0x347
	v_mov_b32_e32 v5, v29
	v_readfirstlane_b32 s6, v8
	v_readfirstlane_b32 s7, v9
	s_mov_b32 s13, s12
	s_mov_b32 s14, s12
	;; [unrolled: 1-line block ×3, first 2 shown]
	s_nop 1
	global_store_dwordx4 v28, v[2:5], s[6:7]
	v_mov_b64_e32 v[0:1], s[12:13]
	s_nop 0
	v_mov_b64_e32 v[2:3], s[14:15]
	global_store_dwordx4 v28, v[0:3], s[6:7] offset:16
	global_store_dwordx4 v28, v[0:3], s[6:7] offset:32
	;; [unrolled: 1-line block ×3, first 2 shown]
	s_and_saveexec_b64 s[6:7], s[0:1]
	s_cbranch_execz .LBB73_269
; %bb.262:
	v_mov_b32_e32 v12, 0
	global_load_dwordx2 v[16:17], v12, s[2:3] offset:32 sc0 sc1
	global_load_dwordx2 v[0:1], v12, s[2:3] offset:40
	v_mov_b32_e32 v14, s4
	v_mov_b32_e32 v15, s5
	s_waitcnt vmcnt(0)
	v_readfirstlane_b32 s10, v0
	v_readfirstlane_b32 s11, v1
	s_and_b64 s[10:11], s[10:11], s[4:5]
	s_mul_i32 s11, s11, 24
	s_mul_hi_u32 s12, s10, 24
	s_mul_i32 s10, s10, 24
	s_add_i32 s11, s12, s11
	v_lshl_add_u64 v[4:5], v[6:7], 0, s[10:11]
	global_store_dwordx2 v[4:5], v[16:17], off
	buffer_wbl2 sc0 sc1
	s_waitcnt vmcnt(0)
	global_atomic_cmpswap_x2 v[2:3], v12, v[14:17], s[2:3] offset:32 sc0 sc1
	s_waitcnt vmcnt(0)
	v_cmp_ne_u64_e32 vcc, v[2:3], v[16:17]
	s_and_saveexec_b64 s[10:11], vcc
	s_cbranch_execz .LBB73_265
; %bb.263:
	s_mov_b64 s[12:13], 0
.LBB73_264:                             ; =>This Inner Loop Header: Depth=1
	s_sleep 1
	global_store_dwordx2 v[4:5], v[2:3], off
	v_mov_b32_e32 v0, s4
	v_mov_b32_e32 v1, s5
	buffer_wbl2 sc0 sc1
	s_waitcnt vmcnt(0)
	global_atomic_cmpswap_x2 v[0:1], v12, v[0:3], s[2:3] offset:32 sc0 sc1
	s_waitcnt vmcnt(0)
	v_cmp_eq_u64_e32 vcc, v[0:1], v[2:3]
	s_or_b64 s[12:13], vcc, s[12:13]
	v_mov_b64_e32 v[2:3], v[0:1]
	s_andn2_b64 exec, exec, s[12:13]
	s_cbranch_execnz .LBB73_264
.LBB73_265:
	s_or_b64 exec, exec, s[10:11]
	v_mov_b32_e32 v3, 0
	global_load_dwordx2 v[0:1], v3, s[2:3] offset:16
	s_mov_b64 s[10:11], exec
	v_mbcnt_lo_u32_b32 v2, s10, 0
	v_mbcnt_hi_u32_b32 v2, s11, v2
	v_cmp_eq_u32_e32 vcc, 0, v2
	s_and_saveexec_b64 s[12:13], vcc
	s_cbranch_execz .LBB73_267
; %bb.266:
	s_bcnt1_i32_b64 s10, s[10:11]
	v_mov_b32_e32 v2, s10
	buffer_wbl2 sc0 sc1
	s_waitcnt vmcnt(0)
	global_atomic_add_x2 v[0:1], v[2:3], off offset:8 sc1
.LBB73_267:
	s_or_b64 exec, exec, s[12:13]
	s_waitcnt vmcnt(0)
	global_load_dwordx2 v[2:3], v[0:1], off offset:16
	s_waitcnt vmcnt(0)
	v_cmp_eq_u64_e32 vcc, 0, v[2:3]
	s_cbranch_vccnz .LBB73_269
; %bb.268:
	global_load_dword v0, v[0:1], off offset:24
	v_mov_b32_e32 v1, 0
	buffer_wbl2 sc0 sc1
	s_waitcnt vmcnt(0)
	global_store_dwordx2 v[2:3], v[0:1], off sc0 sc1
	v_and_b32_e32 v0, 0xffffff, v0
	s_nop 0
	v_readfirstlane_b32 m0, v0
	s_sendmsg sendmsg(MSG_INTERRUPT)
.LBB73_269:
	s_or_b64 exec, exec, s[6:7]
	v_lshl_add_u64 v[0:1], v[8:9], 0, v[28:29]
	s_branch .LBB73_273
.LBB73_270:                             ;   in Loop: Header=BB73_273 Depth=1
	s_or_b64 exec, exec, s[6:7]
	v_readfirstlane_b32 s6, v2
	s_cmp_eq_u32 s6, 0
	s_cbranch_scc1 .LBB73_272
; %bb.271:                              ;   in Loop: Header=BB73_273 Depth=1
	s_sleep 1
	s_cbranch_execnz .LBB73_273
	s_branch .LBB73_275
.LBB73_272:
	s_branch .LBB73_275
.LBB73_273:                             ; =>This Inner Loop Header: Depth=1
	v_mov_b32_e32 v2, 1
	s_and_saveexec_b64 s[6:7], s[0:1]
	s_cbranch_execz .LBB73_270
; %bb.274:                              ;   in Loop: Header=BB73_273 Depth=1
	global_load_dword v2, v[10:11], off offset:20 sc0 sc1
	s_waitcnt vmcnt(0)
	buffer_inv sc0 sc1
	v_and_b32_e32 v2, 1, v2
	s_branch .LBB73_270
.LBB73_275:
	global_load_dwordx2 v[0:1], v[0:1], off
	s_and_saveexec_b64 s[6:7], s[0:1]
	s_cbranch_execz .LBB73_278
; %bb.276:
	v_mov_b32_e32 v8, 0
	global_load_dwordx2 v[6:7], v8, s[2:3] offset:40
	global_load_dwordx2 v[10:11], v8, s[2:3] offset:24 sc0 sc1
	global_load_dwordx2 v[12:13], v8, s[2:3]
	s_mov_b64 s[0:1], 0
	s_waitcnt vmcnt(2)
	v_lshl_add_u64 v[2:3], v[6:7], 0, 1
	v_lshl_add_u64 v[14:15], v[2:3], 0, s[4:5]
	v_cmp_eq_u64_e32 vcc, 0, v[14:15]
	s_waitcnt vmcnt(1)
	v_mov_b32_e32 v4, v10
	v_cndmask_b32_e32 v3, v15, v3, vcc
	v_cndmask_b32_e32 v2, v14, v2, vcc
	v_and_b32_e32 v5, v3, v7
	v_and_b32_e32 v6, v2, v6
	v_mul_lo_u32 v5, v5, 24
	v_mul_hi_u32 v7, v6, 24
	v_mul_lo_u32 v6, v6, 24
	v_add_u32_e32 v7, v7, v5
	s_waitcnt vmcnt(0)
	v_lshl_add_u64 v[6:7], v[12:13], 0, v[6:7]
	global_store_dwordx2 v[6:7], v[10:11], off
	v_mov_b32_e32 v5, v11
	buffer_wbl2 sc0 sc1
	s_waitcnt vmcnt(0)
	global_atomic_cmpswap_x2 v[4:5], v8, v[2:5], s[2:3] offset:24 sc0 sc1
	s_waitcnt vmcnt(0)
	v_cmp_ne_u64_e32 vcc, v[4:5], v[10:11]
	s_and_b64 exec, exec, vcc
	s_cbranch_execz .LBB73_278
.LBB73_277:                             ; =>This Inner Loop Header: Depth=1
	s_sleep 1
	global_store_dwordx2 v[6:7], v[4:5], off
	buffer_wbl2 sc0 sc1
	s_waitcnt vmcnt(0)
	global_atomic_cmpswap_x2 v[10:11], v8, v[2:5], s[2:3] offset:24 sc0 sc1
	s_waitcnt vmcnt(0)
	v_cmp_eq_u64_e32 vcc, v[10:11], v[4:5]
	s_or_b64 s[0:1], vcc, s[0:1]
	v_mov_b64_e32 v[4:5], v[10:11]
	s_andn2_b64 exec, exec, s[0:1]
	s_cbranch_execnz .LBB73_277
.LBB73_278:
	s_or_b64 exec, exec, s[6:7]
	s_getpc_b64 s[0:1]
	s_add_u32 s0, s0, __FUNCTION__._ZL15flash_attn_tileILi80ELi80ELi8ELi8ELb1EEvPKcS1_S1_S1_S1_PKiPfP15HIP_vector_typeIfLj2EEffffjfiS5_IjLj3EEiiiiiiiiiiiliiliiiiil@rel32@lo+4
	s_addc_u32 s1, s1, __FUNCTION__._ZL15flash_attn_tileILi80ELi80ELi8ELi8ELb1EEvPKcS1_S1_S1_S1_PKiPfP15HIP_vector_typeIfLj2EEffffjfiS5_IjLj3EEiiiiiiiiiiiliiliiiiil@rel32@hi+12
	s_cmp_lg_u64 s[0:1], 0
	s_cselect_b64 s[2:3], -1, 0
	v_cndmask_b32_e64 v2, 0, 1, s[2:3]
	v_lshlrev_b32_e32 v4, 4, v2
	v_mov_b32_e32 v2, s0
	v_mov_b32_e32 v3, s1
	;; [unrolled: 1-line block ×3, first 2 shown]
	s_getpc_b64 s[2:3]
	s_add_u32 s2, s2, __ockl_printf_append_string_n@rel32@lo+4
	s_addc_u32 s3, s3, __ockl_printf_append_string_n@rel32@hi+12
	s_mov_b64 s[20:21], s[8:9]
	s_swappc_b64 s[30:31], s[2:3]
	s_mov_b64 s[8:9], s[20:21]
	v_mov_b32_e32 v2, 0x514
	v_mov_b32_e32 v3, 0
	;; [unrolled: 1-line block ×3, first 2 shown]
	s_getpc_b64 s[0:1]
	s_add_u32 s0, s0, __ockl_printf_append_args@rel32@lo+4
	s_addc_u32 s1, s1, __ockl_printf_append_args@rel32@hi+12
	s_swappc_b64 s[30:31], s[0:1]
	s_trap 2
.Lfunc_end73:
	.size	_ZL14no_device_codePKciS0_iS0_, .Lfunc_end73-_ZL14no_device_codePKciS0_iS0_
                                        ; -- End function
	.section	.AMDGPU.csdata,"",@progbits
; Function info:
; codeLenInByte = 9544
; NumSgprs: 40
; NumVgprs: 39
; NumAgprs: 0
; TotalNumVgprs: 39
; ScratchSize: 16
; MemoryBound: 0
	.section	.text._ZL15flash_attn_tileILi80ELi80ELi8ELi8ELb1EEvPKcS1_S1_S1_S1_PKiPfP15HIP_vector_typeIfLj2EEffffjfiS5_IjLj3EEiiiiiiiiiiiliiliiiiil,"axG",@progbits,_ZL15flash_attn_tileILi80ELi80ELi8ELi8ELb1EEvPKcS1_S1_S1_S1_PKiPfP15HIP_vector_typeIfLj2EEffffjfiS5_IjLj3EEiiiiiiiiiiiliiliiiiil,comdat
	.globl	_ZL15flash_attn_tileILi80ELi80ELi8ELi8ELb1EEvPKcS1_S1_S1_S1_PKiPfP15HIP_vector_typeIfLj2EEffffjfiS5_IjLj3EEiiiiiiiiiiiliiliiiiil ; -- Begin function _ZL15flash_attn_tileILi80ELi80ELi8ELi8ELb1EEvPKcS1_S1_S1_S1_PKiPfP15HIP_vector_typeIfLj2EEffffjfiS5_IjLj3EEiiiiiiiiiiiliiliiiiil
	.p2align	8
	.type	_ZL15flash_attn_tileILi80ELi80ELi8ELi8ELb1EEvPKcS1_S1_S1_S1_PKiPfP15HIP_vector_typeIfLj2EEffffjfiS5_IjLj3EEiiiiiiiiiiiliiliiiiil,@function
_ZL15flash_attn_tileILi80ELi80ELi8ELi8ELb1EEvPKcS1_S1_S1_S1_PKiPfP15HIP_vector_typeIfLj2EEffffjfiS5_IjLj3EEiiiiiiiiiiiliiliiiiil: ; @_ZL15flash_attn_tileILi80ELi80ELi8ELi8ELb1EEvPKcS1_S1_S1_S1_PKiPfP15HIP_vector_typeIfLj2EEffffjfiS5_IjLj3EEiiiiiiiiiiiliiliiiiil
; %bb.0:
	s_add_u32 s8, s0, 0xd0
	s_addc_u32 s9, s1, 0
	s_mov_b32 s32, 0
	s_getpc_b64 s[0:1]
	s_add_u32 s0, s0, _ZL14no_device_codePKciS0_iS0_@rel32@lo+4
	s_addc_u32 s1, s1, _ZL14no_device_codePKciS0_iS0_@rel32@hi+12
	s_swappc_b64 s[30:31], s[0:1]
	.section	.rodata,"a",@progbits
	.p2align	6, 0x0
	.amdhsa_kernel _ZL15flash_attn_tileILi80ELi80ELi8ELi8ELb1EEvPKcS1_S1_S1_S1_PKiPfP15HIP_vector_typeIfLj2EEffffjfiS5_IjLj3EEiiiiiiiiiiiliiliiiiil
		.amdhsa_group_segment_fixed_size 0
		.amdhsa_private_segment_fixed_size 16
		.amdhsa_kernarg_size 464
		.amdhsa_user_sgpr_count 2
		.amdhsa_user_sgpr_dispatch_ptr 0
		.amdhsa_user_sgpr_queue_ptr 0
		.amdhsa_user_sgpr_kernarg_segment_ptr 1
		.amdhsa_user_sgpr_dispatch_id 0
		.amdhsa_user_sgpr_kernarg_preload_length 0
		.amdhsa_user_sgpr_kernarg_preload_offset 0
		.amdhsa_user_sgpr_private_segment_size 0
		.amdhsa_uses_dynamic_stack 0
		.amdhsa_enable_private_segment 1
		.amdhsa_system_sgpr_workgroup_id_x 1
		.amdhsa_system_sgpr_workgroup_id_y 0
		.amdhsa_system_sgpr_workgroup_id_z 0
		.amdhsa_system_sgpr_workgroup_info 0
		.amdhsa_system_vgpr_workitem_id 0
		.amdhsa_next_free_vgpr 39
		.amdhsa_next_free_sgpr 34
		.amdhsa_accum_offset 40
		.amdhsa_reserve_vcc 1
		.amdhsa_float_round_mode_32 0
		.amdhsa_float_round_mode_16_64 0
		.amdhsa_float_denorm_mode_32 3
		.amdhsa_float_denorm_mode_16_64 3
		.amdhsa_dx10_clamp 1
		.amdhsa_ieee_mode 1
		.amdhsa_fp16_overflow 0
		.amdhsa_tg_split 0
		.amdhsa_exception_fp_ieee_invalid_op 0
		.amdhsa_exception_fp_denorm_src 0
		.amdhsa_exception_fp_ieee_div_zero 0
		.amdhsa_exception_fp_ieee_overflow 0
		.amdhsa_exception_fp_ieee_underflow 0
		.amdhsa_exception_fp_ieee_inexact 0
		.amdhsa_exception_int_div_zero 0
	.end_amdhsa_kernel
	.section	.text._ZL15flash_attn_tileILi80ELi80ELi8ELi8ELb1EEvPKcS1_S1_S1_S1_PKiPfP15HIP_vector_typeIfLj2EEffffjfiS5_IjLj3EEiiiiiiiiiiiliiliiiiil,"axG",@progbits,_ZL15flash_attn_tileILi80ELi80ELi8ELi8ELb1EEvPKcS1_S1_S1_S1_PKiPfP15HIP_vector_typeIfLj2EEffffjfiS5_IjLj3EEiiiiiiiiiiiliiliiiiil,comdat
.Lfunc_end74:
	.size	_ZL15flash_attn_tileILi80ELi80ELi8ELi8ELb1EEvPKcS1_S1_S1_S1_PKiPfP15HIP_vector_typeIfLj2EEffffjfiS5_IjLj3EEiiiiiiiiiiiliiliiiiil, .Lfunc_end74-_ZL15flash_attn_tileILi80ELi80ELi8ELi8ELb1EEvPKcS1_S1_S1_S1_PKiPfP15HIP_vector_typeIfLj2EEffffjfiS5_IjLj3EEiiiiiiiiiiiliiliiiiil
                                        ; -- End function
	.section	.AMDGPU.csdata,"",@progbits
; Kernel info:
; codeLenInByte = 40
; NumSgprs: 40
; NumVgprs: 39
; NumAgprs: 0
; TotalNumVgprs: 39
; ScratchSize: 16
; MemoryBound: 0
; FloatMode: 240
; IeeeMode: 1
; LDSByteSize: 0 bytes/workgroup (compile time only)
; SGPRBlocks: 4
; VGPRBlocks: 4
; NumSGPRsForWavesPerEU: 40
; NumVGPRsForWavesPerEU: 39
; AccumOffset: 40
; Occupancy: 8
; WaveLimiterHint : 1
; COMPUTE_PGM_RSRC2:SCRATCH_EN: 1
; COMPUTE_PGM_RSRC2:USER_SGPR: 2
; COMPUTE_PGM_RSRC2:TRAP_HANDLER: 0
; COMPUTE_PGM_RSRC2:TGID_X_EN: 1
; COMPUTE_PGM_RSRC2:TGID_Y_EN: 0
; COMPUTE_PGM_RSRC2:TGID_Z_EN: 0
; COMPUTE_PGM_RSRC2:TIDIG_COMP_CNT: 0
; COMPUTE_PGM_RSRC3_GFX90A:ACCUM_OFFSET: 9
; COMPUTE_PGM_RSRC3_GFX90A:TG_SPLIT: 0
	.section	.text._ZL15flash_attn_tileILi80ELi80ELi4ELi8ELb1EEvPKcS1_S1_S1_S1_PKiPfP15HIP_vector_typeIfLj2EEffffjfiS5_IjLj3EEiiiiiiiiiiiliiliiiiil,"axG",@progbits,_ZL15flash_attn_tileILi80ELi80ELi4ELi8ELb1EEvPKcS1_S1_S1_S1_PKiPfP15HIP_vector_typeIfLj2EEffffjfiS5_IjLj3EEiiiiiiiiiiiliiliiiiil,comdat
	.globl	_ZL15flash_attn_tileILi80ELi80ELi4ELi8ELb1EEvPKcS1_S1_S1_S1_PKiPfP15HIP_vector_typeIfLj2EEffffjfiS5_IjLj3EEiiiiiiiiiiiliiliiiiil ; -- Begin function _ZL15flash_attn_tileILi80ELi80ELi4ELi8ELb1EEvPKcS1_S1_S1_S1_PKiPfP15HIP_vector_typeIfLj2EEffffjfiS5_IjLj3EEiiiiiiiiiiiliiliiiiil
	.p2align	8
	.type	_ZL15flash_attn_tileILi80ELi80ELi4ELi8ELb1EEvPKcS1_S1_S1_S1_PKiPfP15HIP_vector_typeIfLj2EEffffjfiS5_IjLj3EEiiiiiiiiiiiliiliiiiil,@function
_ZL15flash_attn_tileILi80ELi80ELi4ELi8ELb1EEvPKcS1_S1_S1_S1_PKiPfP15HIP_vector_typeIfLj2EEffffjfiS5_IjLj3EEiiiiiiiiiiiliiliiiiil: ; @_ZL15flash_attn_tileILi80ELi80ELi4ELi8ELb1EEvPKcS1_S1_S1_S1_PKiPfP15HIP_vector_typeIfLj2EEffffjfiS5_IjLj3EEiiiiiiiiiiiliiliiiiil
; %bb.0:
	s_add_u32 s8, s0, 0xd0
	s_addc_u32 s9, s1, 0
	s_mov_b32 s32, 0
	s_getpc_b64 s[0:1]
	s_add_u32 s0, s0, _ZL14no_device_codePKciS0_iS0_@rel32@lo+4
	s_addc_u32 s1, s1, _ZL14no_device_codePKciS0_iS0_@rel32@hi+12
	s_swappc_b64 s[30:31], s[0:1]
	.section	.rodata,"a",@progbits
	.p2align	6, 0x0
	.amdhsa_kernel _ZL15flash_attn_tileILi80ELi80ELi4ELi8ELb1EEvPKcS1_S1_S1_S1_PKiPfP15HIP_vector_typeIfLj2EEffffjfiS5_IjLj3EEiiiiiiiiiiiliiliiiiil
		.amdhsa_group_segment_fixed_size 0
		.amdhsa_private_segment_fixed_size 16
		.amdhsa_kernarg_size 464
		.amdhsa_user_sgpr_count 2
		.amdhsa_user_sgpr_dispatch_ptr 0
		.amdhsa_user_sgpr_queue_ptr 0
		.amdhsa_user_sgpr_kernarg_segment_ptr 1
		.amdhsa_user_sgpr_dispatch_id 0
		.amdhsa_user_sgpr_kernarg_preload_length 0
		.amdhsa_user_sgpr_kernarg_preload_offset 0
		.amdhsa_user_sgpr_private_segment_size 0
		.amdhsa_uses_dynamic_stack 0
		.amdhsa_enable_private_segment 1
		.amdhsa_system_sgpr_workgroup_id_x 1
		.amdhsa_system_sgpr_workgroup_id_y 0
		.amdhsa_system_sgpr_workgroup_id_z 0
		.amdhsa_system_sgpr_workgroup_info 0
		.amdhsa_system_vgpr_workitem_id 0
		.amdhsa_next_free_vgpr 39
		.amdhsa_next_free_sgpr 34
		.amdhsa_accum_offset 40
		.amdhsa_reserve_vcc 1
		.amdhsa_float_round_mode_32 0
		.amdhsa_float_round_mode_16_64 0
		.amdhsa_float_denorm_mode_32 3
		.amdhsa_float_denorm_mode_16_64 3
		.amdhsa_dx10_clamp 1
		.amdhsa_ieee_mode 1
		.amdhsa_fp16_overflow 0
		.amdhsa_tg_split 0
		.amdhsa_exception_fp_ieee_invalid_op 0
		.amdhsa_exception_fp_denorm_src 0
		.amdhsa_exception_fp_ieee_div_zero 0
		.amdhsa_exception_fp_ieee_overflow 0
		.amdhsa_exception_fp_ieee_underflow 0
		.amdhsa_exception_fp_ieee_inexact 0
		.amdhsa_exception_int_div_zero 0
	.end_amdhsa_kernel
	.section	.text._ZL15flash_attn_tileILi80ELi80ELi4ELi8ELb1EEvPKcS1_S1_S1_S1_PKiPfP15HIP_vector_typeIfLj2EEffffjfiS5_IjLj3EEiiiiiiiiiiiliiliiiiil,"axG",@progbits,_ZL15flash_attn_tileILi80ELi80ELi4ELi8ELb1EEvPKcS1_S1_S1_S1_PKiPfP15HIP_vector_typeIfLj2EEffffjfiS5_IjLj3EEiiiiiiiiiiiliiliiiiil,comdat
.Lfunc_end75:
	.size	_ZL15flash_attn_tileILi80ELi80ELi4ELi8ELb1EEvPKcS1_S1_S1_S1_PKiPfP15HIP_vector_typeIfLj2EEffffjfiS5_IjLj3EEiiiiiiiiiiiliiliiiiil, .Lfunc_end75-_ZL15flash_attn_tileILi80ELi80ELi4ELi8ELb1EEvPKcS1_S1_S1_S1_PKiPfP15HIP_vector_typeIfLj2EEffffjfiS5_IjLj3EEiiiiiiiiiiiliiliiiiil
                                        ; -- End function
	.section	.AMDGPU.csdata,"",@progbits
; Kernel info:
; codeLenInByte = 40
; NumSgprs: 40
; NumVgprs: 39
; NumAgprs: 0
; TotalNumVgprs: 39
; ScratchSize: 16
; MemoryBound: 0
; FloatMode: 240
; IeeeMode: 1
; LDSByteSize: 0 bytes/workgroup (compile time only)
; SGPRBlocks: 4
; VGPRBlocks: 4
; NumSGPRsForWavesPerEU: 40
; NumVGPRsForWavesPerEU: 39
; AccumOffset: 40
; Occupancy: 8
; WaveLimiterHint : 1
; COMPUTE_PGM_RSRC2:SCRATCH_EN: 1
; COMPUTE_PGM_RSRC2:USER_SGPR: 2
; COMPUTE_PGM_RSRC2:TRAP_HANDLER: 0
; COMPUTE_PGM_RSRC2:TGID_X_EN: 1
; COMPUTE_PGM_RSRC2:TGID_Y_EN: 0
; COMPUTE_PGM_RSRC2:TGID_Z_EN: 0
; COMPUTE_PGM_RSRC2:TIDIG_COMP_CNT: 0
; COMPUTE_PGM_RSRC3_GFX90A:ACCUM_OFFSET: 9
; COMPUTE_PGM_RSRC3_GFX90A:TG_SPLIT: 0
	.section	.text._ZL15flash_attn_tileILi80ELi80ELi2ELi8ELb1EEvPKcS1_S1_S1_S1_PKiPfP15HIP_vector_typeIfLj2EEffffjfiS5_IjLj3EEiiiiiiiiiiiliiliiiiil,"axG",@progbits,_ZL15flash_attn_tileILi80ELi80ELi2ELi8ELb1EEvPKcS1_S1_S1_S1_PKiPfP15HIP_vector_typeIfLj2EEffffjfiS5_IjLj3EEiiiiiiiiiiiliiliiiiil,comdat
	.globl	_ZL15flash_attn_tileILi80ELi80ELi2ELi8ELb1EEvPKcS1_S1_S1_S1_PKiPfP15HIP_vector_typeIfLj2EEffffjfiS5_IjLj3EEiiiiiiiiiiiliiliiiiil ; -- Begin function _ZL15flash_attn_tileILi80ELi80ELi2ELi8ELb1EEvPKcS1_S1_S1_S1_PKiPfP15HIP_vector_typeIfLj2EEffffjfiS5_IjLj3EEiiiiiiiiiiiliiliiiiil
	.p2align	8
	.type	_ZL15flash_attn_tileILi80ELi80ELi2ELi8ELb1EEvPKcS1_S1_S1_S1_PKiPfP15HIP_vector_typeIfLj2EEffffjfiS5_IjLj3EEiiiiiiiiiiiliiliiiiil,@function
_ZL15flash_attn_tileILi80ELi80ELi2ELi8ELb1EEvPKcS1_S1_S1_S1_PKiPfP15HIP_vector_typeIfLj2EEffffjfiS5_IjLj3EEiiiiiiiiiiiliiliiiiil: ; @_ZL15flash_attn_tileILi80ELi80ELi2ELi8ELb1EEvPKcS1_S1_S1_S1_PKiPfP15HIP_vector_typeIfLj2EEffffjfiS5_IjLj3EEiiiiiiiiiiiliiliiiiil
; %bb.0:
	s_add_u32 s8, s0, 0xd0
	s_addc_u32 s9, s1, 0
	s_mov_b32 s32, 0
	s_getpc_b64 s[0:1]
	s_add_u32 s0, s0, _ZL14no_device_codePKciS0_iS0_@rel32@lo+4
	s_addc_u32 s1, s1, _ZL14no_device_codePKciS0_iS0_@rel32@hi+12
	s_swappc_b64 s[30:31], s[0:1]
	.section	.rodata,"a",@progbits
	.p2align	6, 0x0
	.amdhsa_kernel _ZL15flash_attn_tileILi80ELi80ELi2ELi8ELb1EEvPKcS1_S1_S1_S1_PKiPfP15HIP_vector_typeIfLj2EEffffjfiS5_IjLj3EEiiiiiiiiiiiliiliiiiil
		.amdhsa_group_segment_fixed_size 0
		.amdhsa_private_segment_fixed_size 16
		.amdhsa_kernarg_size 464
		.amdhsa_user_sgpr_count 2
		.amdhsa_user_sgpr_dispatch_ptr 0
		.amdhsa_user_sgpr_queue_ptr 0
		.amdhsa_user_sgpr_kernarg_segment_ptr 1
		.amdhsa_user_sgpr_dispatch_id 0
		.amdhsa_user_sgpr_kernarg_preload_length 0
		.amdhsa_user_sgpr_kernarg_preload_offset 0
		.amdhsa_user_sgpr_private_segment_size 0
		.amdhsa_uses_dynamic_stack 0
		.amdhsa_enable_private_segment 1
		.amdhsa_system_sgpr_workgroup_id_x 1
		.amdhsa_system_sgpr_workgroup_id_y 0
		.amdhsa_system_sgpr_workgroup_id_z 0
		.amdhsa_system_sgpr_workgroup_info 0
		.amdhsa_system_vgpr_workitem_id 0
		.amdhsa_next_free_vgpr 39
		.amdhsa_next_free_sgpr 34
		.amdhsa_accum_offset 40
		.amdhsa_reserve_vcc 1
		.amdhsa_float_round_mode_32 0
		.amdhsa_float_round_mode_16_64 0
		.amdhsa_float_denorm_mode_32 3
		.amdhsa_float_denorm_mode_16_64 3
		.amdhsa_dx10_clamp 1
		.amdhsa_ieee_mode 1
		.amdhsa_fp16_overflow 0
		.amdhsa_tg_split 0
		.amdhsa_exception_fp_ieee_invalid_op 0
		.amdhsa_exception_fp_denorm_src 0
		.amdhsa_exception_fp_ieee_div_zero 0
		.amdhsa_exception_fp_ieee_overflow 0
		.amdhsa_exception_fp_ieee_underflow 0
		.amdhsa_exception_fp_ieee_inexact 0
		.amdhsa_exception_int_div_zero 0
	.end_amdhsa_kernel
	.section	.text._ZL15flash_attn_tileILi80ELi80ELi2ELi8ELb1EEvPKcS1_S1_S1_S1_PKiPfP15HIP_vector_typeIfLj2EEffffjfiS5_IjLj3EEiiiiiiiiiiiliiliiiiil,"axG",@progbits,_ZL15flash_attn_tileILi80ELi80ELi2ELi8ELb1EEvPKcS1_S1_S1_S1_PKiPfP15HIP_vector_typeIfLj2EEffffjfiS5_IjLj3EEiiiiiiiiiiiliiliiiiil,comdat
.Lfunc_end76:
	.size	_ZL15flash_attn_tileILi80ELi80ELi2ELi8ELb1EEvPKcS1_S1_S1_S1_PKiPfP15HIP_vector_typeIfLj2EEffffjfiS5_IjLj3EEiiiiiiiiiiiliiliiiiil, .Lfunc_end76-_ZL15flash_attn_tileILi80ELi80ELi2ELi8ELb1EEvPKcS1_S1_S1_S1_PKiPfP15HIP_vector_typeIfLj2EEffffjfiS5_IjLj3EEiiiiiiiiiiiliiliiiiil
                                        ; -- End function
	.section	.AMDGPU.csdata,"",@progbits
; Kernel info:
; codeLenInByte = 40
; NumSgprs: 40
; NumVgprs: 39
; NumAgprs: 0
; TotalNumVgprs: 39
; ScratchSize: 16
; MemoryBound: 0
; FloatMode: 240
; IeeeMode: 1
; LDSByteSize: 0 bytes/workgroup (compile time only)
; SGPRBlocks: 4
; VGPRBlocks: 4
; NumSGPRsForWavesPerEU: 40
; NumVGPRsForWavesPerEU: 39
; AccumOffset: 40
; Occupancy: 8
; WaveLimiterHint : 1
; COMPUTE_PGM_RSRC2:SCRATCH_EN: 1
; COMPUTE_PGM_RSRC2:USER_SGPR: 2
; COMPUTE_PGM_RSRC2:TRAP_HANDLER: 0
; COMPUTE_PGM_RSRC2:TGID_X_EN: 1
; COMPUTE_PGM_RSRC2:TGID_Y_EN: 0
; COMPUTE_PGM_RSRC2:TGID_Z_EN: 0
; COMPUTE_PGM_RSRC2:TIDIG_COMP_CNT: 0
; COMPUTE_PGM_RSRC3_GFX90A:ACCUM_OFFSET: 9
; COMPUTE_PGM_RSRC3_GFX90A:TG_SPLIT: 0
	.section	.text._ZL15flash_attn_tileILi80ELi80ELi1ELi8ELb1EEvPKcS1_S1_S1_S1_PKiPfP15HIP_vector_typeIfLj2EEffffjfiS5_IjLj3EEiiiiiiiiiiiliiliiiiil,"axG",@progbits,_ZL15flash_attn_tileILi80ELi80ELi1ELi8ELb1EEvPKcS1_S1_S1_S1_PKiPfP15HIP_vector_typeIfLj2EEffffjfiS5_IjLj3EEiiiiiiiiiiiliiliiiiil,comdat
	.globl	_ZL15flash_attn_tileILi80ELi80ELi1ELi8ELb1EEvPKcS1_S1_S1_S1_PKiPfP15HIP_vector_typeIfLj2EEffffjfiS5_IjLj3EEiiiiiiiiiiiliiliiiiil ; -- Begin function _ZL15flash_attn_tileILi80ELi80ELi1ELi8ELb1EEvPKcS1_S1_S1_S1_PKiPfP15HIP_vector_typeIfLj2EEffffjfiS5_IjLj3EEiiiiiiiiiiiliiliiiiil
	.p2align	8
	.type	_ZL15flash_attn_tileILi80ELi80ELi1ELi8ELb1EEvPKcS1_S1_S1_S1_PKiPfP15HIP_vector_typeIfLj2EEffffjfiS5_IjLj3EEiiiiiiiiiiiliiliiiiil,@function
_ZL15flash_attn_tileILi80ELi80ELi1ELi8ELb1EEvPKcS1_S1_S1_S1_PKiPfP15HIP_vector_typeIfLj2EEffffjfiS5_IjLj3EEiiiiiiiiiiiliiliiiiil: ; @_ZL15flash_attn_tileILi80ELi80ELi1ELi8ELb1EEvPKcS1_S1_S1_S1_PKiPfP15HIP_vector_typeIfLj2EEffffjfiS5_IjLj3EEiiiiiiiiiiiliiliiiiil
; %bb.0:
	s_add_u32 s8, s0, 0xd0
	s_addc_u32 s9, s1, 0
	s_mov_b32 s32, 0
	s_getpc_b64 s[0:1]
	s_add_u32 s0, s0, _ZL14no_device_codePKciS0_iS0_@rel32@lo+4
	s_addc_u32 s1, s1, _ZL14no_device_codePKciS0_iS0_@rel32@hi+12
	s_swappc_b64 s[30:31], s[0:1]
	.section	.rodata,"a",@progbits
	.p2align	6, 0x0
	.amdhsa_kernel _ZL15flash_attn_tileILi80ELi80ELi1ELi8ELb1EEvPKcS1_S1_S1_S1_PKiPfP15HIP_vector_typeIfLj2EEffffjfiS5_IjLj3EEiiiiiiiiiiiliiliiiiil
		.amdhsa_group_segment_fixed_size 0
		.amdhsa_private_segment_fixed_size 16
		.amdhsa_kernarg_size 464
		.amdhsa_user_sgpr_count 2
		.amdhsa_user_sgpr_dispatch_ptr 0
		.amdhsa_user_sgpr_queue_ptr 0
		.amdhsa_user_sgpr_kernarg_segment_ptr 1
		.amdhsa_user_sgpr_dispatch_id 0
		.amdhsa_user_sgpr_kernarg_preload_length 0
		.amdhsa_user_sgpr_kernarg_preload_offset 0
		.amdhsa_user_sgpr_private_segment_size 0
		.amdhsa_uses_dynamic_stack 0
		.amdhsa_enable_private_segment 1
		.amdhsa_system_sgpr_workgroup_id_x 1
		.amdhsa_system_sgpr_workgroup_id_y 0
		.amdhsa_system_sgpr_workgroup_id_z 0
		.amdhsa_system_sgpr_workgroup_info 0
		.amdhsa_system_vgpr_workitem_id 0
		.amdhsa_next_free_vgpr 39
		.amdhsa_next_free_sgpr 34
		.amdhsa_accum_offset 40
		.amdhsa_reserve_vcc 1
		.amdhsa_float_round_mode_32 0
		.amdhsa_float_round_mode_16_64 0
		.amdhsa_float_denorm_mode_32 3
		.amdhsa_float_denorm_mode_16_64 3
		.amdhsa_dx10_clamp 1
		.amdhsa_ieee_mode 1
		.amdhsa_fp16_overflow 0
		.amdhsa_tg_split 0
		.amdhsa_exception_fp_ieee_invalid_op 0
		.amdhsa_exception_fp_denorm_src 0
		.amdhsa_exception_fp_ieee_div_zero 0
		.amdhsa_exception_fp_ieee_overflow 0
		.amdhsa_exception_fp_ieee_underflow 0
		.amdhsa_exception_fp_ieee_inexact 0
		.amdhsa_exception_int_div_zero 0
	.end_amdhsa_kernel
	.section	.text._ZL15flash_attn_tileILi80ELi80ELi1ELi8ELb1EEvPKcS1_S1_S1_S1_PKiPfP15HIP_vector_typeIfLj2EEffffjfiS5_IjLj3EEiiiiiiiiiiiliiliiiiil,"axG",@progbits,_ZL15flash_attn_tileILi80ELi80ELi1ELi8ELb1EEvPKcS1_S1_S1_S1_PKiPfP15HIP_vector_typeIfLj2EEffffjfiS5_IjLj3EEiiiiiiiiiiiliiliiiiil,comdat
.Lfunc_end77:
	.size	_ZL15flash_attn_tileILi80ELi80ELi1ELi8ELb1EEvPKcS1_S1_S1_S1_PKiPfP15HIP_vector_typeIfLj2EEffffjfiS5_IjLj3EEiiiiiiiiiiiliiliiiiil, .Lfunc_end77-_ZL15flash_attn_tileILi80ELi80ELi1ELi8ELb1EEvPKcS1_S1_S1_S1_PKiPfP15HIP_vector_typeIfLj2EEffffjfiS5_IjLj3EEiiiiiiiiiiiliiliiiiil
                                        ; -- End function
	.section	.AMDGPU.csdata,"",@progbits
; Kernel info:
; codeLenInByte = 40
; NumSgprs: 40
; NumVgprs: 39
; NumAgprs: 0
; TotalNumVgprs: 39
; ScratchSize: 16
; MemoryBound: 0
; FloatMode: 240
; IeeeMode: 1
; LDSByteSize: 0 bytes/workgroup (compile time only)
; SGPRBlocks: 4
; VGPRBlocks: 4
; NumSGPRsForWavesPerEU: 40
; NumVGPRsForWavesPerEU: 39
; AccumOffset: 40
; Occupancy: 8
; WaveLimiterHint : 1
; COMPUTE_PGM_RSRC2:SCRATCH_EN: 1
; COMPUTE_PGM_RSRC2:USER_SGPR: 2
; COMPUTE_PGM_RSRC2:TRAP_HANDLER: 0
; COMPUTE_PGM_RSRC2:TGID_X_EN: 1
; COMPUTE_PGM_RSRC2:TGID_Y_EN: 0
; COMPUTE_PGM_RSRC2:TGID_Z_EN: 0
; COMPUTE_PGM_RSRC2:TIDIG_COMP_CNT: 0
; COMPUTE_PGM_RSRC3_GFX90A:ACCUM_OFFSET: 9
; COMPUTE_PGM_RSRC3_GFX90A:TG_SPLIT: 0
	.section	.text._ZL15flash_attn_tileILi80ELi80ELi16ELi4ELb1EEvPKcS1_S1_S1_S1_PKiPfP15HIP_vector_typeIfLj2EEffffjfiS5_IjLj3EEiiiiiiiiiiiliiliiiiil,"axG",@progbits,_ZL15flash_attn_tileILi80ELi80ELi16ELi4ELb1EEvPKcS1_S1_S1_S1_PKiPfP15HIP_vector_typeIfLj2EEffffjfiS5_IjLj3EEiiiiiiiiiiiliiliiiiil,comdat
	.globl	_ZL15flash_attn_tileILi80ELi80ELi16ELi4ELb1EEvPKcS1_S1_S1_S1_PKiPfP15HIP_vector_typeIfLj2EEffffjfiS5_IjLj3EEiiiiiiiiiiiliiliiiiil ; -- Begin function _ZL15flash_attn_tileILi80ELi80ELi16ELi4ELb1EEvPKcS1_S1_S1_S1_PKiPfP15HIP_vector_typeIfLj2EEffffjfiS5_IjLj3EEiiiiiiiiiiiliiliiiiil
	.p2align	8
	.type	_ZL15flash_attn_tileILi80ELi80ELi16ELi4ELb1EEvPKcS1_S1_S1_S1_PKiPfP15HIP_vector_typeIfLj2EEffffjfiS5_IjLj3EEiiiiiiiiiiiliiliiiiil,@function
_ZL15flash_attn_tileILi80ELi80ELi16ELi4ELb1EEvPKcS1_S1_S1_S1_PKiPfP15HIP_vector_typeIfLj2EEffffjfiS5_IjLj3EEiiiiiiiiiiiliiliiiiil: ; @_ZL15flash_attn_tileILi80ELi80ELi16ELi4ELb1EEvPKcS1_S1_S1_S1_PKiPfP15HIP_vector_typeIfLj2EEffffjfiS5_IjLj3EEiiiiiiiiiiiliiliiiiil
; %bb.0:
	s_add_u32 s8, s0, 0xd0
	s_addc_u32 s9, s1, 0
	s_mov_b32 s32, 0
	s_getpc_b64 s[0:1]
	s_add_u32 s0, s0, _ZL14no_device_codePKciS0_iS0_@rel32@lo+4
	s_addc_u32 s1, s1, _ZL14no_device_codePKciS0_iS0_@rel32@hi+12
	s_swappc_b64 s[30:31], s[0:1]
	.section	.rodata,"a",@progbits
	.p2align	6, 0x0
	.amdhsa_kernel _ZL15flash_attn_tileILi80ELi80ELi16ELi4ELb1EEvPKcS1_S1_S1_S1_PKiPfP15HIP_vector_typeIfLj2EEffffjfiS5_IjLj3EEiiiiiiiiiiiliiliiiiil
		.amdhsa_group_segment_fixed_size 0
		.amdhsa_private_segment_fixed_size 16
		.amdhsa_kernarg_size 464
		.amdhsa_user_sgpr_count 2
		.amdhsa_user_sgpr_dispatch_ptr 0
		.amdhsa_user_sgpr_queue_ptr 0
		.amdhsa_user_sgpr_kernarg_segment_ptr 1
		.amdhsa_user_sgpr_dispatch_id 0
		.amdhsa_user_sgpr_kernarg_preload_length 0
		.amdhsa_user_sgpr_kernarg_preload_offset 0
		.amdhsa_user_sgpr_private_segment_size 0
		.amdhsa_uses_dynamic_stack 0
		.amdhsa_enable_private_segment 1
		.amdhsa_system_sgpr_workgroup_id_x 1
		.amdhsa_system_sgpr_workgroup_id_y 0
		.amdhsa_system_sgpr_workgroup_id_z 0
		.amdhsa_system_sgpr_workgroup_info 0
		.amdhsa_system_vgpr_workitem_id 0
		.amdhsa_next_free_vgpr 39
		.amdhsa_next_free_sgpr 34
		.amdhsa_accum_offset 40
		.amdhsa_reserve_vcc 1
		.amdhsa_float_round_mode_32 0
		.amdhsa_float_round_mode_16_64 0
		.amdhsa_float_denorm_mode_32 3
		.amdhsa_float_denorm_mode_16_64 3
		.amdhsa_dx10_clamp 1
		.amdhsa_ieee_mode 1
		.amdhsa_fp16_overflow 0
		.amdhsa_tg_split 0
		.amdhsa_exception_fp_ieee_invalid_op 0
		.amdhsa_exception_fp_denorm_src 0
		.amdhsa_exception_fp_ieee_div_zero 0
		.amdhsa_exception_fp_ieee_overflow 0
		.amdhsa_exception_fp_ieee_underflow 0
		.amdhsa_exception_fp_ieee_inexact 0
		.amdhsa_exception_int_div_zero 0
	.end_amdhsa_kernel
	.section	.text._ZL15flash_attn_tileILi80ELi80ELi16ELi4ELb1EEvPKcS1_S1_S1_S1_PKiPfP15HIP_vector_typeIfLj2EEffffjfiS5_IjLj3EEiiiiiiiiiiiliiliiiiil,"axG",@progbits,_ZL15flash_attn_tileILi80ELi80ELi16ELi4ELb1EEvPKcS1_S1_S1_S1_PKiPfP15HIP_vector_typeIfLj2EEffffjfiS5_IjLj3EEiiiiiiiiiiiliiliiiiil,comdat
.Lfunc_end78:
	.size	_ZL15flash_attn_tileILi80ELi80ELi16ELi4ELb1EEvPKcS1_S1_S1_S1_PKiPfP15HIP_vector_typeIfLj2EEffffjfiS5_IjLj3EEiiiiiiiiiiiliiliiiiil, .Lfunc_end78-_ZL15flash_attn_tileILi80ELi80ELi16ELi4ELb1EEvPKcS1_S1_S1_S1_PKiPfP15HIP_vector_typeIfLj2EEffffjfiS5_IjLj3EEiiiiiiiiiiiliiliiiiil
                                        ; -- End function
	.section	.AMDGPU.csdata,"",@progbits
; Kernel info:
; codeLenInByte = 40
; NumSgprs: 40
; NumVgprs: 39
; NumAgprs: 0
; TotalNumVgprs: 39
; ScratchSize: 16
; MemoryBound: 0
; FloatMode: 240
; IeeeMode: 1
; LDSByteSize: 0 bytes/workgroup (compile time only)
; SGPRBlocks: 4
; VGPRBlocks: 4
; NumSGPRsForWavesPerEU: 40
; NumVGPRsForWavesPerEU: 39
; AccumOffset: 40
; Occupancy: 8
; WaveLimiterHint : 1
; COMPUTE_PGM_RSRC2:SCRATCH_EN: 1
; COMPUTE_PGM_RSRC2:USER_SGPR: 2
; COMPUTE_PGM_RSRC2:TRAP_HANDLER: 0
; COMPUTE_PGM_RSRC2:TGID_X_EN: 1
; COMPUTE_PGM_RSRC2:TGID_Y_EN: 0
; COMPUTE_PGM_RSRC2:TGID_Z_EN: 0
; COMPUTE_PGM_RSRC2:TIDIG_COMP_CNT: 0
; COMPUTE_PGM_RSRC3_GFX90A:ACCUM_OFFSET: 9
; COMPUTE_PGM_RSRC3_GFX90A:TG_SPLIT: 0
	.section	.text._ZL15flash_attn_tileILi80ELi80ELi8ELi4ELb1EEvPKcS1_S1_S1_S1_PKiPfP15HIP_vector_typeIfLj2EEffffjfiS5_IjLj3EEiiiiiiiiiiiliiliiiiil,"axG",@progbits,_ZL15flash_attn_tileILi80ELi80ELi8ELi4ELb1EEvPKcS1_S1_S1_S1_PKiPfP15HIP_vector_typeIfLj2EEffffjfiS5_IjLj3EEiiiiiiiiiiiliiliiiiil,comdat
	.globl	_ZL15flash_attn_tileILi80ELi80ELi8ELi4ELb1EEvPKcS1_S1_S1_S1_PKiPfP15HIP_vector_typeIfLj2EEffffjfiS5_IjLj3EEiiiiiiiiiiiliiliiiiil ; -- Begin function _ZL15flash_attn_tileILi80ELi80ELi8ELi4ELb1EEvPKcS1_S1_S1_S1_PKiPfP15HIP_vector_typeIfLj2EEffffjfiS5_IjLj3EEiiiiiiiiiiiliiliiiiil
	.p2align	8
	.type	_ZL15flash_attn_tileILi80ELi80ELi8ELi4ELb1EEvPKcS1_S1_S1_S1_PKiPfP15HIP_vector_typeIfLj2EEffffjfiS5_IjLj3EEiiiiiiiiiiiliiliiiiil,@function
_ZL15flash_attn_tileILi80ELi80ELi8ELi4ELb1EEvPKcS1_S1_S1_S1_PKiPfP15HIP_vector_typeIfLj2EEffffjfiS5_IjLj3EEiiiiiiiiiiiliiliiiiil: ; @_ZL15flash_attn_tileILi80ELi80ELi8ELi4ELb1EEvPKcS1_S1_S1_S1_PKiPfP15HIP_vector_typeIfLj2EEffffjfiS5_IjLj3EEiiiiiiiiiiiliiliiiiil
; %bb.0:
	s_add_u32 s8, s0, 0xd0
	s_addc_u32 s9, s1, 0
	s_mov_b32 s32, 0
	s_getpc_b64 s[0:1]
	s_add_u32 s0, s0, _ZL14no_device_codePKciS0_iS0_@rel32@lo+4
	s_addc_u32 s1, s1, _ZL14no_device_codePKciS0_iS0_@rel32@hi+12
	s_swappc_b64 s[30:31], s[0:1]
	.section	.rodata,"a",@progbits
	.p2align	6, 0x0
	.amdhsa_kernel _ZL15flash_attn_tileILi80ELi80ELi8ELi4ELb1EEvPKcS1_S1_S1_S1_PKiPfP15HIP_vector_typeIfLj2EEffffjfiS5_IjLj3EEiiiiiiiiiiiliiliiiiil
		.amdhsa_group_segment_fixed_size 0
		.amdhsa_private_segment_fixed_size 16
		.amdhsa_kernarg_size 464
		.amdhsa_user_sgpr_count 2
		.amdhsa_user_sgpr_dispatch_ptr 0
		.amdhsa_user_sgpr_queue_ptr 0
		.amdhsa_user_sgpr_kernarg_segment_ptr 1
		.amdhsa_user_sgpr_dispatch_id 0
		.amdhsa_user_sgpr_kernarg_preload_length 0
		.amdhsa_user_sgpr_kernarg_preload_offset 0
		.amdhsa_user_sgpr_private_segment_size 0
		.amdhsa_uses_dynamic_stack 0
		.amdhsa_enable_private_segment 1
		.amdhsa_system_sgpr_workgroup_id_x 1
		.amdhsa_system_sgpr_workgroup_id_y 0
		.amdhsa_system_sgpr_workgroup_id_z 0
		.amdhsa_system_sgpr_workgroup_info 0
		.amdhsa_system_vgpr_workitem_id 0
		.amdhsa_next_free_vgpr 39
		.amdhsa_next_free_sgpr 34
		.amdhsa_accum_offset 40
		.amdhsa_reserve_vcc 1
		.amdhsa_float_round_mode_32 0
		.amdhsa_float_round_mode_16_64 0
		.amdhsa_float_denorm_mode_32 3
		.amdhsa_float_denorm_mode_16_64 3
		.amdhsa_dx10_clamp 1
		.amdhsa_ieee_mode 1
		.amdhsa_fp16_overflow 0
		.amdhsa_tg_split 0
		.amdhsa_exception_fp_ieee_invalid_op 0
		.amdhsa_exception_fp_denorm_src 0
		.amdhsa_exception_fp_ieee_div_zero 0
		.amdhsa_exception_fp_ieee_overflow 0
		.amdhsa_exception_fp_ieee_underflow 0
		.amdhsa_exception_fp_ieee_inexact 0
		.amdhsa_exception_int_div_zero 0
	.end_amdhsa_kernel
	.section	.text._ZL15flash_attn_tileILi80ELi80ELi8ELi4ELb1EEvPKcS1_S1_S1_S1_PKiPfP15HIP_vector_typeIfLj2EEffffjfiS5_IjLj3EEiiiiiiiiiiiliiliiiiil,"axG",@progbits,_ZL15flash_attn_tileILi80ELi80ELi8ELi4ELb1EEvPKcS1_S1_S1_S1_PKiPfP15HIP_vector_typeIfLj2EEffffjfiS5_IjLj3EEiiiiiiiiiiiliiliiiiil,comdat
.Lfunc_end79:
	.size	_ZL15flash_attn_tileILi80ELi80ELi8ELi4ELb1EEvPKcS1_S1_S1_S1_PKiPfP15HIP_vector_typeIfLj2EEffffjfiS5_IjLj3EEiiiiiiiiiiiliiliiiiil, .Lfunc_end79-_ZL15flash_attn_tileILi80ELi80ELi8ELi4ELb1EEvPKcS1_S1_S1_S1_PKiPfP15HIP_vector_typeIfLj2EEffffjfiS5_IjLj3EEiiiiiiiiiiiliiliiiiil
                                        ; -- End function
	.section	.AMDGPU.csdata,"",@progbits
; Kernel info:
; codeLenInByte = 40
; NumSgprs: 40
; NumVgprs: 39
; NumAgprs: 0
; TotalNumVgprs: 39
; ScratchSize: 16
; MemoryBound: 0
; FloatMode: 240
; IeeeMode: 1
; LDSByteSize: 0 bytes/workgroup (compile time only)
; SGPRBlocks: 4
; VGPRBlocks: 4
; NumSGPRsForWavesPerEU: 40
; NumVGPRsForWavesPerEU: 39
; AccumOffset: 40
; Occupancy: 8
; WaveLimiterHint : 1
; COMPUTE_PGM_RSRC2:SCRATCH_EN: 1
; COMPUTE_PGM_RSRC2:USER_SGPR: 2
; COMPUTE_PGM_RSRC2:TRAP_HANDLER: 0
; COMPUTE_PGM_RSRC2:TGID_X_EN: 1
; COMPUTE_PGM_RSRC2:TGID_Y_EN: 0
; COMPUTE_PGM_RSRC2:TGID_Z_EN: 0
; COMPUTE_PGM_RSRC2:TIDIG_COMP_CNT: 0
; COMPUTE_PGM_RSRC3_GFX90A:ACCUM_OFFSET: 9
; COMPUTE_PGM_RSRC3_GFX90A:TG_SPLIT: 0
	.section	.text._ZL15flash_attn_tileILi80ELi80ELi4ELi4ELb1EEvPKcS1_S1_S1_S1_PKiPfP15HIP_vector_typeIfLj2EEffffjfiS5_IjLj3EEiiiiiiiiiiiliiliiiiil,"axG",@progbits,_ZL15flash_attn_tileILi80ELi80ELi4ELi4ELb1EEvPKcS1_S1_S1_S1_PKiPfP15HIP_vector_typeIfLj2EEffffjfiS5_IjLj3EEiiiiiiiiiiiliiliiiiil,comdat
	.globl	_ZL15flash_attn_tileILi80ELi80ELi4ELi4ELb1EEvPKcS1_S1_S1_S1_PKiPfP15HIP_vector_typeIfLj2EEffffjfiS5_IjLj3EEiiiiiiiiiiiliiliiiiil ; -- Begin function _ZL15flash_attn_tileILi80ELi80ELi4ELi4ELb1EEvPKcS1_S1_S1_S1_PKiPfP15HIP_vector_typeIfLj2EEffffjfiS5_IjLj3EEiiiiiiiiiiiliiliiiiil
	.p2align	8
	.type	_ZL15flash_attn_tileILi80ELi80ELi4ELi4ELb1EEvPKcS1_S1_S1_S1_PKiPfP15HIP_vector_typeIfLj2EEffffjfiS5_IjLj3EEiiiiiiiiiiiliiliiiiil,@function
_ZL15flash_attn_tileILi80ELi80ELi4ELi4ELb1EEvPKcS1_S1_S1_S1_PKiPfP15HIP_vector_typeIfLj2EEffffjfiS5_IjLj3EEiiiiiiiiiiiliiliiiiil: ; @_ZL15flash_attn_tileILi80ELi80ELi4ELi4ELb1EEvPKcS1_S1_S1_S1_PKiPfP15HIP_vector_typeIfLj2EEffffjfiS5_IjLj3EEiiiiiiiiiiiliiliiiiil
; %bb.0:
	s_add_u32 s8, s0, 0xd0
	s_addc_u32 s9, s1, 0
	s_mov_b32 s32, 0
	s_getpc_b64 s[0:1]
	s_add_u32 s0, s0, _ZL14no_device_codePKciS0_iS0_@rel32@lo+4
	s_addc_u32 s1, s1, _ZL14no_device_codePKciS0_iS0_@rel32@hi+12
	s_swappc_b64 s[30:31], s[0:1]
	.section	.rodata,"a",@progbits
	.p2align	6, 0x0
	.amdhsa_kernel _ZL15flash_attn_tileILi80ELi80ELi4ELi4ELb1EEvPKcS1_S1_S1_S1_PKiPfP15HIP_vector_typeIfLj2EEffffjfiS5_IjLj3EEiiiiiiiiiiiliiliiiiil
		.amdhsa_group_segment_fixed_size 0
		.amdhsa_private_segment_fixed_size 16
		.amdhsa_kernarg_size 464
		.amdhsa_user_sgpr_count 2
		.amdhsa_user_sgpr_dispatch_ptr 0
		.amdhsa_user_sgpr_queue_ptr 0
		.amdhsa_user_sgpr_kernarg_segment_ptr 1
		.amdhsa_user_sgpr_dispatch_id 0
		.amdhsa_user_sgpr_kernarg_preload_length 0
		.amdhsa_user_sgpr_kernarg_preload_offset 0
		.amdhsa_user_sgpr_private_segment_size 0
		.amdhsa_uses_dynamic_stack 0
		.amdhsa_enable_private_segment 1
		.amdhsa_system_sgpr_workgroup_id_x 1
		.amdhsa_system_sgpr_workgroup_id_y 0
		.amdhsa_system_sgpr_workgroup_id_z 0
		.amdhsa_system_sgpr_workgroup_info 0
		.amdhsa_system_vgpr_workitem_id 0
		.amdhsa_next_free_vgpr 39
		.amdhsa_next_free_sgpr 34
		.amdhsa_accum_offset 40
		.amdhsa_reserve_vcc 1
		.amdhsa_float_round_mode_32 0
		.amdhsa_float_round_mode_16_64 0
		.amdhsa_float_denorm_mode_32 3
		.amdhsa_float_denorm_mode_16_64 3
		.amdhsa_dx10_clamp 1
		.amdhsa_ieee_mode 1
		.amdhsa_fp16_overflow 0
		.amdhsa_tg_split 0
		.amdhsa_exception_fp_ieee_invalid_op 0
		.amdhsa_exception_fp_denorm_src 0
		.amdhsa_exception_fp_ieee_div_zero 0
		.amdhsa_exception_fp_ieee_overflow 0
		.amdhsa_exception_fp_ieee_underflow 0
		.amdhsa_exception_fp_ieee_inexact 0
		.amdhsa_exception_int_div_zero 0
	.end_amdhsa_kernel
	.section	.text._ZL15flash_attn_tileILi80ELi80ELi4ELi4ELb1EEvPKcS1_S1_S1_S1_PKiPfP15HIP_vector_typeIfLj2EEffffjfiS5_IjLj3EEiiiiiiiiiiiliiliiiiil,"axG",@progbits,_ZL15flash_attn_tileILi80ELi80ELi4ELi4ELb1EEvPKcS1_S1_S1_S1_PKiPfP15HIP_vector_typeIfLj2EEffffjfiS5_IjLj3EEiiiiiiiiiiiliiliiiiil,comdat
.Lfunc_end80:
	.size	_ZL15flash_attn_tileILi80ELi80ELi4ELi4ELb1EEvPKcS1_S1_S1_S1_PKiPfP15HIP_vector_typeIfLj2EEffffjfiS5_IjLj3EEiiiiiiiiiiiliiliiiiil, .Lfunc_end80-_ZL15flash_attn_tileILi80ELi80ELi4ELi4ELb1EEvPKcS1_S1_S1_S1_PKiPfP15HIP_vector_typeIfLj2EEffffjfiS5_IjLj3EEiiiiiiiiiiiliiliiiiil
                                        ; -- End function
	.section	.AMDGPU.csdata,"",@progbits
; Kernel info:
; codeLenInByte = 40
; NumSgprs: 40
; NumVgprs: 39
; NumAgprs: 0
; TotalNumVgprs: 39
; ScratchSize: 16
; MemoryBound: 0
; FloatMode: 240
; IeeeMode: 1
; LDSByteSize: 0 bytes/workgroup (compile time only)
; SGPRBlocks: 4
; VGPRBlocks: 4
; NumSGPRsForWavesPerEU: 40
; NumVGPRsForWavesPerEU: 39
; AccumOffset: 40
; Occupancy: 8
; WaveLimiterHint : 1
; COMPUTE_PGM_RSRC2:SCRATCH_EN: 1
; COMPUTE_PGM_RSRC2:USER_SGPR: 2
; COMPUTE_PGM_RSRC2:TRAP_HANDLER: 0
; COMPUTE_PGM_RSRC2:TGID_X_EN: 1
; COMPUTE_PGM_RSRC2:TGID_Y_EN: 0
; COMPUTE_PGM_RSRC2:TGID_Z_EN: 0
; COMPUTE_PGM_RSRC2:TIDIG_COMP_CNT: 0
; COMPUTE_PGM_RSRC3_GFX90A:ACCUM_OFFSET: 9
; COMPUTE_PGM_RSRC3_GFX90A:TG_SPLIT: 0
	.section	.text._ZL15flash_attn_tileILi80ELi80ELi2ELi4ELb1EEvPKcS1_S1_S1_S1_PKiPfP15HIP_vector_typeIfLj2EEffffjfiS5_IjLj3EEiiiiiiiiiiiliiliiiiil,"axG",@progbits,_ZL15flash_attn_tileILi80ELi80ELi2ELi4ELb1EEvPKcS1_S1_S1_S1_PKiPfP15HIP_vector_typeIfLj2EEffffjfiS5_IjLj3EEiiiiiiiiiiiliiliiiiil,comdat
	.globl	_ZL15flash_attn_tileILi80ELi80ELi2ELi4ELb1EEvPKcS1_S1_S1_S1_PKiPfP15HIP_vector_typeIfLj2EEffffjfiS5_IjLj3EEiiiiiiiiiiiliiliiiiil ; -- Begin function _ZL15flash_attn_tileILi80ELi80ELi2ELi4ELb1EEvPKcS1_S1_S1_S1_PKiPfP15HIP_vector_typeIfLj2EEffffjfiS5_IjLj3EEiiiiiiiiiiiliiliiiiil
	.p2align	8
	.type	_ZL15flash_attn_tileILi80ELi80ELi2ELi4ELb1EEvPKcS1_S1_S1_S1_PKiPfP15HIP_vector_typeIfLj2EEffffjfiS5_IjLj3EEiiiiiiiiiiiliiliiiiil,@function
_ZL15flash_attn_tileILi80ELi80ELi2ELi4ELb1EEvPKcS1_S1_S1_S1_PKiPfP15HIP_vector_typeIfLj2EEffffjfiS5_IjLj3EEiiiiiiiiiiiliiliiiiil: ; @_ZL15flash_attn_tileILi80ELi80ELi2ELi4ELb1EEvPKcS1_S1_S1_S1_PKiPfP15HIP_vector_typeIfLj2EEffffjfiS5_IjLj3EEiiiiiiiiiiiliiliiiiil
; %bb.0:
	s_add_u32 s8, s0, 0xd0
	s_addc_u32 s9, s1, 0
	s_mov_b32 s32, 0
	s_getpc_b64 s[0:1]
	s_add_u32 s0, s0, _ZL14no_device_codePKciS0_iS0_@rel32@lo+4
	s_addc_u32 s1, s1, _ZL14no_device_codePKciS0_iS0_@rel32@hi+12
	s_swappc_b64 s[30:31], s[0:1]
	.section	.rodata,"a",@progbits
	.p2align	6, 0x0
	.amdhsa_kernel _ZL15flash_attn_tileILi80ELi80ELi2ELi4ELb1EEvPKcS1_S1_S1_S1_PKiPfP15HIP_vector_typeIfLj2EEffffjfiS5_IjLj3EEiiiiiiiiiiiliiliiiiil
		.amdhsa_group_segment_fixed_size 0
		.amdhsa_private_segment_fixed_size 16
		.amdhsa_kernarg_size 464
		.amdhsa_user_sgpr_count 2
		.amdhsa_user_sgpr_dispatch_ptr 0
		.amdhsa_user_sgpr_queue_ptr 0
		.amdhsa_user_sgpr_kernarg_segment_ptr 1
		.amdhsa_user_sgpr_dispatch_id 0
		.amdhsa_user_sgpr_kernarg_preload_length 0
		.amdhsa_user_sgpr_kernarg_preload_offset 0
		.amdhsa_user_sgpr_private_segment_size 0
		.amdhsa_uses_dynamic_stack 0
		.amdhsa_enable_private_segment 1
		.amdhsa_system_sgpr_workgroup_id_x 1
		.amdhsa_system_sgpr_workgroup_id_y 0
		.amdhsa_system_sgpr_workgroup_id_z 0
		.amdhsa_system_sgpr_workgroup_info 0
		.amdhsa_system_vgpr_workitem_id 0
		.amdhsa_next_free_vgpr 39
		.amdhsa_next_free_sgpr 34
		.amdhsa_accum_offset 40
		.amdhsa_reserve_vcc 1
		.amdhsa_float_round_mode_32 0
		.amdhsa_float_round_mode_16_64 0
		.amdhsa_float_denorm_mode_32 3
		.amdhsa_float_denorm_mode_16_64 3
		.amdhsa_dx10_clamp 1
		.amdhsa_ieee_mode 1
		.amdhsa_fp16_overflow 0
		.amdhsa_tg_split 0
		.amdhsa_exception_fp_ieee_invalid_op 0
		.amdhsa_exception_fp_denorm_src 0
		.amdhsa_exception_fp_ieee_div_zero 0
		.amdhsa_exception_fp_ieee_overflow 0
		.amdhsa_exception_fp_ieee_underflow 0
		.amdhsa_exception_fp_ieee_inexact 0
		.amdhsa_exception_int_div_zero 0
	.end_amdhsa_kernel
	.section	.text._ZL15flash_attn_tileILi80ELi80ELi2ELi4ELb1EEvPKcS1_S1_S1_S1_PKiPfP15HIP_vector_typeIfLj2EEffffjfiS5_IjLj3EEiiiiiiiiiiiliiliiiiil,"axG",@progbits,_ZL15flash_attn_tileILi80ELi80ELi2ELi4ELb1EEvPKcS1_S1_S1_S1_PKiPfP15HIP_vector_typeIfLj2EEffffjfiS5_IjLj3EEiiiiiiiiiiiliiliiiiil,comdat
.Lfunc_end81:
	.size	_ZL15flash_attn_tileILi80ELi80ELi2ELi4ELb1EEvPKcS1_S1_S1_S1_PKiPfP15HIP_vector_typeIfLj2EEffffjfiS5_IjLj3EEiiiiiiiiiiiliiliiiiil, .Lfunc_end81-_ZL15flash_attn_tileILi80ELi80ELi2ELi4ELb1EEvPKcS1_S1_S1_S1_PKiPfP15HIP_vector_typeIfLj2EEffffjfiS5_IjLj3EEiiiiiiiiiiiliiliiiiil
                                        ; -- End function
	.section	.AMDGPU.csdata,"",@progbits
; Kernel info:
; codeLenInByte = 40
; NumSgprs: 40
; NumVgprs: 39
; NumAgprs: 0
; TotalNumVgprs: 39
; ScratchSize: 16
; MemoryBound: 0
; FloatMode: 240
; IeeeMode: 1
; LDSByteSize: 0 bytes/workgroup (compile time only)
; SGPRBlocks: 4
; VGPRBlocks: 4
; NumSGPRsForWavesPerEU: 40
; NumVGPRsForWavesPerEU: 39
; AccumOffset: 40
; Occupancy: 8
; WaveLimiterHint : 1
; COMPUTE_PGM_RSRC2:SCRATCH_EN: 1
; COMPUTE_PGM_RSRC2:USER_SGPR: 2
; COMPUTE_PGM_RSRC2:TRAP_HANDLER: 0
; COMPUTE_PGM_RSRC2:TGID_X_EN: 1
; COMPUTE_PGM_RSRC2:TGID_Y_EN: 0
; COMPUTE_PGM_RSRC2:TGID_Z_EN: 0
; COMPUTE_PGM_RSRC2:TIDIG_COMP_CNT: 0
; COMPUTE_PGM_RSRC3_GFX90A:ACCUM_OFFSET: 9
; COMPUTE_PGM_RSRC3_GFX90A:TG_SPLIT: 0
	.section	.text._ZL15flash_attn_tileILi80ELi80ELi1ELi4ELb1EEvPKcS1_S1_S1_S1_PKiPfP15HIP_vector_typeIfLj2EEffffjfiS5_IjLj3EEiiiiiiiiiiiliiliiiiil,"axG",@progbits,_ZL15flash_attn_tileILi80ELi80ELi1ELi4ELb1EEvPKcS1_S1_S1_S1_PKiPfP15HIP_vector_typeIfLj2EEffffjfiS5_IjLj3EEiiiiiiiiiiiliiliiiiil,comdat
	.globl	_ZL15flash_attn_tileILi80ELi80ELi1ELi4ELb1EEvPKcS1_S1_S1_S1_PKiPfP15HIP_vector_typeIfLj2EEffffjfiS5_IjLj3EEiiiiiiiiiiiliiliiiiil ; -- Begin function _ZL15flash_attn_tileILi80ELi80ELi1ELi4ELb1EEvPKcS1_S1_S1_S1_PKiPfP15HIP_vector_typeIfLj2EEffffjfiS5_IjLj3EEiiiiiiiiiiiliiliiiiil
	.p2align	8
	.type	_ZL15flash_attn_tileILi80ELi80ELi1ELi4ELb1EEvPKcS1_S1_S1_S1_PKiPfP15HIP_vector_typeIfLj2EEffffjfiS5_IjLj3EEiiiiiiiiiiiliiliiiiil,@function
_ZL15flash_attn_tileILi80ELi80ELi1ELi4ELb1EEvPKcS1_S1_S1_S1_PKiPfP15HIP_vector_typeIfLj2EEffffjfiS5_IjLj3EEiiiiiiiiiiiliiliiiiil: ; @_ZL15flash_attn_tileILi80ELi80ELi1ELi4ELb1EEvPKcS1_S1_S1_S1_PKiPfP15HIP_vector_typeIfLj2EEffffjfiS5_IjLj3EEiiiiiiiiiiiliiliiiiil
; %bb.0:
	s_add_u32 s8, s0, 0xd0
	s_addc_u32 s9, s1, 0
	s_mov_b32 s32, 0
	s_getpc_b64 s[0:1]
	s_add_u32 s0, s0, _ZL14no_device_codePKciS0_iS0_@rel32@lo+4
	s_addc_u32 s1, s1, _ZL14no_device_codePKciS0_iS0_@rel32@hi+12
	s_swappc_b64 s[30:31], s[0:1]
	.section	.rodata,"a",@progbits
	.p2align	6, 0x0
	.amdhsa_kernel _ZL15flash_attn_tileILi80ELi80ELi1ELi4ELb1EEvPKcS1_S1_S1_S1_PKiPfP15HIP_vector_typeIfLj2EEffffjfiS5_IjLj3EEiiiiiiiiiiiliiliiiiil
		.amdhsa_group_segment_fixed_size 0
		.amdhsa_private_segment_fixed_size 16
		.amdhsa_kernarg_size 464
		.amdhsa_user_sgpr_count 2
		.amdhsa_user_sgpr_dispatch_ptr 0
		.amdhsa_user_sgpr_queue_ptr 0
		.amdhsa_user_sgpr_kernarg_segment_ptr 1
		.amdhsa_user_sgpr_dispatch_id 0
		.amdhsa_user_sgpr_kernarg_preload_length 0
		.amdhsa_user_sgpr_kernarg_preload_offset 0
		.amdhsa_user_sgpr_private_segment_size 0
		.amdhsa_uses_dynamic_stack 0
		.amdhsa_enable_private_segment 1
		.amdhsa_system_sgpr_workgroup_id_x 1
		.amdhsa_system_sgpr_workgroup_id_y 0
		.amdhsa_system_sgpr_workgroup_id_z 0
		.amdhsa_system_sgpr_workgroup_info 0
		.amdhsa_system_vgpr_workitem_id 0
		.amdhsa_next_free_vgpr 39
		.amdhsa_next_free_sgpr 34
		.amdhsa_accum_offset 40
		.amdhsa_reserve_vcc 1
		.amdhsa_float_round_mode_32 0
		.amdhsa_float_round_mode_16_64 0
		.amdhsa_float_denorm_mode_32 3
		.amdhsa_float_denorm_mode_16_64 3
		.amdhsa_dx10_clamp 1
		.amdhsa_ieee_mode 1
		.amdhsa_fp16_overflow 0
		.amdhsa_tg_split 0
		.amdhsa_exception_fp_ieee_invalid_op 0
		.amdhsa_exception_fp_denorm_src 0
		.amdhsa_exception_fp_ieee_div_zero 0
		.amdhsa_exception_fp_ieee_overflow 0
		.amdhsa_exception_fp_ieee_underflow 0
		.amdhsa_exception_fp_ieee_inexact 0
		.amdhsa_exception_int_div_zero 0
	.end_amdhsa_kernel
	.section	.text._ZL15flash_attn_tileILi80ELi80ELi1ELi4ELb1EEvPKcS1_S1_S1_S1_PKiPfP15HIP_vector_typeIfLj2EEffffjfiS5_IjLj3EEiiiiiiiiiiiliiliiiiil,"axG",@progbits,_ZL15flash_attn_tileILi80ELi80ELi1ELi4ELb1EEvPKcS1_S1_S1_S1_PKiPfP15HIP_vector_typeIfLj2EEffffjfiS5_IjLj3EEiiiiiiiiiiiliiliiiiil,comdat
.Lfunc_end82:
	.size	_ZL15flash_attn_tileILi80ELi80ELi1ELi4ELb1EEvPKcS1_S1_S1_S1_PKiPfP15HIP_vector_typeIfLj2EEffffjfiS5_IjLj3EEiiiiiiiiiiiliiliiiiil, .Lfunc_end82-_ZL15flash_attn_tileILi80ELi80ELi1ELi4ELb1EEvPKcS1_S1_S1_S1_PKiPfP15HIP_vector_typeIfLj2EEffffjfiS5_IjLj3EEiiiiiiiiiiiliiliiiiil
                                        ; -- End function
	.section	.AMDGPU.csdata,"",@progbits
; Kernel info:
; codeLenInByte = 40
; NumSgprs: 40
; NumVgprs: 39
; NumAgprs: 0
; TotalNumVgprs: 39
; ScratchSize: 16
; MemoryBound: 0
; FloatMode: 240
; IeeeMode: 1
; LDSByteSize: 0 bytes/workgroup (compile time only)
; SGPRBlocks: 4
; VGPRBlocks: 4
; NumSGPRsForWavesPerEU: 40
; NumVGPRsForWavesPerEU: 39
; AccumOffset: 40
; Occupancy: 8
; WaveLimiterHint : 1
; COMPUTE_PGM_RSRC2:SCRATCH_EN: 1
; COMPUTE_PGM_RSRC2:USER_SGPR: 2
; COMPUTE_PGM_RSRC2:TRAP_HANDLER: 0
; COMPUTE_PGM_RSRC2:TGID_X_EN: 1
; COMPUTE_PGM_RSRC2:TGID_Y_EN: 0
; COMPUTE_PGM_RSRC2:TGID_Z_EN: 0
; COMPUTE_PGM_RSRC2:TIDIG_COMP_CNT: 0
; COMPUTE_PGM_RSRC3_GFX90A:ACCUM_OFFSET: 9
; COMPUTE_PGM_RSRC3_GFX90A:TG_SPLIT: 0
	.section	.text._ZL15flash_attn_tileILi80ELi80ELi32ELi2ELb1EEvPKcS1_S1_S1_S1_PKiPfP15HIP_vector_typeIfLj2EEffffjfiS5_IjLj3EEiiiiiiiiiiiliiliiiiil,"axG",@progbits,_ZL15flash_attn_tileILi80ELi80ELi32ELi2ELb1EEvPKcS1_S1_S1_S1_PKiPfP15HIP_vector_typeIfLj2EEffffjfiS5_IjLj3EEiiiiiiiiiiiliiliiiiil,comdat
	.globl	_ZL15flash_attn_tileILi80ELi80ELi32ELi2ELb1EEvPKcS1_S1_S1_S1_PKiPfP15HIP_vector_typeIfLj2EEffffjfiS5_IjLj3EEiiiiiiiiiiiliiliiiiil ; -- Begin function _ZL15flash_attn_tileILi80ELi80ELi32ELi2ELb1EEvPKcS1_S1_S1_S1_PKiPfP15HIP_vector_typeIfLj2EEffffjfiS5_IjLj3EEiiiiiiiiiiiliiliiiiil
	.p2align	8
	.type	_ZL15flash_attn_tileILi80ELi80ELi32ELi2ELb1EEvPKcS1_S1_S1_S1_PKiPfP15HIP_vector_typeIfLj2EEffffjfiS5_IjLj3EEiiiiiiiiiiiliiliiiiil,@function
_ZL15flash_attn_tileILi80ELi80ELi32ELi2ELb1EEvPKcS1_S1_S1_S1_PKiPfP15HIP_vector_typeIfLj2EEffffjfiS5_IjLj3EEiiiiiiiiiiiliiliiiiil: ; @_ZL15flash_attn_tileILi80ELi80ELi32ELi2ELb1EEvPKcS1_S1_S1_S1_PKiPfP15HIP_vector_typeIfLj2EEffffjfiS5_IjLj3EEiiiiiiiiiiiliiliiiiil
; %bb.0:
	s_add_u32 s8, s0, 0xd0
	s_addc_u32 s9, s1, 0
	s_mov_b32 s32, 0
	s_getpc_b64 s[0:1]
	s_add_u32 s0, s0, _ZL14no_device_codePKciS0_iS0_@rel32@lo+4
	s_addc_u32 s1, s1, _ZL14no_device_codePKciS0_iS0_@rel32@hi+12
	s_swappc_b64 s[30:31], s[0:1]
	.section	.rodata,"a",@progbits
	.p2align	6, 0x0
	.amdhsa_kernel _ZL15flash_attn_tileILi80ELi80ELi32ELi2ELb1EEvPKcS1_S1_S1_S1_PKiPfP15HIP_vector_typeIfLj2EEffffjfiS5_IjLj3EEiiiiiiiiiiiliiliiiiil
		.amdhsa_group_segment_fixed_size 0
		.amdhsa_private_segment_fixed_size 16
		.amdhsa_kernarg_size 464
		.amdhsa_user_sgpr_count 2
		.amdhsa_user_sgpr_dispatch_ptr 0
		.amdhsa_user_sgpr_queue_ptr 0
		.amdhsa_user_sgpr_kernarg_segment_ptr 1
		.amdhsa_user_sgpr_dispatch_id 0
		.amdhsa_user_sgpr_kernarg_preload_length 0
		.amdhsa_user_sgpr_kernarg_preload_offset 0
		.amdhsa_user_sgpr_private_segment_size 0
		.amdhsa_uses_dynamic_stack 0
		.amdhsa_enable_private_segment 1
		.amdhsa_system_sgpr_workgroup_id_x 1
		.amdhsa_system_sgpr_workgroup_id_y 0
		.amdhsa_system_sgpr_workgroup_id_z 0
		.amdhsa_system_sgpr_workgroup_info 0
		.amdhsa_system_vgpr_workitem_id 0
		.amdhsa_next_free_vgpr 39
		.amdhsa_next_free_sgpr 34
		.amdhsa_accum_offset 40
		.amdhsa_reserve_vcc 1
		.amdhsa_float_round_mode_32 0
		.amdhsa_float_round_mode_16_64 0
		.amdhsa_float_denorm_mode_32 3
		.amdhsa_float_denorm_mode_16_64 3
		.amdhsa_dx10_clamp 1
		.amdhsa_ieee_mode 1
		.amdhsa_fp16_overflow 0
		.amdhsa_tg_split 0
		.amdhsa_exception_fp_ieee_invalid_op 0
		.amdhsa_exception_fp_denorm_src 0
		.amdhsa_exception_fp_ieee_div_zero 0
		.amdhsa_exception_fp_ieee_overflow 0
		.amdhsa_exception_fp_ieee_underflow 0
		.amdhsa_exception_fp_ieee_inexact 0
		.amdhsa_exception_int_div_zero 0
	.end_amdhsa_kernel
	.section	.text._ZL15flash_attn_tileILi80ELi80ELi32ELi2ELb1EEvPKcS1_S1_S1_S1_PKiPfP15HIP_vector_typeIfLj2EEffffjfiS5_IjLj3EEiiiiiiiiiiiliiliiiiil,"axG",@progbits,_ZL15flash_attn_tileILi80ELi80ELi32ELi2ELb1EEvPKcS1_S1_S1_S1_PKiPfP15HIP_vector_typeIfLj2EEffffjfiS5_IjLj3EEiiiiiiiiiiiliiliiiiil,comdat
.Lfunc_end83:
	.size	_ZL15flash_attn_tileILi80ELi80ELi32ELi2ELb1EEvPKcS1_S1_S1_S1_PKiPfP15HIP_vector_typeIfLj2EEffffjfiS5_IjLj3EEiiiiiiiiiiiliiliiiiil, .Lfunc_end83-_ZL15flash_attn_tileILi80ELi80ELi32ELi2ELb1EEvPKcS1_S1_S1_S1_PKiPfP15HIP_vector_typeIfLj2EEffffjfiS5_IjLj3EEiiiiiiiiiiiliiliiiiil
                                        ; -- End function
	.section	.AMDGPU.csdata,"",@progbits
; Kernel info:
; codeLenInByte = 40
; NumSgprs: 40
; NumVgprs: 39
; NumAgprs: 0
; TotalNumVgprs: 39
; ScratchSize: 16
; MemoryBound: 0
; FloatMode: 240
; IeeeMode: 1
; LDSByteSize: 0 bytes/workgroup (compile time only)
; SGPRBlocks: 4
; VGPRBlocks: 4
; NumSGPRsForWavesPerEU: 40
; NumVGPRsForWavesPerEU: 39
; AccumOffset: 40
; Occupancy: 8
; WaveLimiterHint : 1
; COMPUTE_PGM_RSRC2:SCRATCH_EN: 1
; COMPUTE_PGM_RSRC2:USER_SGPR: 2
; COMPUTE_PGM_RSRC2:TRAP_HANDLER: 0
; COMPUTE_PGM_RSRC2:TGID_X_EN: 1
; COMPUTE_PGM_RSRC2:TGID_Y_EN: 0
; COMPUTE_PGM_RSRC2:TGID_Z_EN: 0
; COMPUTE_PGM_RSRC2:TIDIG_COMP_CNT: 0
; COMPUTE_PGM_RSRC3_GFX90A:ACCUM_OFFSET: 9
; COMPUTE_PGM_RSRC3_GFX90A:TG_SPLIT: 0
	.section	.text._ZL15flash_attn_tileILi80ELi80ELi16ELi2ELb1EEvPKcS1_S1_S1_S1_PKiPfP15HIP_vector_typeIfLj2EEffffjfiS5_IjLj3EEiiiiiiiiiiiliiliiiiil,"axG",@progbits,_ZL15flash_attn_tileILi80ELi80ELi16ELi2ELb1EEvPKcS1_S1_S1_S1_PKiPfP15HIP_vector_typeIfLj2EEffffjfiS5_IjLj3EEiiiiiiiiiiiliiliiiiil,comdat
	.globl	_ZL15flash_attn_tileILi80ELi80ELi16ELi2ELb1EEvPKcS1_S1_S1_S1_PKiPfP15HIP_vector_typeIfLj2EEffffjfiS5_IjLj3EEiiiiiiiiiiiliiliiiiil ; -- Begin function _ZL15flash_attn_tileILi80ELi80ELi16ELi2ELb1EEvPKcS1_S1_S1_S1_PKiPfP15HIP_vector_typeIfLj2EEffffjfiS5_IjLj3EEiiiiiiiiiiiliiliiiiil
	.p2align	8
	.type	_ZL15flash_attn_tileILi80ELi80ELi16ELi2ELb1EEvPKcS1_S1_S1_S1_PKiPfP15HIP_vector_typeIfLj2EEffffjfiS5_IjLj3EEiiiiiiiiiiiliiliiiiil,@function
_ZL15flash_attn_tileILi80ELi80ELi16ELi2ELb1EEvPKcS1_S1_S1_S1_PKiPfP15HIP_vector_typeIfLj2EEffffjfiS5_IjLj3EEiiiiiiiiiiiliiliiiiil: ; @_ZL15flash_attn_tileILi80ELi80ELi16ELi2ELb1EEvPKcS1_S1_S1_S1_PKiPfP15HIP_vector_typeIfLj2EEffffjfiS5_IjLj3EEiiiiiiiiiiiliiliiiiil
; %bb.0:
	s_add_u32 s8, s0, 0xd0
	s_addc_u32 s9, s1, 0
	s_mov_b32 s32, 0
	s_getpc_b64 s[0:1]
	s_add_u32 s0, s0, _ZL14no_device_codePKciS0_iS0_@rel32@lo+4
	s_addc_u32 s1, s1, _ZL14no_device_codePKciS0_iS0_@rel32@hi+12
	s_swappc_b64 s[30:31], s[0:1]
	.section	.rodata,"a",@progbits
	.p2align	6, 0x0
	.amdhsa_kernel _ZL15flash_attn_tileILi80ELi80ELi16ELi2ELb1EEvPKcS1_S1_S1_S1_PKiPfP15HIP_vector_typeIfLj2EEffffjfiS5_IjLj3EEiiiiiiiiiiiliiliiiiil
		.amdhsa_group_segment_fixed_size 0
		.amdhsa_private_segment_fixed_size 16
		.amdhsa_kernarg_size 464
		.amdhsa_user_sgpr_count 2
		.amdhsa_user_sgpr_dispatch_ptr 0
		.amdhsa_user_sgpr_queue_ptr 0
		.amdhsa_user_sgpr_kernarg_segment_ptr 1
		.amdhsa_user_sgpr_dispatch_id 0
		.amdhsa_user_sgpr_kernarg_preload_length 0
		.amdhsa_user_sgpr_kernarg_preload_offset 0
		.amdhsa_user_sgpr_private_segment_size 0
		.amdhsa_uses_dynamic_stack 0
		.amdhsa_enable_private_segment 1
		.amdhsa_system_sgpr_workgroup_id_x 1
		.amdhsa_system_sgpr_workgroup_id_y 0
		.amdhsa_system_sgpr_workgroup_id_z 0
		.amdhsa_system_sgpr_workgroup_info 0
		.amdhsa_system_vgpr_workitem_id 0
		.amdhsa_next_free_vgpr 39
		.amdhsa_next_free_sgpr 34
		.amdhsa_accum_offset 40
		.amdhsa_reserve_vcc 1
		.amdhsa_float_round_mode_32 0
		.amdhsa_float_round_mode_16_64 0
		.amdhsa_float_denorm_mode_32 3
		.amdhsa_float_denorm_mode_16_64 3
		.amdhsa_dx10_clamp 1
		.amdhsa_ieee_mode 1
		.amdhsa_fp16_overflow 0
		.amdhsa_tg_split 0
		.amdhsa_exception_fp_ieee_invalid_op 0
		.amdhsa_exception_fp_denorm_src 0
		.amdhsa_exception_fp_ieee_div_zero 0
		.amdhsa_exception_fp_ieee_overflow 0
		.amdhsa_exception_fp_ieee_underflow 0
		.amdhsa_exception_fp_ieee_inexact 0
		.amdhsa_exception_int_div_zero 0
	.end_amdhsa_kernel
	.section	.text._ZL15flash_attn_tileILi80ELi80ELi16ELi2ELb1EEvPKcS1_S1_S1_S1_PKiPfP15HIP_vector_typeIfLj2EEffffjfiS5_IjLj3EEiiiiiiiiiiiliiliiiiil,"axG",@progbits,_ZL15flash_attn_tileILi80ELi80ELi16ELi2ELb1EEvPKcS1_S1_S1_S1_PKiPfP15HIP_vector_typeIfLj2EEffffjfiS5_IjLj3EEiiiiiiiiiiiliiliiiiil,comdat
.Lfunc_end84:
	.size	_ZL15flash_attn_tileILi80ELi80ELi16ELi2ELb1EEvPKcS1_S1_S1_S1_PKiPfP15HIP_vector_typeIfLj2EEffffjfiS5_IjLj3EEiiiiiiiiiiiliiliiiiil, .Lfunc_end84-_ZL15flash_attn_tileILi80ELi80ELi16ELi2ELb1EEvPKcS1_S1_S1_S1_PKiPfP15HIP_vector_typeIfLj2EEffffjfiS5_IjLj3EEiiiiiiiiiiiliiliiiiil
                                        ; -- End function
	.section	.AMDGPU.csdata,"",@progbits
; Kernel info:
; codeLenInByte = 40
; NumSgprs: 40
; NumVgprs: 39
; NumAgprs: 0
; TotalNumVgprs: 39
; ScratchSize: 16
; MemoryBound: 0
; FloatMode: 240
; IeeeMode: 1
; LDSByteSize: 0 bytes/workgroup (compile time only)
; SGPRBlocks: 4
; VGPRBlocks: 4
; NumSGPRsForWavesPerEU: 40
; NumVGPRsForWavesPerEU: 39
; AccumOffset: 40
; Occupancy: 8
; WaveLimiterHint : 1
; COMPUTE_PGM_RSRC2:SCRATCH_EN: 1
; COMPUTE_PGM_RSRC2:USER_SGPR: 2
; COMPUTE_PGM_RSRC2:TRAP_HANDLER: 0
; COMPUTE_PGM_RSRC2:TGID_X_EN: 1
; COMPUTE_PGM_RSRC2:TGID_Y_EN: 0
; COMPUTE_PGM_RSRC2:TGID_Z_EN: 0
; COMPUTE_PGM_RSRC2:TIDIG_COMP_CNT: 0
; COMPUTE_PGM_RSRC3_GFX90A:ACCUM_OFFSET: 9
; COMPUTE_PGM_RSRC3_GFX90A:TG_SPLIT: 0
	.section	.text._ZL15flash_attn_tileILi80ELi80ELi8ELi2ELb1EEvPKcS1_S1_S1_S1_PKiPfP15HIP_vector_typeIfLj2EEffffjfiS5_IjLj3EEiiiiiiiiiiiliiliiiiil,"axG",@progbits,_ZL15flash_attn_tileILi80ELi80ELi8ELi2ELb1EEvPKcS1_S1_S1_S1_PKiPfP15HIP_vector_typeIfLj2EEffffjfiS5_IjLj3EEiiiiiiiiiiiliiliiiiil,comdat
	.globl	_ZL15flash_attn_tileILi80ELi80ELi8ELi2ELb1EEvPKcS1_S1_S1_S1_PKiPfP15HIP_vector_typeIfLj2EEffffjfiS5_IjLj3EEiiiiiiiiiiiliiliiiiil ; -- Begin function _ZL15flash_attn_tileILi80ELi80ELi8ELi2ELb1EEvPKcS1_S1_S1_S1_PKiPfP15HIP_vector_typeIfLj2EEffffjfiS5_IjLj3EEiiiiiiiiiiiliiliiiiil
	.p2align	8
	.type	_ZL15flash_attn_tileILi80ELi80ELi8ELi2ELb1EEvPKcS1_S1_S1_S1_PKiPfP15HIP_vector_typeIfLj2EEffffjfiS5_IjLj3EEiiiiiiiiiiiliiliiiiil,@function
_ZL15flash_attn_tileILi80ELi80ELi8ELi2ELb1EEvPKcS1_S1_S1_S1_PKiPfP15HIP_vector_typeIfLj2EEffffjfiS5_IjLj3EEiiiiiiiiiiiliiliiiiil: ; @_ZL15flash_attn_tileILi80ELi80ELi8ELi2ELb1EEvPKcS1_S1_S1_S1_PKiPfP15HIP_vector_typeIfLj2EEffffjfiS5_IjLj3EEiiiiiiiiiiiliiliiiiil
; %bb.0:
	s_add_u32 s8, s0, 0xd0
	s_addc_u32 s9, s1, 0
	s_mov_b32 s32, 0
	s_getpc_b64 s[0:1]
	s_add_u32 s0, s0, _ZL14no_device_codePKciS0_iS0_@rel32@lo+4
	s_addc_u32 s1, s1, _ZL14no_device_codePKciS0_iS0_@rel32@hi+12
	s_swappc_b64 s[30:31], s[0:1]
	.section	.rodata,"a",@progbits
	.p2align	6, 0x0
	.amdhsa_kernel _ZL15flash_attn_tileILi80ELi80ELi8ELi2ELb1EEvPKcS1_S1_S1_S1_PKiPfP15HIP_vector_typeIfLj2EEffffjfiS5_IjLj3EEiiiiiiiiiiiliiliiiiil
		.amdhsa_group_segment_fixed_size 0
		.amdhsa_private_segment_fixed_size 16
		.amdhsa_kernarg_size 464
		.amdhsa_user_sgpr_count 2
		.amdhsa_user_sgpr_dispatch_ptr 0
		.amdhsa_user_sgpr_queue_ptr 0
		.amdhsa_user_sgpr_kernarg_segment_ptr 1
		.amdhsa_user_sgpr_dispatch_id 0
		.amdhsa_user_sgpr_kernarg_preload_length 0
		.amdhsa_user_sgpr_kernarg_preload_offset 0
		.amdhsa_user_sgpr_private_segment_size 0
		.amdhsa_uses_dynamic_stack 0
		.amdhsa_enable_private_segment 1
		.amdhsa_system_sgpr_workgroup_id_x 1
		.amdhsa_system_sgpr_workgroup_id_y 0
		.amdhsa_system_sgpr_workgroup_id_z 0
		.amdhsa_system_sgpr_workgroup_info 0
		.amdhsa_system_vgpr_workitem_id 0
		.amdhsa_next_free_vgpr 39
		.amdhsa_next_free_sgpr 34
		.amdhsa_accum_offset 40
		.amdhsa_reserve_vcc 1
		.amdhsa_float_round_mode_32 0
		.amdhsa_float_round_mode_16_64 0
		.amdhsa_float_denorm_mode_32 3
		.amdhsa_float_denorm_mode_16_64 3
		.amdhsa_dx10_clamp 1
		.amdhsa_ieee_mode 1
		.amdhsa_fp16_overflow 0
		.amdhsa_tg_split 0
		.amdhsa_exception_fp_ieee_invalid_op 0
		.amdhsa_exception_fp_denorm_src 0
		.amdhsa_exception_fp_ieee_div_zero 0
		.amdhsa_exception_fp_ieee_overflow 0
		.amdhsa_exception_fp_ieee_underflow 0
		.amdhsa_exception_fp_ieee_inexact 0
		.amdhsa_exception_int_div_zero 0
	.end_amdhsa_kernel
	.section	.text._ZL15flash_attn_tileILi80ELi80ELi8ELi2ELb1EEvPKcS1_S1_S1_S1_PKiPfP15HIP_vector_typeIfLj2EEffffjfiS5_IjLj3EEiiiiiiiiiiiliiliiiiil,"axG",@progbits,_ZL15flash_attn_tileILi80ELi80ELi8ELi2ELb1EEvPKcS1_S1_S1_S1_PKiPfP15HIP_vector_typeIfLj2EEffffjfiS5_IjLj3EEiiiiiiiiiiiliiliiiiil,comdat
.Lfunc_end85:
	.size	_ZL15flash_attn_tileILi80ELi80ELi8ELi2ELb1EEvPKcS1_S1_S1_S1_PKiPfP15HIP_vector_typeIfLj2EEffffjfiS5_IjLj3EEiiiiiiiiiiiliiliiiiil, .Lfunc_end85-_ZL15flash_attn_tileILi80ELi80ELi8ELi2ELb1EEvPKcS1_S1_S1_S1_PKiPfP15HIP_vector_typeIfLj2EEffffjfiS5_IjLj3EEiiiiiiiiiiiliiliiiiil
                                        ; -- End function
	.section	.AMDGPU.csdata,"",@progbits
; Kernel info:
; codeLenInByte = 40
; NumSgprs: 40
; NumVgprs: 39
; NumAgprs: 0
; TotalNumVgprs: 39
; ScratchSize: 16
; MemoryBound: 0
; FloatMode: 240
; IeeeMode: 1
; LDSByteSize: 0 bytes/workgroup (compile time only)
; SGPRBlocks: 4
; VGPRBlocks: 4
; NumSGPRsForWavesPerEU: 40
; NumVGPRsForWavesPerEU: 39
; AccumOffset: 40
; Occupancy: 8
; WaveLimiterHint : 1
; COMPUTE_PGM_RSRC2:SCRATCH_EN: 1
; COMPUTE_PGM_RSRC2:USER_SGPR: 2
; COMPUTE_PGM_RSRC2:TRAP_HANDLER: 0
; COMPUTE_PGM_RSRC2:TGID_X_EN: 1
; COMPUTE_PGM_RSRC2:TGID_Y_EN: 0
; COMPUTE_PGM_RSRC2:TGID_Z_EN: 0
; COMPUTE_PGM_RSRC2:TIDIG_COMP_CNT: 0
; COMPUTE_PGM_RSRC3_GFX90A:ACCUM_OFFSET: 9
; COMPUTE_PGM_RSRC3_GFX90A:TG_SPLIT: 0
	.section	.text._ZL15flash_attn_tileILi80ELi80ELi4ELi2ELb1EEvPKcS1_S1_S1_S1_PKiPfP15HIP_vector_typeIfLj2EEffffjfiS5_IjLj3EEiiiiiiiiiiiliiliiiiil,"axG",@progbits,_ZL15flash_attn_tileILi80ELi80ELi4ELi2ELb1EEvPKcS1_S1_S1_S1_PKiPfP15HIP_vector_typeIfLj2EEffffjfiS5_IjLj3EEiiiiiiiiiiiliiliiiiil,comdat
	.globl	_ZL15flash_attn_tileILi80ELi80ELi4ELi2ELb1EEvPKcS1_S1_S1_S1_PKiPfP15HIP_vector_typeIfLj2EEffffjfiS5_IjLj3EEiiiiiiiiiiiliiliiiiil ; -- Begin function _ZL15flash_attn_tileILi80ELi80ELi4ELi2ELb1EEvPKcS1_S1_S1_S1_PKiPfP15HIP_vector_typeIfLj2EEffffjfiS5_IjLj3EEiiiiiiiiiiiliiliiiiil
	.p2align	8
	.type	_ZL15flash_attn_tileILi80ELi80ELi4ELi2ELb1EEvPKcS1_S1_S1_S1_PKiPfP15HIP_vector_typeIfLj2EEffffjfiS5_IjLj3EEiiiiiiiiiiiliiliiiiil,@function
_ZL15flash_attn_tileILi80ELi80ELi4ELi2ELb1EEvPKcS1_S1_S1_S1_PKiPfP15HIP_vector_typeIfLj2EEffffjfiS5_IjLj3EEiiiiiiiiiiiliiliiiiil: ; @_ZL15flash_attn_tileILi80ELi80ELi4ELi2ELb1EEvPKcS1_S1_S1_S1_PKiPfP15HIP_vector_typeIfLj2EEffffjfiS5_IjLj3EEiiiiiiiiiiiliiliiiiil
; %bb.0:
	s_add_u32 s8, s0, 0xd0
	s_addc_u32 s9, s1, 0
	s_mov_b32 s32, 0
	s_getpc_b64 s[0:1]
	s_add_u32 s0, s0, _ZL14no_device_codePKciS0_iS0_@rel32@lo+4
	s_addc_u32 s1, s1, _ZL14no_device_codePKciS0_iS0_@rel32@hi+12
	s_swappc_b64 s[30:31], s[0:1]
	.section	.rodata,"a",@progbits
	.p2align	6, 0x0
	.amdhsa_kernel _ZL15flash_attn_tileILi80ELi80ELi4ELi2ELb1EEvPKcS1_S1_S1_S1_PKiPfP15HIP_vector_typeIfLj2EEffffjfiS5_IjLj3EEiiiiiiiiiiiliiliiiiil
		.amdhsa_group_segment_fixed_size 0
		.amdhsa_private_segment_fixed_size 16
		.amdhsa_kernarg_size 464
		.amdhsa_user_sgpr_count 2
		.amdhsa_user_sgpr_dispatch_ptr 0
		.amdhsa_user_sgpr_queue_ptr 0
		.amdhsa_user_sgpr_kernarg_segment_ptr 1
		.amdhsa_user_sgpr_dispatch_id 0
		.amdhsa_user_sgpr_kernarg_preload_length 0
		.amdhsa_user_sgpr_kernarg_preload_offset 0
		.amdhsa_user_sgpr_private_segment_size 0
		.amdhsa_uses_dynamic_stack 0
		.amdhsa_enable_private_segment 1
		.amdhsa_system_sgpr_workgroup_id_x 1
		.amdhsa_system_sgpr_workgroup_id_y 0
		.amdhsa_system_sgpr_workgroup_id_z 0
		.amdhsa_system_sgpr_workgroup_info 0
		.amdhsa_system_vgpr_workitem_id 0
		.amdhsa_next_free_vgpr 39
		.amdhsa_next_free_sgpr 34
		.amdhsa_accum_offset 40
		.amdhsa_reserve_vcc 1
		.amdhsa_float_round_mode_32 0
		.amdhsa_float_round_mode_16_64 0
		.amdhsa_float_denorm_mode_32 3
		.amdhsa_float_denorm_mode_16_64 3
		.amdhsa_dx10_clamp 1
		.amdhsa_ieee_mode 1
		.amdhsa_fp16_overflow 0
		.amdhsa_tg_split 0
		.amdhsa_exception_fp_ieee_invalid_op 0
		.amdhsa_exception_fp_denorm_src 0
		.amdhsa_exception_fp_ieee_div_zero 0
		.amdhsa_exception_fp_ieee_overflow 0
		.amdhsa_exception_fp_ieee_underflow 0
		.amdhsa_exception_fp_ieee_inexact 0
		.amdhsa_exception_int_div_zero 0
	.end_amdhsa_kernel
	.section	.text._ZL15flash_attn_tileILi80ELi80ELi4ELi2ELb1EEvPKcS1_S1_S1_S1_PKiPfP15HIP_vector_typeIfLj2EEffffjfiS5_IjLj3EEiiiiiiiiiiiliiliiiiil,"axG",@progbits,_ZL15flash_attn_tileILi80ELi80ELi4ELi2ELb1EEvPKcS1_S1_S1_S1_PKiPfP15HIP_vector_typeIfLj2EEffffjfiS5_IjLj3EEiiiiiiiiiiiliiliiiiil,comdat
.Lfunc_end86:
	.size	_ZL15flash_attn_tileILi80ELi80ELi4ELi2ELb1EEvPKcS1_S1_S1_S1_PKiPfP15HIP_vector_typeIfLj2EEffffjfiS5_IjLj3EEiiiiiiiiiiiliiliiiiil, .Lfunc_end86-_ZL15flash_attn_tileILi80ELi80ELi4ELi2ELb1EEvPKcS1_S1_S1_S1_PKiPfP15HIP_vector_typeIfLj2EEffffjfiS5_IjLj3EEiiiiiiiiiiiliiliiiiil
                                        ; -- End function
	.section	.AMDGPU.csdata,"",@progbits
; Kernel info:
; codeLenInByte = 40
; NumSgprs: 40
; NumVgprs: 39
; NumAgprs: 0
; TotalNumVgprs: 39
; ScratchSize: 16
; MemoryBound: 0
; FloatMode: 240
; IeeeMode: 1
; LDSByteSize: 0 bytes/workgroup (compile time only)
; SGPRBlocks: 4
; VGPRBlocks: 4
; NumSGPRsForWavesPerEU: 40
; NumVGPRsForWavesPerEU: 39
; AccumOffset: 40
; Occupancy: 8
; WaveLimiterHint : 1
; COMPUTE_PGM_RSRC2:SCRATCH_EN: 1
; COMPUTE_PGM_RSRC2:USER_SGPR: 2
; COMPUTE_PGM_RSRC2:TRAP_HANDLER: 0
; COMPUTE_PGM_RSRC2:TGID_X_EN: 1
; COMPUTE_PGM_RSRC2:TGID_Y_EN: 0
; COMPUTE_PGM_RSRC2:TGID_Z_EN: 0
; COMPUTE_PGM_RSRC2:TIDIG_COMP_CNT: 0
; COMPUTE_PGM_RSRC3_GFX90A:ACCUM_OFFSET: 9
; COMPUTE_PGM_RSRC3_GFX90A:TG_SPLIT: 0
	.section	.text._ZL15flash_attn_tileILi80ELi80ELi2ELi2ELb1EEvPKcS1_S1_S1_S1_PKiPfP15HIP_vector_typeIfLj2EEffffjfiS5_IjLj3EEiiiiiiiiiiiliiliiiiil,"axG",@progbits,_ZL15flash_attn_tileILi80ELi80ELi2ELi2ELb1EEvPKcS1_S1_S1_S1_PKiPfP15HIP_vector_typeIfLj2EEffffjfiS5_IjLj3EEiiiiiiiiiiiliiliiiiil,comdat
	.globl	_ZL15flash_attn_tileILi80ELi80ELi2ELi2ELb1EEvPKcS1_S1_S1_S1_PKiPfP15HIP_vector_typeIfLj2EEffffjfiS5_IjLj3EEiiiiiiiiiiiliiliiiiil ; -- Begin function _ZL15flash_attn_tileILi80ELi80ELi2ELi2ELb1EEvPKcS1_S1_S1_S1_PKiPfP15HIP_vector_typeIfLj2EEffffjfiS5_IjLj3EEiiiiiiiiiiiliiliiiiil
	.p2align	8
	.type	_ZL15flash_attn_tileILi80ELi80ELi2ELi2ELb1EEvPKcS1_S1_S1_S1_PKiPfP15HIP_vector_typeIfLj2EEffffjfiS5_IjLj3EEiiiiiiiiiiiliiliiiiil,@function
_ZL15flash_attn_tileILi80ELi80ELi2ELi2ELb1EEvPKcS1_S1_S1_S1_PKiPfP15HIP_vector_typeIfLj2EEffffjfiS5_IjLj3EEiiiiiiiiiiiliiliiiiil: ; @_ZL15flash_attn_tileILi80ELi80ELi2ELi2ELb1EEvPKcS1_S1_S1_S1_PKiPfP15HIP_vector_typeIfLj2EEffffjfiS5_IjLj3EEiiiiiiiiiiiliiliiiiil
; %bb.0:
	s_add_u32 s8, s0, 0xd0
	s_addc_u32 s9, s1, 0
	s_mov_b32 s32, 0
	s_getpc_b64 s[0:1]
	s_add_u32 s0, s0, _ZL14no_device_codePKciS0_iS0_@rel32@lo+4
	s_addc_u32 s1, s1, _ZL14no_device_codePKciS0_iS0_@rel32@hi+12
	s_swappc_b64 s[30:31], s[0:1]
	.section	.rodata,"a",@progbits
	.p2align	6, 0x0
	.amdhsa_kernel _ZL15flash_attn_tileILi80ELi80ELi2ELi2ELb1EEvPKcS1_S1_S1_S1_PKiPfP15HIP_vector_typeIfLj2EEffffjfiS5_IjLj3EEiiiiiiiiiiiliiliiiiil
		.amdhsa_group_segment_fixed_size 0
		.amdhsa_private_segment_fixed_size 16
		.amdhsa_kernarg_size 464
		.amdhsa_user_sgpr_count 2
		.amdhsa_user_sgpr_dispatch_ptr 0
		.amdhsa_user_sgpr_queue_ptr 0
		.amdhsa_user_sgpr_kernarg_segment_ptr 1
		.amdhsa_user_sgpr_dispatch_id 0
		.amdhsa_user_sgpr_kernarg_preload_length 0
		.amdhsa_user_sgpr_kernarg_preload_offset 0
		.amdhsa_user_sgpr_private_segment_size 0
		.amdhsa_uses_dynamic_stack 0
		.amdhsa_enable_private_segment 1
		.amdhsa_system_sgpr_workgroup_id_x 1
		.amdhsa_system_sgpr_workgroup_id_y 0
		.amdhsa_system_sgpr_workgroup_id_z 0
		.amdhsa_system_sgpr_workgroup_info 0
		.amdhsa_system_vgpr_workitem_id 0
		.amdhsa_next_free_vgpr 39
		.amdhsa_next_free_sgpr 34
		.amdhsa_accum_offset 40
		.amdhsa_reserve_vcc 1
		.amdhsa_float_round_mode_32 0
		.amdhsa_float_round_mode_16_64 0
		.amdhsa_float_denorm_mode_32 3
		.amdhsa_float_denorm_mode_16_64 3
		.amdhsa_dx10_clamp 1
		.amdhsa_ieee_mode 1
		.amdhsa_fp16_overflow 0
		.amdhsa_tg_split 0
		.amdhsa_exception_fp_ieee_invalid_op 0
		.amdhsa_exception_fp_denorm_src 0
		.amdhsa_exception_fp_ieee_div_zero 0
		.amdhsa_exception_fp_ieee_overflow 0
		.amdhsa_exception_fp_ieee_underflow 0
		.amdhsa_exception_fp_ieee_inexact 0
		.amdhsa_exception_int_div_zero 0
	.end_amdhsa_kernel
	.section	.text._ZL15flash_attn_tileILi80ELi80ELi2ELi2ELb1EEvPKcS1_S1_S1_S1_PKiPfP15HIP_vector_typeIfLj2EEffffjfiS5_IjLj3EEiiiiiiiiiiiliiliiiiil,"axG",@progbits,_ZL15flash_attn_tileILi80ELi80ELi2ELi2ELb1EEvPKcS1_S1_S1_S1_PKiPfP15HIP_vector_typeIfLj2EEffffjfiS5_IjLj3EEiiiiiiiiiiiliiliiiiil,comdat
.Lfunc_end87:
	.size	_ZL15flash_attn_tileILi80ELi80ELi2ELi2ELb1EEvPKcS1_S1_S1_S1_PKiPfP15HIP_vector_typeIfLj2EEffffjfiS5_IjLj3EEiiiiiiiiiiiliiliiiiil, .Lfunc_end87-_ZL15flash_attn_tileILi80ELi80ELi2ELi2ELb1EEvPKcS1_S1_S1_S1_PKiPfP15HIP_vector_typeIfLj2EEffffjfiS5_IjLj3EEiiiiiiiiiiiliiliiiiil
                                        ; -- End function
	.section	.AMDGPU.csdata,"",@progbits
; Kernel info:
; codeLenInByte = 40
; NumSgprs: 40
; NumVgprs: 39
; NumAgprs: 0
; TotalNumVgprs: 39
; ScratchSize: 16
; MemoryBound: 0
; FloatMode: 240
; IeeeMode: 1
; LDSByteSize: 0 bytes/workgroup (compile time only)
; SGPRBlocks: 4
; VGPRBlocks: 4
; NumSGPRsForWavesPerEU: 40
; NumVGPRsForWavesPerEU: 39
; AccumOffset: 40
; Occupancy: 8
; WaveLimiterHint : 1
; COMPUTE_PGM_RSRC2:SCRATCH_EN: 1
; COMPUTE_PGM_RSRC2:USER_SGPR: 2
; COMPUTE_PGM_RSRC2:TRAP_HANDLER: 0
; COMPUTE_PGM_RSRC2:TGID_X_EN: 1
; COMPUTE_PGM_RSRC2:TGID_Y_EN: 0
; COMPUTE_PGM_RSRC2:TGID_Z_EN: 0
; COMPUTE_PGM_RSRC2:TIDIG_COMP_CNT: 0
; COMPUTE_PGM_RSRC3_GFX90A:ACCUM_OFFSET: 9
; COMPUTE_PGM_RSRC3_GFX90A:TG_SPLIT: 0
	.section	.text._ZL15flash_attn_tileILi80ELi80ELi1ELi2ELb1EEvPKcS1_S1_S1_S1_PKiPfP15HIP_vector_typeIfLj2EEffffjfiS5_IjLj3EEiiiiiiiiiiiliiliiiiil,"axG",@progbits,_ZL15flash_attn_tileILi80ELi80ELi1ELi2ELb1EEvPKcS1_S1_S1_S1_PKiPfP15HIP_vector_typeIfLj2EEffffjfiS5_IjLj3EEiiiiiiiiiiiliiliiiiil,comdat
	.globl	_ZL15flash_attn_tileILi80ELi80ELi1ELi2ELb1EEvPKcS1_S1_S1_S1_PKiPfP15HIP_vector_typeIfLj2EEffffjfiS5_IjLj3EEiiiiiiiiiiiliiliiiiil ; -- Begin function _ZL15flash_attn_tileILi80ELi80ELi1ELi2ELb1EEvPKcS1_S1_S1_S1_PKiPfP15HIP_vector_typeIfLj2EEffffjfiS5_IjLj3EEiiiiiiiiiiiliiliiiiil
	.p2align	8
	.type	_ZL15flash_attn_tileILi80ELi80ELi1ELi2ELb1EEvPKcS1_S1_S1_S1_PKiPfP15HIP_vector_typeIfLj2EEffffjfiS5_IjLj3EEiiiiiiiiiiiliiliiiiil,@function
_ZL15flash_attn_tileILi80ELi80ELi1ELi2ELb1EEvPKcS1_S1_S1_S1_PKiPfP15HIP_vector_typeIfLj2EEffffjfiS5_IjLj3EEiiiiiiiiiiiliiliiiiil: ; @_ZL15flash_attn_tileILi80ELi80ELi1ELi2ELb1EEvPKcS1_S1_S1_S1_PKiPfP15HIP_vector_typeIfLj2EEffffjfiS5_IjLj3EEiiiiiiiiiiiliiliiiiil
; %bb.0:
	s_add_u32 s8, s0, 0xd0
	s_addc_u32 s9, s1, 0
	s_mov_b32 s32, 0
	s_getpc_b64 s[0:1]
	s_add_u32 s0, s0, _ZL14no_device_codePKciS0_iS0_@rel32@lo+4
	s_addc_u32 s1, s1, _ZL14no_device_codePKciS0_iS0_@rel32@hi+12
	s_swappc_b64 s[30:31], s[0:1]
	.section	.rodata,"a",@progbits
	.p2align	6, 0x0
	.amdhsa_kernel _ZL15flash_attn_tileILi80ELi80ELi1ELi2ELb1EEvPKcS1_S1_S1_S1_PKiPfP15HIP_vector_typeIfLj2EEffffjfiS5_IjLj3EEiiiiiiiiiiiliiliiiiil
		.amdhsa_group_segment_fixed_size 0
		.amdhsa_private_segment_fixed_size 16
		.amdhsa_kernarg_size 464
		.amdhsa_user_sgpr_count 2
		.amdhsa_user_sgpr_dispatch_ptr 0
		.amdhsa_user_sgpr_queue_ptr 0
		.amdhsa_user_sgpr_kernarg_segment_ptr 1
		.amdhsa_user_sgpr_dispatch_id 0
		.amdhsa_user_sgpr_kernarg_preload_length 0
		.amdhsa_user_sgpr_kernarg_preload_offset 0
		.amdhsa_user_sgpr_private_segment_size 0
		.amdhsa_uses_dynamic_stack 0
		.amdhsa_enable_private_segment 1
		.amdhsa_system_sgpr_workgroup_id_x 1
		.amdhsa_system_sgpr_workgroup_id_y 0
		.amdhsa_system_sgpr_workgroup_id_z 0
		.amdhsa_system_sgpr_workgroup_info 0
		.amdhsa_system_vgpr_workitem_id 0
		.amdhsa_next_free_vgpr 39
		.amdhsa_next_free_sgpr 34
		.amdhsa_accum_offset 40
		.amdhsa_reserve_vcc 1
		.amdhsa_float_round_mode_32 0
		.amdhsa_float_round_mode_16_64 0
		.amdhsa_float_denorm_mode_32 3
		.amdhsa_float_denorm_mode_16_64 3
		.amdhsa_dx10_clamp 1
		.amdhsa_ieee_mode 1
		.amdhsa_fp16_overflow 0
		.amdhsa_tg_split 0
		.amdhsa_exception_fp_ieee_invalid_op 0
		.amdhsa_exception_fp_denorm_src 0
		.amdhsa_exception_fp_ieee_div_zero 0
		.amdhsa_exception_fp_ieee_overflow 0
		.amdhsa_exception_fp_ieee_underflow 0
		.amdhsa_exception_fp_ieee_inexact 0
		.amdhsa_exception_int_div_zero 0
	.end_amdhsa_kernel
	.section	.text._ZL15flash_attn_tileILi80ELi80ELi1ELi2ELb1EEvPKcS1_S1_S1_S1_PKiPfP15HIP_vector_typeIfLj2EEffffjfiS5_IjLj3EEiiiiiiiiiiiliiliiiiil,"axG",@progbits,_ZL15flash_attn_tileILi80ELi80ELi1ELi2ELb1EEvPKcS1_S1_S1_S1_PKiPfP15HIP_vector_typeIfLj2EEffffjfiS5_IjLj3EEiiiiiiiiiiiliiliiiiil,comdat
.Lfunc_end88:
	.size	_ZL15flash_attn_tileILi80ELi80ELi1ELi2ELb1EEvPKcS1_S1_S1_S1_PKiPfP15HIP_vector_typeIfLj2EEffffjfiS5_IjLj3EEiiiiiiiiiiiliiliiiiil, .Lfunc_end88-_ZL15flash_attn_tileILi80ELi80ELi1ELi2ELb1EEvPKcS1_S1_S1_S1_PKiPfP15HIP_vector_typeIfLj2EEffffjfiS5_IjLj3EEiiiiiiiiiiiliiliiiiil
                                        ; -- End function
	.section	.AMDGPU.csdata,"",@progbits
; Kernel info:
; codeLenInByte = 40
; NumSgprs: 40
; NumVgprs: 39
; NumAgprs: 0
; TotalNumVgprs: 39
; ScratchSize: 16
; MemoryBound: 0
; FloatMode: 240
; IeeeMode: 1
; LDSByteSize: 0 bytes/workgroup (compile time only)
; SGPRBlocks: 4
; VGPRBlocks: 4
; NumSGPRsForWavesPerEU: 40
; NumVGPRsForWavesPerEU: 39
; AccumOffset: 40
; Occupancy: 8
; WaveLimiterHint : 1
; COMPUTE_PGM_RSRC2:SCRATCH_EN: 1
; COMPUTE_PGM_RSRC2:USER_SGPR: 2
; COMPUTE_PGM_RSRC2:TRAP_HANDLER: 0
; COMPUTE_PGM_RSRC2:TGID_X_EN: 1
; COMPUTE_PGM_RSRC2:TGID_Y_EN: 0
; COMPUTE_PGM_RSRC2:TGID_Z_EN: 0
; COMPUTE_PGM_RSRC2:TIDIG_COMP_CNT: 0
; COMPUTE_PGM_RSRC3_GFX90A:ACCUM_OFFSET: 9
; COMPUTE_PGM_RSRC3_GFX90A:TG_SPLIT: 0
	.section	.text._ZL15flash_attn_tileILi80ELi80ELi64ELi1ELb1EEvPKcS1_S1_S1_S1_PKiPfP15HIP_vector_typeIfLj2EEffffjfiS5_IjLj3EEiiiiiiiiiiiliiliiiiil,"axG",@progbits,_ZL15flash_attn_tileILi80ELi80ELi64ELi1ELb1EEvPKcS1_S1_S1_S1_PKiPfP15HIP_vector_typeIfLj2EEffffjfiS5_IjLj3EEiiiiiiiiiiiliiliiiiil,comdat
	.globl	_ZL15flash_attn_tileILi80ELi80ELi64ELi1ELb1EEvPKcS1_S1_S1_S1_PKiPfP15HIP_vector_typeIfLj2EEffffjfiS5_IjLj3EEiiiiiiiiiiiliiliiiiil ; -- Begin function _ZL15flash_attn_tileILi80ELi80ELi64ELi1ELb1EEvPKcS1_S1_S1_S1_PKiPfP15HIP_vector_typeIfLj2EEffffjfiS5_IjLj3EEiiiiiiiiiiiliiliiiiil
	.p2align	8
	.type	_ZL15flash_attn_tileILi80ELi80ELi64ELi1ELb1EEvPKcS1_S1_S1_S1_PKiPfP15HIP_vector_typeIfLj2EEffffjfiS5_IjLj3EEiiiiiiiiiiiliiliiiiil,@function
_ZL15flash_attn_tileILi80ELi80ELi64ELi1ELb1EEvPKcS1_S1_S1_S1_PKiPfP15HIP_vector_typeIfLj2EEffffjfiS5_IjLj3EEiiiiiiiiiiiliiliiiiil: ; @_ZL15flash_attn_tileILi80ELi80ELi64ELi1ELb1EEvPKcS1_S1_S1_S1_PKiPfP15HIP_vector_typeIfLj2EEffffjfiS5_IjLj3EEiiiiiiiiiiiliiliiiiil
; %bb.0:
	s_add_u32 s8, s0, 0xd0
	s_addc_u32 s9, s1, 0
	s_mov_b32 s32, 0
	s_getpc_b64 s[0:1]
	s_add_u32 s0, s0, _ZL14no_device_codePKciS0_iS0_@rel32@lo+4
	s_addc_u32 s1, s1, _ZL14no_device_codePKciS0_iS0_@rel32@hi+12
	s_swappc_b64 s[30:31], s[0:1]
	.section	.rodata,"a",@progbits
	.p2align	6, 0x0
	.amdhsa_kernel _ZL15flash_attn_tileILi80ELi80ELi64ELi1ELb1EEvPKcS1_S1_S1_S1_PKiPfP15HIP_vector_typeIfLj2EEffffjfiS5_IjLj3EEiiiiiiiiiiiliiliiiiil
		.amdhsa_group_segment_fixed_size 0
		.amdhsa_private_segment_fixed_size 16
		.amdhsa_kernarg_size 464
		.amdhsa_user_sgpr_count 2
		.amdhsa_user_sgpr_dispatch_ptr 0
		.amdhsa_user_sgpr_queue_ptr 0
		.amdhsa_user_sgpr_kernarg_segment_ptr 1
		.amdhsa_user_sgpr_dispatch_id 0
		.amdhsa_user_sgpr_kernarg_preload_length 0
		.amdhsa_user_sgpr_kernarg_preload_offset 0
		.amdhsa_user_sgpr_private_segment_size 0
		.amdhsa_uses_dynamic_stack 0
		.amdhsa_enable_private_segment 1
		.amdhsa_system_sgpr_workgroup_id_x 1
		.amdhsa_system_sgpr_workgroup_id_y 0
		.amdhsa_system_sgpr_workgroup_id_z 0
		.amdhsa_system_sgpr_workgroup_info 0
		.amdhsa_system_vgpr_workitem_id 0
		.amdhsa_next_free_vgpr 39
		.amdhsa_next_free_sgpr 34
		.amdhsa_accum_offset 40
		.amdhsa_reserve_vcc 1
		.amdhsa_float_round_mode_32 0
		.amdhsa_float_round_mode_16_64 0
		.amdhsa_float_denorm_mode_32 3
		.amdhsa_float_denorm_mode_16_64 3
		.amdhsa_dx10_clamp 1
		.amdhsa_ieee_mode 1
		.amdhsa_fp16_overflow 0
		.amdhsa_tg_split 0
		.amdhsa_exception_fp_ieee_invalid_op 0
		.amdhsa_exception_fp_denorm_src 0
		.amdhsa_exception_fp_ieee_div_zero 0
		.amdhsa_exception_fp_ieee_overflow 0
		.amdhsa_exception_fp_ieee_underflow 0
		.amdhsa_exception_fp_ieee_inexact 0
		.amdhsa_exception_int_div_zero 0
	.end_amdhsa_kernel
	.section	.text._ZL15flash_attn_tileILi80ELi80ELi64ELi1ELb1EEvPKcS1_S1_S1_S1_PKiPfP15HIP_vector_typeIfLj2EEffffjfiS5_IjLj3EEiiiiiiiiiiiliiliiiiil,"axG",@progbits,_ZL15flash_attn_tileILi80ELi80ELi64ELi1ELb1EEvPKcS1_S1_S1_S1_PKiPfP15HIP_vector_typeIfLj2EEffffjfiS5_IjLj3EEiiiiiiiiiiiliiliiiiil,comdat
.Lfunc_end89:
	.size	_ZL15flash_attn_tileILi80ELi80ELi64ELi1ELb1EEvPKcS1_S1_S1_S1_PKiPfP15HIP_vector_typeIfLj2EEffffjfiS5_IjLj3EEiiiiiiiiiiiliiliiiiil, .Lfunc_end89-_ZL15flash_attn_tileILi80ELi80ELi64ELi1ELb1EEvPKcS1_S1_S1_S1_PKiPfP15HIP_vector_typeIfLj2EEffffjfiS5_IjLj3EEiiiiiiiiiiiliiliiiiil
                                        ; -- End function
	.section	.AMDGPU.csdata,"",@progbits
; Kernel info:
; codeLenInByte = 40
; NumSgprs: 40
; NumVgprs: 39
; NumAgprs: 0
; TotalNumVgprs: 39
; ScratchSize: 16
; MemoryBound: 0
; FloatMode: 240
; IeeeMode: 1
; LDSByteSize: 0 bytes/workgroup (compile time only)
; SGPRBlocks: 4
; VGPRBlocks: 4
; NumSGPRsForWavesPerEU: 40
; NumVGPRsForWavesPerEU: 39
; AccumOffset: 40
; Occupancy: 8
; WaveLimiterHint : 1
; COMPUTE_PGM_RSRC2:SCRATCH_EN: 1
; COMPUTE_PGM_RSRC2:USER_SGPR: 2
; COMPUTE_PGM_RSRC2:TRAP_HANDLER: 0
; COMPUTE_PGM_RSRC2:TGID_X_EN: 1
; COMPUTE_PGM_RSRC2:TGID_Y_EN: 0
; COMPUTE_PGM_RSRC2:TGID_Z_EN: 0
; COMPUTE_PGM_RSRC2:TIDIG_COMP_CNT: 0
; COMPUTE_PGM_RSRC3_GFX90A:ACCUM_OFFSET: 9
; COMPUTE_PGM_RSRC3_GFX90A:TG_SPLIT: 0
	.section	.text._ZL15flash_attn_tileILi80ELi80ELi32ELi1ELb1EEvPKcS1_S1_S1_S1_PKiPfP15HIP_vector_typeIfLj2EEffffjfiS5_IjLj3EEiiiiiiiiiiiliiliiiiil,"axG",@progbits,_ZL15flash_attn_tileILi80ELi80ELi32ELi1ELb1EEvPKcS1_S1_S1_S1_PKiPfP15HIP_vector_typeIfLj2EEffffjfiS5_IjLj3EEiiiiiiiiiiiliiliiiiil,comdat
	.globl	_ZL15flash_attn_tileILi80ELi80ELi32ELi1ELb1EEvPKcS1_S1_S1_S1_PKiPfP15HIP_vector_typeIfLj2EEffffjfiS5_IjLj3EEiiiiiiiiiiiliiliiiiil ; -- Begin function _ZL15flash_attn_tileILi80ELi80ELi32ELi1ELb1EEvPKcS1_S1_S1_S1_PKiPfP15HIP_vector_typeIfLj2EEffffjfiS5_IjLj3EEiiiiiiiiiiiliiliiiiil
	.p2align	8
	.type	_ZL15flash_attn_tileILi80ELi80ELi32ELi1ELb1EEvPKcS1_S1_S1_S1_PKiPfP15HIP_vector_typeIfLj2EEffffjfiS5_IjLj3EEiiiiiiiiiiiliiliiiiil,@function
_ZL15flash_attn_tileILi80ELi80ELi32ELi1ELb1EEvPKcS1_S1_S1_S1_PKiPfP15HIP_vector_typeIfLj2EEffffjfiS5_IjLj3EEiiiiiiiiiiiliiliiiiil: ; @_ZL15flash_attn_tileILi80ELi80ELi32ELi1ELb1EEvPKcS1_S1_S1_S1_PKiPfP15HIP_vector_typeIfLj2EEffffjfiS5_IjLj3EEiiiiiiiiiiiliiliiiiil
; %bb.0:
	s_add_u32 s8, s0, 0xd0
	s_addc_u32 s9, s1, 0
	s_mov_b32 s32, 0
	s_getpc_b64 s[0:1]
	s_add_u32 s0, s0, _ZL14no_device_codePKciS0_iS0_@rel32@lo+4
	s_addc_u32 s1, s1, _ZL14no_device_codePKciS0_iS0_@rel32@hi+12
	s_swappc_b64 s[30:31], s[0:1]
	.section	.rodata,"a",@progbits
	.p2align	6, 0x0
	.amdhsa_kernel _ZL15flash_attn_tileILi80ELi80ELi32ELi1ELb1EEvPKcS1_S1_S1_S1_PKiPfP15HIP_vector_typeIfLj2EEffffjfiS5_IjLj3EEiiiiiiiiiiiliiliiiiil
		.amdhsa_group_segment_fixed_size 0
		.amdhsa_private_segment_fixed_size 16
		.amdhsa_kernarg_size 464
		.amdhsa_user_sgpr_count 2
		.amdhsa_user_sgpr_dispatch_ptr 0
		.amdhsa_user_sgpr_queue_ptr 0
		.amdhsa_user_sgpr_kernarg_segment_ptr 1
		.amdhsa_user_sgpr_dispatch_id 0
		.amdhsa_user_sgpr_kernarg_preload_length 0
		.amdhsa_user_sgpr_kernarg_preload_offset 0
		.amdhsa_user_sgpr_private_segment_size 0
		.amdhsa_uses_dynamic_stack 0
		.amdhsa_enable_private_segment 1
		.amdhsa_system_sgpr_workgroup_id_x 1
		.amdhsa_system_sgpr_workgroup_id_y 0
		.amdhsa_system_sgpr_workgroup_id_z 0
		.amdhsa_system_sgpr_workgroup_info 0
		.amdhsa_system_vgpr_workitem_id 0
		.amdhsa_next_free_vgpr 39
		.amdhsa_next_free_sgpr 34
		.amdhsa_accum_offset 40
		.amdhsa_reserve_vcc 1
		.amdhsa_float_round_mode_32 0
		.amdhsa_float_round_mode_16_64 0
		.amdhsa_float_denorm_mode_32 3
		.amdhsa_float_denorm_mode_16_64 3
		.amdhsa_dx10_clamp 1
		.amdhsa_ieee_mode 1
		.amdhsa_fp16_overflow 0
		.amdhsa_tg_split 0
		.amdhsa_exception_fp_ieee_invalid_op 0
		.amdhsa_exception_fp_denorm_src 0
		.amdhsa_exception_fp_ieee_div_zero 0
		.amdhsa_exception_fp_ieee_overflow 0
		.amdhsa_exception_fp_ieee_underflow 0
		.amdhsa_exception_fp_ieee_inexact 0
		.amdhsa_exception_int_div_zero 0
	.end_amdhsa_kernel
	.section	.text._ZL15flash_attn_tileILi80ELi80ELi32ELi1ELb1EEvPKcS1_S1_S1_S1_PKiPfP15HIP_vector_typeIfLj2EEffffjfiS5_IjLj3EEiiiiiiiiiiiliiliiiiil,"axG",@progbits,_ZL15flash_attn_tileILi80ELi80ELi32ELi1ELb1EEvPKcS1_S1_S1_S1_PKiPfP15HIP_vector_typeIfLj2EEffffjfiS5_IjLj3EEiiiiiiiiiiiliiliiiiil,comdat
.Lfunc_end90:
	.size	_ZL15flash_attn_tileILi80ELi80ELi32ELi1ELb1EEvPKcS1_S1_S1_S1_PKiPfP15HIP_vector_typeIfLj2EEffffjfiS5_IjLj3EEiiiiiiiiiiiliiliiiiil, .Lfunc_end90-_ZL15flash_attn_tileILi80ELi80ELi32ELi1ELb1EEvPKcS1_S1_S1_S1_PKiPfP15HIP_vector_typeIfLj2EEffffjfiS5_IjLj3EEiiiiiiiiiiiliiliiiiil
                                        ; -- End function
	.section	.AMDGPU.csdata,"",@progbits
; Kernel info:
; codeLenInByte = 40
; NumSgprs: 40
; NumVgprs: 39
; NumAgprs: 0
; TotalNumVgprs: 39
; ScratchSize: 16
; MemoryBound: 0
; FloatMode: 240
; IeeeMode: 1
; LDSByteSize: 0 bytes/workgroup (compile time only)
; SGPRBlocks: 4
; VGPRBlocks: 4
; NumSGPRsForWavesPerEU: 40
; NumVGPRsForWavesPerEU: 39
; AccumOffset: 40
; Occupancy: 8
; WaveLimiterHint : 1
; COMPUTE_PGM_RSRC2:SCRATCH_EN: 1
; COMPUTE_PGM_RSRC2:USER_SGPR: 2
; COMPUTE_PGM_RSRC2:TRAP_HANDLER: 0
; COMPUTE_PGM_RSRC2:TGID_X_EN: 1
; COMPUTE_PGM_RSRC2:TGID_Y_EN: 0
; COMPUTE_PGM_RSRC2:TGID_Z_EN: 0
; COMPUTE_PGM_RSRC2:TIDIG_COMP_CNT: 0
; COMPUTE_PGM_RSRC3_GFX90A:ACCUM_OFFSET: 9
; COMPUTE_PGM_RSRC3_GFX90A:TG_SPLIT: 0
	.section	.text._ZL15flash_attn_tileILi80ELi80ELi16ELi1ELb1EEvPKcS1_S1_S1_S1_PKiPfP15HIP_vector_typeIfLj2EEffffjfiS5_IjLj3EEiiiiiiiiiiiliiliiiiil,"axG",@progbits,_ZL15flash_attn_tileILi80ELi80ELi16ELi1ELb1EEvPKcS1_S1_S1_S1_PKiPfP15HIP_vector_typeIfLj2EEffffjfiS5_IjLj3EEiiiiiiiiiiiliiliiiiil,comdat
	.globl	_ZL15flash_attn_tileILi80ELi80ELi16ELi1ELb1EEvPKcS1_S1_S1_S1_PKiPfP15HIP_vector_typeIfLj2EEffffjfiS5_IjLj3EEiiiiiiiiiiiliiliiiiil ; -- Begin function _ZL15flash_attn_tileILi80ELi80ELi16ELi1ELb1EEvPKcS1_S1_S1_S1_PKiPfP15HIP_vector_typeIfLj2EEffffjfiS5_IjLj3EEiiiiiiiiiiiliiliiiiil
	.p2align	8
	.type	_ZL15flash_attn_tileILi80ELi80ELi16ELi1ELb1EEvPKcS1_S1_S1_S1_PKiPfP15HIP_vector_typeIfLj2EEffffjfiS5_IjLj3EEiiiiiiiiiiiliiliiiiil,@function
_ZL15flash_attn_tileILi80ELi80ELi16ELi1ELb1EEvPKcS1_S1_S1_S1_PKiPfP15HIP_vector_typeIfLj2EEffffjfiS5_IjLj3EEiiiiiiiiiiiliiliiiiil: ; @_ZL15flash_attn_tileILi80ELi80ELi16ELi1ELb1EEvPKcS1_S1_S1_S1_PKiPfP15HIP_vector_typeIfLj2EEffffjfiS5_IjLj3EEiiiiiiiiiiiliiliiiiil
; %bb.0:
	s_add_u32 s8, s0, 0xd0
	s_addc_u32 s9, s1, 0
	s_mov_b32 s32, 0
	s_getpc_b64 s[0:1]
	s_add_u32 s0, s0, _ZL14no_device_codePKciS0_iS0_@rel32@lo+4
	s_addc_u32 s1, s1, _ZL14no_device_codePKciS0_iS0_@rel32@hi+12
	s_swappc_b64 s[30:31], s[0:1]
	.section	.rodata,"a",@progbits
	.p2align	6, 0x0
	.amdhsa_kernel _ZL15flash_attn_tileILi80ELi80ELi16ELi1ELb1EEvPKcS1_S1_S1_S1_PKiPfP15HIP_vector_typeIfLj2EEffffjfiS5_IjLj3EEiiiiiiiiiiiliiliiiiil
		.amdhsa_group_segment_fixed_size 0
		.amdhsa_private_segment_fixed_size 16
		.amdhsa_kernarg_size 464
		.amdhsa_user_sgpr_count 2
		.amdhsa_user_sgpr_dispatch_ptr 0
		.amdhsa_user_sgpr_queue_ptr 0
		.amdhsa_user_sgpr_kernarg_segment_ptr 1
		.amdhsa_user_sgpr_dispatch_id 0
		.amdhsa_user_sgpr_kernarg_preload_length 0
		.amdhsa_user_sgpr_kernarg_preload_offset 0
		.amdhsa_user_sgpr_private_segment_size 0
		.amdhsa_uses_dynamic_stack 0
		.amdhsa_enable_private_segment 1
		.amdhsa_system_sgpr_workgroup_id_x 1
		.amdhsa_system_sgpr_workgroup_id_y 0
		.amdhsa_system_sgpr_workgroup_id_z 0
		.amdhsa_system_sgpr_workgroup_info 0
		.amdhsa_system_vgpr_workitem_id 0
		.amdhsa_next_free_vgpr 39
		.amdhsa_next_free_sgpr 34
		.amdhsa_accum_offset 40
		.amdhsa_reserve_vcc 1
		.amdhsa_float_round_mode_32 0
		.amdhsa_float_round_mode_16_64 0
		.amdhsa_float_denorm_mode_32 3
		.amdhsa_float_denorm_mode_16_64 3
		.amdhsa_dx10_clamp 1
		.amdhsa_ieee_mode 1
		.amdhsa_fp16_overflow 0
		.amdhsa_tg_split 0
		.amdhsa_exception_fp_ieee_invalid_op 0
		.amdhsa_exception_fp_denorm_src 0
		.amdhsa_exception_fp_ieee_div_zero 0
		.amdhsa_exception_fp_ieee_overflow 0
		.amdhsa_exception_fp_ieee_underflow 0
		.amdhsa_exception_fp_ieee_inexact 0
		.amdhsa_exception_int_div_zero 0
	.end_amdhsa_kernel
	.section	.text._ZL15flash_attn_tileILi80ELi80ELi16ELi1ELb1EEvPKcS1_S1_S1_S1_PKiPfP15HIP_vector_typeIfLj2EEffffjfiS5_IjLj3EEiiiiiiiiiiiliiliiiiil,"axG",@progbits,_ZL15flash_attn_tileILi80ELi80ELi16ELi1ELb1EEvPKcS1_S1_S1_S1_PKiPfP15HIP_vector_typeIfLj2EEffffjfiS5_IjLj3EEiiiiiiiiiiiliiliiiiil,comdat
.Lfunc_end91:
	.size	_ZL15flash_attn_tileILi80ELi80ELi16ELi1ELb1EEvPKcS1_S1_S1_S1_PKiPfP15HIP_vector_typeIfLj2EEffffjfiS5_IjLj3EEiiiiiiiiiiiliiliiiiil, .Lfunc_end91-_ZL15flash_attn_tileILi80ELi80ELi16ELi1ELb1EEvPKcS1_S1_S1_S1_PKiPfP15HIP_vector_typeIfLj2EEffffjfiS5_IjLj3EEiiiiiiiiiiiliiliiiiil
                                        ; -- End function
	.section	.AMDGPU.csdata,"",@progbits
; Kernel info:
; codeLenInByte = 40
; NumSgprs: 40
; NumVgprs: 39
; NumAgprs: 0
; TotalNumVgprs: 39
; ScratchSize: 16
; MemoryBound: 0
; FloatMode: 240
; IeeeMode: 1
; LDSByteSize: 0 bytes/workgroup (compile time only)
; SGPRBlocks: 4
; VGPRBlocks: 4
; NumSGPRsForWavesPerEU: 40
; NumVGPRsForWavesPerEU: 39
; AccumOffset: 40
; Occupancy: 8
; WaveLimiterHint : 1
; COMPUTE_PGM_RSRC2:SCRATCH_EN: 1
; COMPUTE_PGM_RSRC2:USER_SGPR: 2
; COMPUTE_PGM_RSRC2:TRAP_HANDLER: 0
; COMPUTE_PGM_RSRC2:TGID_X_EN: 1
; COMPUTE_PGM_RSRC2:TGID_Y_EN: 0
; COMPUTE_PGM_RSRC2:TGID_Z_EN: 0
; COMPUTE_PGM_RSRC2:TIDIG_COMP_CNT: 0
; COMPUTE_PGM_RSRC3_GFX90A:ACCUM_OFFSET: 9
; COMPUTE_PGM_RSRC3_GFX90A:TG_SPLIT: 0
	.section	.text._ZL15flash_attn_tileILi80ELi80ELi8ELi1ELb1EEvPKcS1_S1_S1_S1_PKiPfP15HIP_vector_typeIfLj2EEffffjfiS5_IjLj3EEiiiiiiiiiiiliiliiiiil,"axG",@progbits,_ZL15flash_attn_tileILi80ELi80ELi8ELi1ELb1EEvPKcS1_S1_S1_S1_PKiPfP15HIP_vector_typeIfLj2EEffffjfiS5_IjLj3EEiiiiiiiiiiiliiliiiiil,comdat
	.globl	_ZL15flash_attn_tileILi80ELi80ELi8ELi1ELb1EEvPKcS1_S1_S1_S1_PKiPfP15HIP_vector_typeIfLj2EEffffjfiS5_IjLj3EEiiiiiiiiiiiliiliiiiil ; -- Begin function _ZL15flash_attn_tileILi80ELi80ELi8ELi1ELb1EEvPKcS1_S1_S1_S1_PKiPfP15HIP_vector_typeIfLj2EEffffjfiS5_IjLj3EEiiiiiiiiiiiliiliiiiil
	.p2align	8
	.type	_ZL15flash_attn_tileILi80ELi80ELi8ELi1ELb1EEvPKcS1_S1_S1_S1_PKiPfP15HIP_vector_typeIfLj2EEffffjfiS5_IjLj3EEiiiiiiiiiiiliiliiiiil,@function
_ZL15flash_attn_tileILi80ELi80ELi8ELi1ELb1EEvPKcS1_S1_S1_S1_PKiPfP15HIP_vector_typeIfLj2EEffffjfiS5_IjLj3EEiiiiiiiiiiiliiliiiiil: ; @_ZL15flash_attn_tileILi80ELi80ELi8ELi1ELb1EEvPKcS1_S1_S1_S1_PKiPfP15HIP_vector_typeIfLj2EEffffjfiS5_IjLj3EEiiiiiiiiiiiliiliiiiil
; %bb.0:
	s_add_u32 s8, s0, 0xd0
	s_addc_u32 s9, s1, 0
	s_mov_b32 s32, 0
	s_getpc_b64 s[0:1]
	s_add_u32 s0, s0, _ZL14no_device_codePKciS0_iS0_@rel32@lo+4
	s_addc_u32 s1, s1, _ZL14no_device_codePKciS0_iS0_@rel32@hi+12
	s_swappc_b64 s[30:31], s[0:1]
	.section	.rodata,"a",@progbits
	.p2align	6, 0x0
	.amdhsa_kernel _ZL15flash_attn_tileILi80ELi80ELi8ELi1ELb1EEvPKcS1_S1_S1_S1_PKiPfP15HIP_vector_typeIfLj2EEffffjfiS5_IjLj3EEiiiiiiiiiiiliiliiiiil
		.amdhsa_group_segment_fixed_size 0
		.amdhsa_private_segment_fixed_size 16
		.amdhsa_kernarg_size 464
		.amdhsa_user_sgpr_count 2
		.amdhsa_user_sgpr_dispatch_ptr 0
		.amdhsa_user_sgpr_queue_ptr 0
		.amdhsa_user_sgpr_kernarg_segment_ptr 1
		.amdhsa_user_sgpr_dispatch_id 0
		.amdhsa_user_sgpr_kernarg_preload_length 0
		.amdhsa_user_sgpr_kernarg_preload_offset 0
		.amdhsa_user_sgpr_private_segment_size 0
		.amdhsa_uses_dynamic_stack 0
		.amdhsa_enable_private_segment 1
		.amdhsa_system_sgpr_workgroup_id_x 1
		.amdhsa_system_sgpr_workgroup_id_y 0
		.amdhsa_system_sgpr_workgroup_id_z 0
		.amdhsa_system_sgpr_workgroup_info 0
		.amdhsa_system_vgpr_workitem_id 0
		.amdhsa_next_free_vgpr 39
		.amdhsa_next_free_sgpr 34
		.amdhsa_accum_offset 40
		.amdhsa_reserve_vcc 1
		.amdhsa_float_round_mode_32 0
		.amdhsa_float_round_mode_16_64 0
		.amdhsa_float_denorm_mode_32 3
		.amdhsa_float_denorm_mode_16_64 3
		.amdhsa_dx10_clamp 1
		.amdhsa_ieee_mode 1
		.amdhsa_fp16_overflow 0
		.amdhsa_tg_split 0
		.amdhsa_exception_fp_ieee_invalid_op 0
		.amdhsa_exception_fp_denorm_src 0
		.amdhsa_exception_fp_ieee_div_zero 0
		.amdhsa_exception_fp_ieee_overflow 0
		.amdhsa_exception_fp_ieee_underflow 0
		.amdhsa_exception_fp_ieee_inexact 0
		.amdhsa_exception_int_div_zero 0
	.end_amdhsa_kernel
	.section	.text._ZL15flash_attn_tileILi80ELi80ELi8ELi1ELb1EEvPKcS1_S1_S1_S1_PKiPfP15HIP_vector_typeIfLj2EEffffjfiS5_IjLj3EEiiiiiiiiiiiliiliiiiil,"axG",@progbits,_ZL15flash_attn_tileILi80ELi80ELi8ELi1ELb1EEvPKcS1_S1_S1_S1_PKiPfP15HIP_vector_typeIfLj2EEffffjfiS5_IjLj3EEiiiiiiiiiiiliiliiiiil,comdat
.Lfunc_end92:
	.size	_ZL15flash_attn_tileILi80ELi80ELi8ELi1ELb1EEvPKcS1_S1_S1_S1_PKiPfP15HIP_vector_typeIfLj2EEffffjfiS5_IjLj3EEiiiiiiiiiiiliiliiiiil, .Lfunc_end92-_ZL15flash_attn_tileILi80ELi80ELi8ELi1ELb1EEvPKcS1_S1_S1_S1_PKiPfP15HIP_vector_typeIfLj2EEffffjfiS5_IjLj3EEiiiiiiiiiiiliiliiiiil
                                        ; -- End function
	.section	.AMDGPU.csdata,"",@progbits
; Kernel info:
; codeLenInByte = 40
; NumSgprs: 40
; NumVgprs: 39
; NumAgprs: 0
; TotalNumVgprs: 39
; ScratchSize: 16
; MemoryBound: 0
; FloatMode: 240
; IeeeMode: 1
; LDSByteSize: 0 bytes/workgroup (compile time only)
; SGPRBlocks: 4
; VGPRBlocks: 4
; NumSGPRsForWavesPerEU: 40
; NumVGPRsForWavesPerEU: 39
; AccumOffset: 40
; Occupancy: 8
; WaveLimiterHint : 1
; COMPUTE_PGM_RSRC2:SCRATCH_EN: 1
; COMPUTE_PGM_RSRC2:USER_SGPR: 2
; COMPUTE_PGM_RSRC2:TRAP_HANDLER: 0
; COMPUTE_PGM_RSRC2:TGID_X_EN: 1
; COMPUTE_PGM_RSRC2:TGID_Y_EN: 0
; COMPUTE_PGM_RSRC2:TGID_Z_EN: 0
; COMPUTE_PGM_RSRC2:TIDIG_COMP_CNT: 0
; COMPUTE_PGM_RSRC3_GFX90A:ACCUM_OFFSET: 9
; COMPUTE_PGM_RSRC3_GFX90A:TG_SPLIT: 0
	.section	.text._ZL15flash_attn_tileILi80ELi80ELi4ELi1ELb1EEvPKcS1_S1_S1_S1_PKiPfP15HIP_vector_typeIfLj2EEffffjfiS5_IjLj3EEiiiiiiiiiiiliiliiiiil,"axG",@progbits,_ZL15flash_attn_tileILi80ELi80ELi4ELi1ELb1EEvPKcS1_S1_S1_S1_PKiPfP15HIP_vector_typeIfLj2EEffffjfiS5_IjLj3EEiiiiiiiiiiiliiliiiiil,comdat
	.globl	_ZL15flash_attn_tileILi80ELi80ELi4ELi1ELb1EEvPKcS1_S1_S1_S1_PKiPfP15HIP_vector_typeIfLj2EEffffjfiS5_IjLj3EEiiiiiiiiiiiliiliiiiil ; -- Begin function _ZL15flash_attn_tileILi80ELi80ELi4ELi1ELb1EEvPKcS1_S1_S1_S1_PKiPfP15HIP_vector_typeIfLj2EEffffjfiS5_IjLj3EEiiiiiiiiiiiliiliiiiil
	.p2align	8
	.type	_ZL15flash_attn_tileILi80ELi80ELi4ELi1ELb1EEvPKcS1_S1_S1_S1_PKiPfP15HIP_vector_typeIfLj2EEffffjfiS5_IjLj3EEiiiiiiiiiiiliiliiiiil,@function
_ZL15flash_attn_tileILi80ELi80ELi4ELi1ELb1EEvPKcS1_S1_S1_S1_PKiPfP15HIP_vector_typeIfLj2EEffffjfiS5_IjLj3EEiiiiiiiiiiiliiliiiiil: ; @_ZL15flash_attn_tileILi80ELi80ELi4ELi1ELb1EEvPKcS1_S1_S1_S1_PKiPfP15HIP_vector_typeIfLj2EEffffjfiS5_IjLj3EEiiiiiiiiiiiliiliiiiil
; %bb.0:
	s_add_u32 s8, s0, 0xd0
	s_addc_u32 s9, s1, 0
	s_mov_b32 s32, 0
	s_getpc_b64 s[0:1]
	s_add_u32 s0, s0, _ZL14no_device_codePKciS0_iS0_@rel32@lo+4
	s_addc_u32 s1, s1, _ZL14no_device_codePKciS0_iS0_@rel32@hi+12
	s_swappc_b64 s[30:31], s[0:1]
	.section	.rodata,"a",@progbits
	.p2align	6, 0x0
	.amdhsa_kernel _ZL15flash_attn_tileILi80ELi80ELi4ELi1ELb1EEvPKcS1_S1_S1_S1_PKiPfP15HIP_vector_typeIfLj2EEffffjfiS5_IjLj3EEiiiiiiiiiiiliiliiiiil
		.amdhsa_group_segment_fixed_size 0
		.amdhsa_private_segment_fixed_size 16
		.amdhsa_kernarg_size 464
		.amdhsa_user_sgpr_count 2
		.amdhsa_user_sgpr_dispatch_ptr 0
		.amdhsa_user_sgpr_queue_ptr 0
		.amdhsa_user_sgpr_kernarg_segment_ptr 1
		.amdhsa_user_sgpr_dispatch_id 0
		.amdhsa_user_sgpr_kernarg_preload_length 0
		.amdhsa_user_sgpr_kernarg_preload_offset 0
		.amdhsa_user_sgpr_private_segment_size 0
		.amdhsa_uses_dynamic_stack 0
		.amdhsa_enable_private_segment 1
		.amdhsa_system_sgpr_workgroup_id_x 1
		.amdhsa_system_sgpr_workgroup_id_y 0
		.amdhsa_system_sgpr_workgroup_id_z 0
		.amdhsa_system_sgpr_workgroup_info 0
		.amdhsa_system_vgpr_workitem_id 0
		.amdhsa_next_free_vgpr 39
		.amdhsa_next_free_sgpr 34
		.amdhsa_accum_offset 40
		.amdhsa_reserve_vcc 1
		.amdhsa_float_round_mode_32 0
		.amdhsa_float_round_mode_16_64 0
		.amdhsa_float_denorm_mode_32 3
		.amdhsa_float_denorm_mode_16_64 3
		.amdhsa_dx10_clamp 1
		.amdhsa_ieee_mode 1
		.amdhsa_fp16_overflow 0
		.amdhsa_tg_split 0
		.amdhsa_exception_fp_ieee_invalid_op 0
		.amdhsa_exception_fp_denorm_src 0
		.amdhsa_exception_fp_ieee_div_zero 0
		.amdhsa_exception_fp_ieee_overflow 0
		.amdhsa_exception_fp_ieee_underflow 0
		.amdhsa_exception_fp_ieee_inexact 0
		.amdhsa_exception_int_div_zero 0
	.end_amdhsa_kernel
	.section	.text._ZL15flash_attn_tileILi80ELi80ELi4ELi1ELb1EEvPKcS1_S1_S1_S1_PKiPfP15HIP_vector_typeIfLj2EEffffjfiS5_IjLj3EEiiiiiiiiiiiliiliiiiil,"axG",@progbits,_ZL15flash_attn_tileILi80ELi80ELi4ELi1ELb1EEvPKcS1_S1_S1_S1_PKiPfP15HIP_vector_typeIfLj2EEffffjfiS5_IjLj3EEiiiiiiiiiiiliiliiiiil,comdat
.Lfunc_end93:
	.size	_ZL15flash_attn_tileILi80ELi80ELi4ELi1ELb1EEvPKcS1_S1_S1_S1_PKiPfP15HIP_vector_typeIfLj2EEffffjfiS5_IjLj3EEiiiiiiiiiiiliiliiiiil, .Lfunc_end93-_ZL15flash_attn_tileILi80ELi80ELi4ELi1ELb1EEvPKcS1_S1_S1_S1_PKiPfP15HIP_vector_typeIfLj2EEffffjfiS5_IjLj3EEiiiiiiiiiiiliiliiiiil
                                        ; -- End function
	.section	.AMDGPU.csdata,"",@progbits
; Kernel info:
; codeLenInByte = 40
; NumSgprs: 40
; NumVgprs: 39
; NumAgprs: 0
; TotalNumVgprs: 39
; ScratchSize: 16
; MemoryBound: 0
; FloatMode: 240
; IeeeMode: 1
; LDSByteSize: 0 bytes/workgroup (compile time only)
; SGPRBlocks: 4
; VGPRBlocks: 4
; NumSGPRsForWavesPerEU: 40
; NumVGPRsForWavesPerEU: 39
; AccumOffset: 40
; Occupancy: 8
; WaveLimiterHint : 1
; COMPUTE_PGM_RSRC2:SCRATCH_EN: 1
; COMPUTE_PGM_RSRC2:USER_SGPR: 2
; COMPUTE_PGM_RSRC2:TRAP_HANDLER: 0
; COMPUTE_PGM_RSRC2:TGID_X_EN: 1
; COMPUTE_PGM_RSRC2:TGID_Y_EN: 0
; COMPUTE_PGM_RSRC2:TGID_Z_EN: 0
; COMPUTE_PGM_RSRC2:TIDIG_COMP_CNT: 0
; COMPUTE_PGM_RSRC3_GFX90A:ACCUM_OFFSET: 9
; COMPUTE_PGM_RSRC3_GFX90A:TG_SPLIT: 0
	.section	.text._ZL15flash_attn_tileILi80ELi80ELi2ELi1ELb1EEvPKcS1_S1_S1_S1_PKiPfP15HIP_vector_typeIfLj2EEffffjfiS5_IjLj3EEiiiiiiiiiiiliiliiiiil,"axG",@progbits,_ZL15flash_attn_tileILi80ELi80ELi2ELi1ELb1EEvPKcS1_S1_S1_S1_PKiPfP15HIP_vector_typeIfLj2EEffffjfiS5_IjLj3EEiiiiiiiiiiiliiliiiiil,comdat
	.globl	_ZL15flash_attn_tileILi80ELi80ELi2ELi1ELb1EEvPKcS1_S1_S1_S1_PKiPfP15HIP_vector_typeIfLj2EEffffjfiS5_IjLj3EEiiiiiiiiiiiliiliiiiil ; -- Begin function _ZL15flash_attn_tileILi80ELi80ELi2ELi1ELb1EEvPKcS1_S1_S1_S1_PKiPfP15HIP_vector_typeIfLj2EEffffjfiS5_IjLj3EEiiiiiiiiiiiliiliiiiil
	.p2align	8
	.type	_ZL15flash_attn_tileILi80ELi80ELi2ELi1ELb1EEvPKcS1_S1_S1_S1_PKiPfP15HIP_vector_typeIfLj2EEffffjfiS5_IjLj3EEiiiiiiiiiiiliiliiiiil,@function
_ZL15flash_attn_tileILi80ELi80ELi2ELi1ELb1EEvPKcS1_S1_S1_S1_PKiPfP15HIP_vector_typeIfLj2EEffffjfiS5_IjLj3EEiiiiiiiiiiiliiliiiiil: ; @_ZL15flash_attn_tileILi80ELi80ELi2ELi1ELb1EEvPKcS1_S1_S1_S1_PKiPfP15HIP_vector_typeIfLj2EEffffjfiS5_IjLj3EEiiiiiiiiiiiliiliiiiil
; %bb.0:
	s_add_u32 s8, s0, 0xd0
	s_addc_u32 s9, s1, 0
	s_mov_b32 s32, 0
	s_getpc_b64 s[0:1]
	s_add_u32 s0, s0, _ZL14no_device_codePKciS0_iS0_@rel32@lo+4
	s_addc_u32 s1, s1, _ZL14no_device_codePKciS0_iS0_@rel32@hi+12
	s_swappc_b64 s[30:31], s[0:1]
	.section	.rodata,"a",@progbits
	.p2align	6, 0x0
	.amdhsa_kernel _ZL15flash_attn_tileILi80ELi80ELi2ELi1ELb1EEvPKcS1_S1_S1_S1_PKiPfP15HIP_vector_typeIfLj2EEffffjfiS5_IjLj3EEiiiiiiiiiiiliiliiiiil
		.amdhsa_group_segment_fixed_size 0
		.amdhsa_private_segment_fixed_size 16
		.amdhsa_kernarg_size 464
		.amdhsa_user_sgpr_count 2
		.amdhsa_user_sgpr_dispatch_ptr 0
		.amdhsa_user_sgpr_queue_ptr 0
		.amdhsa_user_sgpr_kernarg_segment_ptr 1
		.amdhsa_user_sgpr_dispatch_id 0
		.amdhsa_user_sgpr_kernarg_preload_length 0
		.amdhsa_user_sgpr_kernarg_preload_offset 0
		.amdhsa_user_sgpr_private_segment_size 0
		.amdhsa_uses_dynamic_stack 0
		.amdhsa_enable_private_segment 1
		.amdhsa_system_sgpr_workgroup_id_x 1
		.amdhsa_system_sgpr_workgroup_id_y 0
		.amdhsa_system_sgpr_workgroup_id_z 0
		.amdhsa_system_sgpr_workgroup_info 0
		.amdhsa_system_vgpr_workitem_id 0
		.amdhsa_next_free_vgpr 39
		.amdhsa_next_free_sgpr 34
		.amdhsa_accum_offset 40
		.amdhsa_reserve_vcc 1
		.amdhsa_float_round_mode_32 0
		.amdhsa_float_round_mode_16_64 0
		.amdhsa_float_denorm_mode_32 3
		.amdhsa_float_denorm_mode_16_64 3
		.amdhsa_dx10_clamp 1
		.amdhsa_ieee_mode 1
		.amdhsa_fp16_overflow 0
		.amdhsa_tg_split 0
		.amdhsa_exception_fp_ieee_invalid_op 0
		.amdhsa_exception_fp_denorm_src 0
		.amdhsa_exception_fp_ieee_div_zero 0
		.amdhsa_exception_fp_ieee_overflow 0
		.amdhsa_exception_fp_ieee_underflow 0
		.amdhsa_exception_fp_ieee_inexact 0
		.amdhsa_exception_int_div_zero 0
	.end_amdhsa_kernel
	.section	.text._ZL15flash_attn_tileILi80ELi80ELi2ELi1ELb1EEvPKcS1_S1_S1_S1_PKiPfP15HIP_vector_typeIfLj2EEffffjfiS5_IjLj3EEiiiiiiiiiiiliiliiiiil,"axG",@progbits,_ZL15flash_attn_tileILi80ELi80ELi2ELi1ELb1EEvPKcS1_S1_S1_S1_PKiPfP15HIP_vector_typeIfLj2EEffffjfiS5_IjLj3EEiiiiiiiiiiiliiliiiiil,comdat
.Lfunc_end94:
	.size	_ZL15flash_attn_tileILi80ELi80ELi2ELi1ELb1EEvPKcS1_S1_S1_S1_PKiPfP15HIP_vector_typeIfLj2EEffffjfiS5_IjLj3EEiiiiiiiiiiiliiliiiiil, .Lfunc_end94-_ZL15flash_attn_tileILi80ELi80ELi2ELi1ELb1EEvPKcS1_S1_S1_S1_PKiPfP15HIP_vector_typeIfLj2EEffffjfiS5_IjLj3EEiiiiiiiiiiiliiliiiiil
                                        ; -- End function
	.section	.AMDGPU.csdata,"",@progbits
; Kernel info:
; codeLenInByte = 40
; NumSgprs: 40
; NumVgprs: 39
; NumAgprs: 0
; TotalNumVgprs: 39
; ScratchSize: 16
; MemoryBound: 0
; FloatMode: 240
; IeeeMode: 1
; LDSByteSize: 0 bytes/workgroup (compile time only)
; SGPRBlocks: 4
; VGPRBlocks: 4
; NumSGPRsForWavesPerEU: 40
; NumVGPRsForWavesPerEU: 39
; AccumOffset: 40
; Occupancy: 8
; WaveLimiterHint : 1
; COMPUTE_PGM_RSRC2:SCRATCH_EN: 1
; COMPUTE_PGM_RSRC2:USER_SGPR: 2
; COMPUTE_PGM_RSRC2:TRAP_HANDLER: 0
; COMPUTE_PGM_RSRC2:TGID_X_EN: 1
; COMPUTE_PGM_RSRC2:TGID_Y_EN: 0
; COMPUTE_PGM_RSRC2:TGID_Z_EN: 0
; COMPUTE_PGM_RSRC2:TIDIG_COMP_CNT: 0
; COMPUTE_PGM_RSRC3_GFX90A:ACCUM_OFFSET: 9
; COMPUTE_PGM_RSRC3_GFX90A:TG_SPLIT: 0
	.text
	.p2alignl 6, 3212836864
	.fill 256, 4, 3212836864
	.type	.str.1,@object                  ; @.str.1
	.section	.rodata.str1.1,"aMS",@progbits,1
.str.1:
	.asciz	"/root/src/amdgpu-assembly/repos/ggml-org__llama.cpp/ggml/src/ggml-cuda/template-instances/../fattn-tile.cuh"
	.size	.str.1, 108

	.type	__FUNCTION__._ZL15flash_attn_tileILi80ELi80ELi8ELi8ELb1EEvPKcS1_S1_S1_S1_PKiPfP15HIP_vector_typeIfLj2EEffffjfiS5_IjLj3EEiiiiiiiiiiiliiliiiiil,@object ; @__FUNCTION__._ZL15flash_attn_tileILi80ELi80ELi8ELi8ELb1EEvPKcS1_S1_S1_S1_PKiPfP15HIP_vector_typeIfLj2EEffffjfiS5_IjLj3EEiiiiiiiiiiiliiliiiiil
__FUNCTION__._ZL15flash_attn_tileILi80ELi80ELi8ELi8ELb1EEvPKcS1_S1_S1_S1_PKiPfP15HIP_vector_typeIfLj2EEffffjfiS5_IjLj3EEiiiiiiiiiiiliiliiiiil:
	.asciz	"flash_attn_tile"
	.size	__FUNCTION__._ZL15flash_attn_tileILi80ELi80ELi8ELi8ELb1EEvPKcS1_S1_S1_S1_PKiPfP15HIP_vector_typeIfLj2EEffffjfiS5_IjLj3EEiiiiiiiiiiiliiliiiiil, 16

	.type	.str.3,@object                  ; @.str.3
.str.3:
	.asciz	"%s:%d: ERROR: HIP kernel %s has no device code compatible with HIP arch %d.\n"
	.size	.str.3, 77

	.type	__hip_cuid_896c0c4a3b1b6b36,@object ; @__hip_cuid_896c0c4a3b1b6b36
	.section	.bss,"aw",@nobits
	.globl	__hip_cuid_896c0c4a3b1b6b36
__hip_cuid_896c0c4a3b1b6b36:
	.byte	0                               ; 0x0
	.size	__hip_cuid_896c0c4a3b1b6b36, 1

	.ident	"AMD clang version 19.0.0git (https://github.com/RadeonOpenCompute/llvm-project roc-6.4.0 25133 c7fe45cf4b819c5991fe208aaa96edf142730f1d)"
	.section	".note.GNU-stack","",@progbits
	.addrsig
	.addrsig_sym __hip_cuid_896c0c4a3b1b6b36
	.amdgpu_metadata
---
amdhsa.kernels:
  - .agpr_count:     0
    .args:
      - .address_space:  global
        .offset:         0
        .size:           8
        .value_kind:     global_buffer
      - .address_space:  global
        .offset:         8
        .size:           8
        .value_kind:     global_buffer
      - .address_space:  global
        .offset:         16
        .size:           8
        .value_kind:     global_buffer
      - .address_space:  global
        .offset:         24
        .size:           8
        .value_kind:     global_buffer
      - .address_space:  global
        .offset:         32
        .size:           8
        .value_kind:     global_buffer
      - .address_space:  global
        .offset:         40
        .size:           8
        .value_kind:     global_buffer
      - .address_space:  global
        .offset:         48
        .size:           8
        .value_kind:     global_buffer
      - .address_space:  global
        .offset:         56
        .size:           8
        .value_kind:     global_buffer
      - .offset:         64
        .size:           4
        .value_kind:     by_value
      - .offset:         68
        .size:           4
        .value_kind:     by_value
      - .offset:         72
        .size:           4
        .value_kind:     by_value
      - .offset:         76
        .size:           4
        .value_kind:     by_value
      - .offset:         80
        .size:           4
        .value_kind:     by_value
      - .offset:         84
        .size:           4
        .value_kind:     by_value
      - .offset:         88
        .size:           4
        .value_kind:     by_value
      - .offset:         92
        .size:           12
        .value_kind:     by_value
      - .offset:         104
        .size:           4
        .value_kind:     by_value
      - .offset:         108
        .size:           4
        .value_kind:     by_value
      - .offset:         112
        .size:           4
        .value_kind:     by_value
      - .offset:         116
        .size:           4
        .value_kind:     by_value
      - .offset:         120
        .size:           4
        .value_kind:     by_value
      - .offset:         124
        .size:           4
        .value_kind:     by_value
      - .offset:         128
        .size:           4
        .value_kind:     by_value
      - .offset:         132
        .size:           4
        .value_kind:     by_value
      - .offset:         136
        .size:           4
        .value_kind:     by_value
      - .offset:         140
        .size:           4
        .value_kind:     by_value
      - .offset:         144
        .size:           4
        .value_kind:     by_value
      - .offset:         152
        .size:           8
        .value_kind:     by_value
      - .offset:         160
        .size:           4
        .value_kind:     by_value
      - .offset:         164
        .size:           4
        .value_kind:     by_value
      - .offset:         168
        .size:           8
        .value_kind:     by_value
      - .offset:         176
        .size:           4
        .value_kind:     by_value
      - .offset:         180
        .size:           4
        .value_kind:     by_value
      - .offset:         184
        .size:           4
        .value_kind:     by_value
      - .offset:         188
        .size:           4
        .value_kind:     by_value
      - .offset:         192
        .size:           4
        .value_kind:     by_value
      - .offset:         200
        .size:           8
        .value_kind:     by_value
      - .offset:         208
        .size:           4
        .value_kind:     hidden_block_count_x
      - .offset:         212
        .size:           4
        .value_kind:     hidden_block_count_y
      - .offset:         216
        .size:           4
        .value_kind:     hidden_block_count_z
      - .offset:         220
        .size:           2
        .value_kind:     hidden_group_size_x
      - .offset:         222
        .size:           2
        .value_kind:     hidden_group_size_y
      - .offset:         224
        .size:           2
        .value_kind:     hidden_group_size_z
      - .offset:         226
        .size:           2
        .value_kind:     hidden_remainder_x
      - .offset:         228
        .size:           2
        .value_kind:     hidden_remainder_y
      - .offset:         230
        .size:           2
        .value_kind:     hidden_remainder_z
      - .offset:         248
        .size:           8
        .value_kind:     hidden_global_offset_x
      - .offset:         256
        .size:           8
        .value_kind:     hidden_global_offset_y
      - .offset:         264
        .size:           8
        .value_kind:     hidden_global_offset_z
      - .offset:         272
        .size:           2
        .value_kind:     hidden_grid_dims
    .group_segment_fixed_size: 17600
    .kernarg_segment_align: 8
    .kernarg_segment_size: 464
    .language:       OpenCL C
    .language_version:
      - 2
      - 0
    .max_flat_workgroup_size: 256
    .name:           _ZL15flash_attn_tileILi80ELi80ELi8ELi8ELb0EEvPKcS1_S1_S1_S1_PKiPfP15HIP_vector_typeIfLj2EEffffjfiS5_IjLj3EEiiiiiiiiiiiliiliiiiil
    .private_segment_fixed_size: 0
    .sgpr_count:     80
    .sgpr_spill_count: 0
    .symbol:         _ZL15flash_attn_tileILi80ELi80ELi8ELi8ELb0EEvPKcS1_S1_S1_S1_PKiPfP15HIP_vector_typeIfLj2EEffffjfiS5_IjLj3EEiiiiiiiiiiiliiliiiiil.kd
    .uniform_work_group_size: 1
    .uses_dynamic_stack: false
    .vgpr_count:     188
    .vgpr_spill_count: 0
    .wavefront_size: 64
  - .agpr_count:     0
    .args:
      - .actual_access:  read_only
        .address_space:  global
        .offset:         0
        .size:           8
        .value_kind:     global_buffer
      - .actual_access:  write_only
        .address_space:  global
        .offset:         8
        .size:           8
        .value_kind:     global_buffer
      - .offset:         16
        .size:           4
        .value_kind:     by_value
      - .offset:         20
        .size:           4
        .value_kind:     by_value
      - .offset:         24
        .size:           4
        .value_kind:     by_value
      - .offset:         32
        .size:           4
        .value_kind:     hidden_block_count_x
      - .offset:         36
        .size:           4
        .value_kind:     hidden_block_count_y
      - .offset:         40
        .size:           4
        .value_kind:     hidden_block_count_z
      - .offset:         44
        .size:           2
        .value_kind:     hidden_group_size_x
      - .offset:         46
        .size:           2
        .value_kind:     hidden_group_size_y
      - .offset:         48
        .size:           2
        .value_kind:     hidden_group_size_z
      - .offset:         50
        .size:           2
        .value_kind:     hidden_remainder_x
      - .offset:         52
        .size:           2
        .value_kind:     hidden_remainder_y
      - .offset:         54
        .size:           2
        .value_kind:     hidden_remainder_z
      - .offset:         72
        .size:           8
        .value_kind:     hidden_global_offset_x
      - .offset:         80
        .size:           8
        .value_kind:     hidden_global_offset_y
      - .offset:         88
        .size:           8
        .value_kind:     hidden_global_offset_z
      - .offset:         96
        .size:           2
        .value_kind:     hidden_grid_dims
    .group_segment_fixed_size: 128
    .kernarg_segment_align: 8
    .kernarg_segment_size: 288
    .language:       OpenCL C
    .language_version:
      - 2
      - 0
    .max_flat_workgroup_size: 128
    .name:           _ZL25flash_attn_mask_to_KV_maxILi8EEvPK7__half2Piiii
    .private_segment_fixed_size: 0
    .sgpr_count:     56
    .sgpr_spill_count: 0
    .symbol:         _ZL25flash_attn_mask_to_KV_maxILi8EEvPK7__half2Piiii.kd
    .uniform_work_group_size: 1
    .uses_dynamic_stack: false
    .vgpr_count:     17
    .vgpr_spill_count: 0
    .wavefront_size: 64
  - .agpr_count:     0
    .args:
      - .address_space:  global
        .offset:         0
        .size:           8
        .value_kind:     global_buffer
      - .address_space:  global
        .offset:         8
        .size:           8
        .value_kind:     global_buffer
      - .offset:         16
        .size:           4
        .value_kind:     by_value
      - .offset:         20
        .size:           4
        .value_kind:     by_value
      - .offset:         24
        .size:           4
        .value_kind:     by_value
      - .offset:         28
        .size:           4
        .value_kind:     by_value
      - .offset:         32
        .size:           4
        .value_kind:     by_value
      - .offset:         36
        .size:           4
        .value_kind:     by_value
      - .offset:         40
        .size:           12
        .value_kind:     by_value
      - .offset:         52
        .size:           12
        .value_kind:     by_value
      - .offset:         64
        .size:           12
        .value_kind:     by_value
    .group_segment_fixed_size: 0
    .kernarg_segment_align: 8
    .kernarg_segment_size: 76
    .language:       OpenCL C
    .language_version:
      - 2
      - 0
    .max_flat_workgroup_size: 80
    .name:           _ZL33flash_attn_stream_k_fixup_uniformILi80ELi8ELi8EEvPfPK15HIP_vector_typeIfLj2EEiiiiiiS1_IjLj3EES5_S5_
    .private_segment_fixed_size: 0
    .sgpr_count:     26
    .sgpr_spill_count: 0
    .symbol:         _ZL33flash_attn_stream_k_fixup_uniformILi80ELi8ELi8EEvPfPK15HIP_vector_typeIfLj2EEiiiiiiS1_IjLj3EES5_S5_.kd
    .uniform_work_group_size: 1
    .uses_dynamic_stack: false
    .vgpr_count:     16
    .vgpr_spill_count: 0
    .wavefront_size: 64
  - .agpr_count:     0
    .args:
      - .address_space:  global
        .offset:         0
        .size:           8
        .value_kind:     global_buffer
      - .address_space:  global
        .offset:         8
        .size:           8
        .value_kind:     global_buffer
      - .offset:         16
        .size:           4
        .value_kind:     by_value
      - .offset:         20
        .size:           4
        .value_kind:     by_value
      - .offset:         24
        .size:           4
        .value_kind:     by_value
      - .offset:         28
        .size:           4
        .value_kind:     by_value
      - .offset:         32
        .size:           12
        .value_kind:     by_value
      - .offset:         44
        .size:           12
        .value_kind:     by_value
      - .offset:         56
        .size:           12
        .value_kind:     by_value
      - .offset:         68
        .size:           12
        .value_kind:     by_value
      - .offset:         80
        .size:           4
        .value_kind:     hidden_block_count_x
      - .offset:         84
        .size:           4
        .value_kind:     hidden_block_count_y
      - .offset:         88
        .size:           4
        .value_kind:     hidden_block_count_z
      - .offset:         92
        .size:           2
        .value_kind:     hidden_group_size_x
      - .offset:         94
        .size:           2
        .value_kind:     hidden_group_size_y
      - .offset:         96
        .size:           2
        .value_kind:     hidden_group_size_z
      - .offset:         98
        .size:           2
        .value_kind:     hidden_remainder_x
      - .offset:         100
        .size:           2
        .value_kind:     hidden_remainder_y
      - .offset:         102
        .size:           2
        .value_kind:     hidden_remainder_z
      - .offset:         120
        .size:           8
        .value_kind:     hidden_global_offset_x
      - .offset:         128
        .size:           8
        .value_kind:     hidden_global_offset_y
      - .offset:         136
        .size:           8
        .value_kind:     hidden_global_offset_z
      - .offset:         144
        .size:           2
        .value_kind:     hidden_grid_dims
    .group_segment_fixed_size: 0
    .kernarg_segment_align: 8
    .kernarg_segment_size: 336
    .language:       OpenCL C
    .language_version:
      - 2
      - 0
    .max_flat_workgroup_size: 80
    .name:           _ZL33flash_attn_stream_k_fixup_generalILi80ELi8ELi8EEvPfPK15HIP_vector_typeIfLj2EEiiiiS1_IjLj3EES5_S5_S5_
    .private_segment_fixed_size: 0
    .sgpr_count:     38
    .sgpr_spill_count: 0
    .symbol:         _ZL33flash_attn_stream_k_fixup_generalILi80ELi8ELi8EEvPfPK15HIP_vector_typeIfLj2EEiiiiS1_IjLj3EES5_S5_S5_.kd
    .uniform_work_group_size: 1
    .uses_dynamic_stack: false
    .vgpr_count:     22
    .vgpr_spill_count: 0
    .wavefront_size: 64
  - .agpr_count:     0
    .args:
      - .address_space:  global
        .offset:         0
        .size:           8
        .value_kind:     global_buffer
      - .address_space:  global
        .offset:         8
        .size:           8
        .value_kind:     global_buffer
      - .address_space:  global
        .offset:         16
        .size:           8
        .value_kind:     global_buffer
      - .offset:         24
        .size:           4
        .value_kind:     by_value
      - .offset:         32
        .size:           4
        .value_kind:     hidden_block_count_x
      - .offset:         36
        .size:           4
        .value_kind:     hidden_block_count_y
      - .offset:         40
        .size:           4
        .value_kind:     hidden_block_count_z
      - .offset:         44
        .size:           2
        .value_kind:     hidden_group_size_x
      - .offset:         46
        .size:           2
        .value_kind:     hidden_group_size_y
      - .offset:         48
        .size:           2
        .value_kind:     hidden_group_size_z
      - .offset:         50
        .size:           2
        .value_kind:     hidden_remainder_x
      - .offset:         52
        .size:           2
        .value_kind:     hidden_remainder_y
      - .offset:         54
        .size:           2
        .value_kind:     hidden_remainder_z
      - .offset:         72
        .size:           8
        .value_kind:     hidden_global_offset_x
      - .offset:         80
        .size:           8
        .value_kind:     hidden_global_offset_y
      - .offset:         88
        .size:           8
        .value_kind:     hidden_global_offset_z
      - .offset:         96
        .size:           2
        .value_kind:     hidden_grid_dims
      - .offset:         152
        .size:           4
        .value_kind:     hidden_dynamic_lds_size
    .group_segment_fixed_size: 0
    .kernarg_segment_align: 8
    .kernarg_segment_size: 288
    .language:       OpenCL C
    .language_version:
      - 2
      - 0
    .max_flat_workgroup_size: 80
    .name:           _ZL26flash_attn_combine_resultsILi80EEvPKfPK15HIP_vector_typeIfLj2EEPfi
    .private_segment_fixed_size: 0
    .sgpr_count:     38
    .sgpr_spill_count: 0
    .symbol:         _ZL26flash_attn_combine_resultsILi80EEvPKfPK15HIP_vector_typeIfLj2EEPfi.kd
    .uniform_work_group_size: 1
    .uses_dynamic_stack: false
    .vgpr_count:     51
    .vgpr_spill_count: 0
    .wavefront_size: 64
  - .agpr_count:     0
    .args:
      - .address_space:  global
        .offset:         0
        .size:           8
        .value_kind:     global_buffer
      - .address_space:  global
        .offset:         8
        .size:           8
        .value_kind:     global_buffer
      - .address_space:  global
        .offset:         16
        .size:           8
        .value_kind:     global_buffer
      - .address_space:  global
        .offset:         24
        .size:           8
        .value_kind:     global_buffer
      - .address_space:  global
        .offset:         32
        .size:           8
        .value_kind:     global_buffer
      - .address_space:  global
        .offset:         40
        .size:           8
        .value_kind:     global_buffer
      - .address_space:  global
        .offset:         48
        .size:           8
        .value_kind:     global_buffer
      - .address_space:  global
        .offset:         56
        .size:           8
        .value_kind:     global_buffer
      - .offset:         64
        .size:           4
        .value_kind:     by_value
      - .offset:         68
        .size:           4
        .value_kind:     by_value
      - .offset:         72
        .size:           4
        .value_kind:     by_value
      - .offset:         76
        .size:           4
        .value_kind:     by_value
      - .offset:         80
        .size:           4
        .value_kind:     by_value
      - .offset:         84
        .size:           4
        .value_kind:     by_value
      - .offset:         88
        .size:           4
        .value_kind:     by_value
      - .offset:         92
        .size:           12
        .value_kind:     by_value
      - .offset:         104
        .size:           4
        .value_kind:     by_value
      - .offset:         108
        .size:           4
        .value_kind:     by_value
      - .offset:         112
        .size:           4
        .value_kind:     by_value
      - .offset:         116
        .size:           4
        .value_kind:     by_value
      - .offset:         120
        .size:           4
        .value_kind:     by_value
      - .offset:         124
        .size:           4
        .value_kind:     by_value
      - .offset:         128
        .size:           4
        .value_kind:     by_value
      - .offset:         132
        .size:           4
        .value_kind:     by_value
      - .offset:         136
        .size:           4
        .value_kind:     by_value
      - .offset:         140
        .size:           4
        .value_kind:     by_value
      - .offset:         144
        .size:           4
        .value_kind:     by_value
      - .offset:         152
        .size:           8
        .value_kind:     by_value
      - .offset:         160
        .size:           4
        .value_kind:     by_value
      - .offset:         164
        .size:           4
        .value_kind:     by_value
      - .offset:         168
        .size:           8
        .value_kind:     by_value
      - .offset:         176
        .size:           4
        .value_kind:     by_value
      - .offset:         180
        .size:           4
        .value_kind:     by_value
      - .offset:         184
        .size:           4
        .value_kind:     by_value
      - .offset:         188
        .size:           4
        .value_kind:     by_value
      - .offset:         192
        .size:           4
        .value_kind:     by_value
      - .offset:         200
        .size:           8
        .value_kind:     by_value
      - .offset:         208
        .size:           4
        .value_kind:     hidden_block_count_x
      - .offset:         212
        .size:           4
        .value_kind:     hidden_block_count_y
      - .offset:         216
        .size:           4
        .value_kind:     hidden_block_count_z
      - .offset:         220
        .size:           2
        .value_kind:     hidden_group_size_x
      - .offset:         222
        .size:           2
        .value_kind:     hidden_group_size_y
      - .offset:         224
        .size:           2
        .value_kind:     hidden_group_size_z
      - .offset:         226
        .size:           2
        .value_kind:     hidden_remainder_x
      - .offset:         228
        .size:           2
        .value_kind:     hidden_remainder_y
      - .offset:         230
        .size:           2
        .value_kind:     hidden_remainder_z
      - .offset:         248
        .size:           8
        .value_kind:     hidden_global_offset_x
      - .offset:         256
        .size:           8
        .value_kind:     hidden_global_offset_y
      - .offset:         264
        .size:           8
        .value_kind:     hidden_global_offset_z
      - .offset:         272
        .size:           2
        .value_kind:     hidden_grid_dims
    .group_segment_fixed_size: 10432
    .kernarg_segment_align: 8
    .kernarg_segment_size: 464
    .language:       OpenCL C
    .language_version:
      - 2
      - 0
    .max_flat_workgroup_size: 256
    .name:           _ZL15flash_attn_tileILi80ELi80ELi4ELi8ELb0EEvPKcS1_S1_S1_S1_PKiPfP15HIP_vector_typeIfLj2EEffffjfiS5_IjLj3EEiiiiiiiiiiiliiliiiiil
    .private_segment_fixed_size: 0
    .sgpr_count:     64
    .sgpr_spill_count: 0
    .symbol:         _ZL15flash_attn_tileILi80ELi80ELi4ELi8ELb0EEvPKcS1_S1_S1_S1_PKiPfP15HIP_vector_typeIfLj2EEffffjfiS5_IjLj3EEiiiiiiiiiiiliiliiiiil.kd
    .uniform_work_group_size: 1
    .uses_dynamic_stack: false
    .vgpr_count:     132
    .vgpr_spill_count: 0
    .wavefront_size: 64
  - .agpr_count:     0
    .args:
      - .actual_access:  read_only
        .address_space:  global
        .offset:         0
        .size:           8
        .value_kind:     global_buffer
      - .actual_access:  write_only
        .address_space:  global
        .offset:         8
        .size:           8
        .value_kind:     global_buffer
      - .offset:         16
        .size:           4
        .value_kind:     by_value
      - .offset:         20
        .size:           4
        .value_kind:     by_value
      - .offset:         24
        .size:           4
        .value_kind:     by_value
      - .offset:         32
        .size:           4
        .value_kind:     hidden_block_count_x
      - .offset:         36
        .size:           4
        .value_kind:     hidden_block_count_y
      - .offset:         40
        .size:           4
        .value_kind:     hidden_block_count_z
      - .offset:         44
        .size:           2
        .value_kind:     hidden_group_size_x
      - .offset:         46
        .size:           2
        .value_kind:     hidden_group_size_y
      - .offset:         48
        .size:           2
        .value_kind:     hidden_group_size_z
      - .offset:         50
        .size:           2
        .value_kind:     hidden_remainder_x
      - .offset:         52
        .size:           2
        .value_kind:     hidden_remainder_y
      - .offset:         54
        .size:           2
        .value_kind:     hidden_remainder_z
      - .offset:         72
        .size:           8
        .value_kind:     hidden_global_offset_x
      - .offset:         80
        .size:           8
        .value_kind:     hidden_global_offset_y
      - .offset:         88
        .size:           8
        .value_kind:     hidden_global_offset_z
      - .offset:         96
        .size:           2
        .value_kind:     hidden_grid_dims
    .group_segment_fixed_size: 128
    .kernarg_segment_align: 8
    .kernarg_segment_size: 288
    .language:       OpenCL C
    .language_version:
      - 2
      - 0
    .max_flat_workgroup_size: 128
    .name:           _ZL25flash_attn_mask_to_KV_maxILi4EEvPK7__half2Piiii
    .private_segment_fixed_size: 0
    .sgpr_count:     42
    .sgpr_spill_count: 0
    .symbol:         _ZL25flash_attn_mask_to_KV_maxILi4EEvPK7__half2Piiii.kd
    .uniform_work_group_size: 1
    .uses_dynamic_stack: false
    .vgpr_count:     17
    .vgpr_spill_count: 0
    .wavefront_size: 64
  - .agpr_count:     0
    .args:
      - .address_space:  global
        .offset:         0
        .size:           8
        .value_kind:     global_buffer
      - .address_space:  global
        .offset:         8
        .size:           8
        .value_kind:     global_buffer
      - .offset:         16
        .size:           4
        .value_kind:     by_value
      - .offset:         20
        .size:           4
        .value_kind:     by_value
      - .offset:         24
        .size:           4
        .value_kind:     by_value
      - .offset:         28
        .size:           4
        .value_kind:     by_value
      - .offset:         32
        .size:           4
        .value_kind:     by_value
      - .offset:         36
        .size:           4
        .value_kind:     by_value
      - .offset:         40
        .size:           12
        .value_kind:     by_value
      - .offset:         52
        .size:           12
        .value_kind:     by_value
      - .offset:         64
        .size:           12
        .value_kind:     by_value
    .group_segment_fixed_size: 0
    .kernarg_segment_align: 8
    .kernarg_segment_size: 76
    .language:       OpenCL C
    .language_version:
      - 2
      - 0
    .max_flat_workgroup_size: 80
    .name:           _ZL33flash_attn_stream_k_fixup_uniformILi80ELi4ELi8EEvPfPK15HIP_vector_typeIfLj2EEiiiiiiS1_IjLj3EES5_S5_
    .private_segment_fixed_size: 0
    .sgpr_count:     26
    .sgpr_spill_count: 0
    .symbol:         _ZL33flash_attn_stream_k_fixup_uniformILi80ELi4ELi8EEvPfPK15HIP_vector_typeIfLj2EEiiiiiiS1_IjLj3EES5_S5_.kd
    .uniform_work_group_size: 1
    .uses_dynamic_stack: false
    .vgpr_count:     16
    .vgpr_spill_count: 0
    .wavefront_size: 64
  - .agpr_count:     0
    .args:
      - .address_space:  global
        .offset:         0
        .size:           8
        .value_kind:     global_buffer
      - .address_space:  global
        .offset:         8
        .size:           8
        .value_kind:     global_buffer
      - .offset:         16
        .size:           4
        .value_kind:     by_value
      - .offset:         20
        .size:           4
        .value_kind:     by_value
      - .offset:         24
        .size:           4
        .value_kind:     by_value
      - .offset:         28
        .size:           4
        .value_kind:     by_value
      - .offset:         32
        .size:           12
        .value_kind:     by_value
      - .offset:         44
        .size:           12
        .value_kind:     by_value
      - .offset:         56
        .size:           12
        .value_kind:     by_value
      - .offset:         68
        .size:           12
        .value_kind:     by_value
      - .offset:         80
        .size:           4
        .value_kind:     hidden_block_count_x
      - .offset:         84
        .size:           4
        .value_kind:     hidden_block_count_y
      - .offset:         88
        .size:           4
        .value_kind:     hidden_block_count_z
      - .offset:         92
        .size:           2
        .value_kind:     hidden_group_size_x
      - .offset:         94
        .size:           2
        .value_kind:     hidden_group_size_y
      - .offset:         96
        .size:           2
        .value_kind:     hidden_group_size_z
      - .offset:         98
        .size:           2
        .value_kind:     hidden_remainder_x
      - .offset:         100
        .size:           2
        .value_kind:     hidden_remainder_y
      - .offset:         102
        .size:           2
        .value_kind:     hidden_remainder_z
      - .offset:         120
        .size:           8
        .value_kind:     hidden_global_offset_x
      - .offset:         128
        .size:           8
        .value_kind:     hidden_global_offset_y
      - .offset:         136
        .size:           8
        .value_kind:     hidden_global_offset_z
      - .offset:         144
        .size:           2
        .value_kind:     hidden_grid_dims
    .group_segment_fixed_size: 0
    .kernarg_segment_align: 8
    .kernarg_segment_size: 336
    .language:       OpenCL C
    .language_version:
      - 2
      - 0
    .max_flat_workgroup_size: 80
    .name:           _ZL33flash_attn_stream_k_fixup_generalILi80ELi4ELi8EEvPfPK15HIP_vector_typeIfLj2EEiiiiS1_IjLj3EES5_S5_S5_
    .private_segment_fixed_size: 0
    .sgpr_count:     38
    .sgpr_spill_count: 0
    .symbol:         _ZL33flash_attn_stream_k_fixup_generalILi80ELi4ELi8EEvPfPK15HIP_vector_typeIfLj2EEiiiiS1_IjLj3EES5_S5_S5_.kd
    .uniform_work_group_size: 1
    .uses_dynamic_stack: false
    .vgpr_count:     22
    .vgpr_spill_count: 0
    .wavefront_size: 64
  - .agpr_count:     0
    .args:
      - .address_space:  global
        .offset:         0
        .size:           8
        .value_kind:     global_buffer
      - .address_space:  global
        .offset:         8
        .size:           8
        .value_kind:     global_buffer
      - .address_space:  global
        .offset:         16
        .size:           8
        .value_kind:     global_buffer
      - .address_space:  global
        .offset:         24
        .size:           8
        .value_kind:     global_buffer
      - .address_space:  global
        .offset:         32
        .size:           8
        .value_kind:     global_buffer
      - .address_space:  global
        .offset:         40
        .size:           8
        .value_kind:     global_buffer
      - .address_space:  global
        .offset:         48
        .size:           8
        .value_kind:     global_buffer
      - .address_space:  global
        .offset:         56
        .size:           8
        .value_kind:     global_buffer
      - .offset:         64
        .size:           4
        .value_kind:     by_value
      - .offset:         68
        .size:           4
        .value_kind:     by_value
      - .offset:         72
        .size:           4
        .value_kind:     by_value
      - .offset:         76
        .size:           4
        .value_kind:     by_value
      - .offset:         80
        .size:           4
        .value_kind:     by_value
      - .offset:         84
        .size:           4
        .value_kind:     by_value
      - .offset:         88
        .size:           4
        .value_kind:     by_value
      - .offset:         92
        .size:           12
        .value_kind:     by_value
      - .offset:         104
        .size:           4
        .value_kind:     by_value
      - .offset:         108
        .size:           4
        .value_kind:     by_value
      - .offset:         112
        .size:           4
        .value_kind:     by_value
      - .offset:         116
        .size:           4
        .value_kind:     by_value
      - .offset:         120
        .size:           4
        .value_kind:     by_value
      - .offset:         124
        .size:           4
        .value_kind:     by_value
      - .offset:         128
        .size:           4
        .value_kind:     by_value
      - .offset:         132
        .size:           4
        .value_kind:     by_value
      - .offset:         136
        .size:           4
        .value_kind:     by_value
      - .offset:         140
        .size:           4
        .value_kind:     by_value
      - .offset:         144
        .size:           4
        .value_kind:     by_value
      - .offset:         152
        .size:           8
        .value_kind:     by_value
      - .offset:         160
        .size:           4
        .value_kind:     by_value
      - .offset:         164
        .size:           4
        .value_kind:     by_value
      - .offset:         168
        .size:           8
        .value_kind:     by_value
      - .offset:         176
        .size:           4
        .value_kind:     by_value
      - .offset:         180
        .size:           4
        .value_kind:     by_value
      - .offset:         184
        .size:           4
        .value_kind:     by_value
      - .offset:         188
        .size:           4
        .value_kind:     by_value
      - .offset:         192
        .size:           4
        .value_kind:     by_value
      - .offset:         200
        .size:           8
        .value_kind:     by_value
      - .offset:         208
        .size:           4
        .value_kind:     hidden_block_count_x
      - .offset:         212
        .size:           4
        .value_kind:     hidden_block_count_y
      - .offset:         216
        .size:           4
        .value_kind:     hidden_block_count_z
      - .offset:         220
        .size:           2
        .value_kind:     hidden_group_size_x
      - .offset:         222
        .size:           2
        .value_kind:     hidden_group_size_y
      - .offset:         224
        .size:           2
        .value_kind:     hidden_group_size_z
      - .offset:         226
        .size:           2
        .value_kind:     hidden_remainder_x
      - .offset:         228
        .size:           2
        .value_kind:     hidden_remainder_y
      - .offset:         230
        .size:           2
        .value_kind:     hidden_remainder_z
      - .offset:         248
        .size:           8
        .value_kind:     hidden_global_offset_x
      - .offset:         256
        .size:           8
        .value_kind:     hidden_global_offset_y
      - .offset:         264
        .size:           8
        .value_kind:     hidden_global_offset_z
      - .offset:         272
        .size:           2
        .value_kind:     hidden_grid_dims
    .group_segment_fixed_size: 6848
    .kernarg_segment_align: 8
    .kernarg_segment_size: 464
    .language:       OpenCL C
    .language_version:
      - 2
      - 0
    .max_flat_workgroup_size: 256
    .name:           _ZL15flash_attn_tileILi80ELi80ELi2ELi8ELb0EEvPKcS1_S1_S1_S1_PKiPfP15HIP_vector_typeIfLj2EEffffjfiS5_IjLj3EEiiiiiiiiiiiliiliiiiil
    .private_segment_fixed_size: 0
    .sgpr_count:     56
    .sgpr_spill_count: 0
    .symbol:         _ZL15flash_attn_tileILi80ELi80ELi2ELi8ELb0EEvPKcS1_S1_S1_S1_PKiPfP15HIP_vector_typeIfLj2EEffffjfiS5_IjLj3EEiiiiiiiiiiiliiliiiiil.kd
    .uniform_work_group_size: 1
    .uses_dynamic_stack: false
    .vgpr_count:     104
    .vgpr_spill_count: 0
    .wavefront_size: 64
  - .agpr_count:     0
    .args:
      - .actual_access:  read_only
        .address_space:  global
        .offset:         0
        .size:           8
        .value_kind:     global_buffer
      - .actual_access:  write_only
        .address_space:  global
        .offset:         8
        .size:           8
        .value_kind:     global_buffer
      - .offset:         16
        .size:           4
        .value_kind:     by_value
      - .offset:         20
        .size:           4
        .value_kind:     by_value
      - .offset:         24
        .size:           4
        .value_kind:     by_value
      - .offset:         32
        .size:           4
        .value_kind:     hidden_block_count_x
      - .offset:         36
        .size:           4
        .value_kind:     hidden_block_count_y
      - .offset:         40
        .size:           4
        .value_kind:     hidden_block_count_z
      - .offset:         44
        .size:           2
        .value_kind:     hidden_group_size_x
      - .offset:         46
        .size:           2
        .value_kind:     hidden_group_size_y
      - .offset:         48
        .size:           2
        .value_kind:     hidden_group_size_z
      - .offset:         50
        .size:           2
        .value_kind:     hidden_remainder_x
      - .offset:         52
        .size:           2
        .value_kind:     hidden_remainder_y
      - .offset:         54
        .size:           2
        .value_kind:     hidden_remainder_z
      - .offset:         72
        .size:           8
        .value_kind:     hidden_global_offset_x
      - .offset:         80
        .size:           8
        .value_kind:     hidden_global_offset_y
      - .offset:         88
        .size:           8
        .value_kind:     hidden_global_offset_z
      - .offset:         96
        .size:           2
        .value_kind:     hidden_grid_dims
    .group_segment_fixed_size: 128
    .kernarg_segment_align: 8
    .kernarg_segment_size: 288
    .language:       OpenCL C
    .language_version:
      - 2
      - 0
    .max_flat_workgroup_size: 128
    .name:           _ZL25flash_attn_mask_to_KV_maxILi2EEvPK7__half2Piiii
    .private_segment_fixed_size: 0
    .sgpr_count:     32
    .sgpr_spill_count: 0
    .symbol:         _ZL25flash_attn_mask_to_KV_maxILi2EEvPK7__half2Piiii.kd
    .uniform_work_group_size: 1
    .uses_dynamic_stack: false
    .vgpr_count:     17
    .vgpr_spill_count: 0
    .wavefront_size: 64
  - .agpr_count:     0
    .args:
      - .address_space:  global
        .offset:         0
        .size:           8
        .value_kind:     global_buffer
      - .address_space:  global
        .offset:         8
        .size:           8
        .value_kind:     global_buffer
      - .offset:         16
        .size:           4
        .value_kind:     by_value
      - .offset:         20
        .size:           4
        .value_kind:     by_value
      - .offset:         24
        .size:           4
        .value_kind:     by_value
      - .offset:         28
        .size:           4
        .value_kind:     by_value
      - .offset:         32
        .size:           4
        .value_kind:     by_value
      - .offset:         36
        .size:           4
        .value_kind:     by_value
      - .offset:         40
        .size:           12
        .value_kind:     by_value
      - .offset:         52
        .size:           12
        .value_kind:     by_value
      - .offset:         64
        .size:           12
        .value_kind:     by_value
    .group_segment_fixed_size: 0
    .kernarg_segment_align: 8
    .kernarg_segment_size: 76
    .language:       OpenCL C
    .language_version:
      - 2
      - 0
    .max_flat_workgroup_size: 80
    .name:           _ZL33flash_attn_stream_k_fixup_uniformILi80ELi2ELi8EEvPfPK15HIP_vector_typeIfLj2EEiiiiiiS1_IjLj3EES5_S5_
    .private_segment_fixed_size: 0
    .sgpr_count:     26
    .sgpr_spill_count: 0
    .symbol:         _ZL33flash_attn_stream_k_fixup_uniformILi80ELi2ELi8EEvPfPK15HIP_vector_typeIfLj2EEiiiiiiS1_IjLj3EES5_S5_.kd
    .uniform_work_group_size: 1
    .uses_dynamic_stack: false
    .vgpr_count:     16
    .vgpr_spill_count: 0
    .wavefront_size: 64
  - .agpr_count:     0
    .args:
      - .address_space:  global
        .offset:         0
        .size:           8
        .value_kind:     global_buffer
      - .address_space:  global
        .offset:         8
        .size:           8
        .value_kind:     global_buffer
      - .offset:         16
        .size:           4
        .value_kind:     by_value
      - .offset:         20
        .size:           4
        .value_kind:     by_value
      - .offset:         24
        .size:           4
        .value_kind:     by_value
      - .offset:         28
        .size:           4
        .value_kind:     by_value
      - .offset:         32
        .size:           12
        .value_kind:     by_value
      - .offset:         44
        .size:           12
        .value_kind:     by_value
      - .offset:         56
        .size:           12
        .value_kind:     by_value
      - .offset:         68
        .size:           12
        .value_kind:     by_value
      - .offset:         80
        .size:           4
        .value_kind:     hidden_block_count_x
      - .offset:         84
        .size:           4
        .value_kind:     hidden_block_count_y
      - .offset:         88
        .size:           4
        .value_kind:     hidden_block_count_z
      - .offset:         92
        .size:           2
        .value_kind:     hidden_group_size_x
      - .offset:         94
        .size:           2
        .value_kind:     hidden_group_size_y
      - .offset:         96
        .size:           2
        .value_kind:     hidden_group_size_z
      - .offset:         98
        .size:           2
        .value_kind:     hidden_remainder_x
      - .offset:         100
        .size:           2
        .value_kind:     hidden_remainder_y
      - .offset:         102
        .size:           2
        .value_kind:     hidden_remainder_z
      - .offset:         120
        .size:           8
        .value_kind:     hidden_global_offset_x
      - .offset:         128
        .size:           8
        .value_kind:     hidden_global_offset_y
      - .offset:         136
        .size:           8
        .value_kind:     hidden_global_offset_z
      - .offset:         144
        .size:           2
        .value_kind:     hidden_grid_dims
    .group_segment_fixed_size: 0
    .kernarg_segment_align: 8
    .kernarg_segment_size: 336
    .language:       OpenCL C
    .language_version:
      - 2
      - 0
    .max_flat_workgroup_size: 80
    .name:           _ZL33flash_attn_stream_k_fixup_generalILi80ELi2ELi8EEvPfPK15HIP_vector_typeIfLj2EEiiiiS1_IjLj3EES5_S5_S5_
    .private_segment_fixed_size: 0
    .sgpr_count:     38
    .sgpr_spill_count: 0
    .symbol:         _ZL33flash_attn_stream_k_fixup_generalILi80ELi2ELi8EEvPfPK15HIP_vector_typeIfLj2EEiiiiS1_IjLj3EES5_S5_S5_.kd
    .uniform_work_group_size: 1
    .uses_dynamic_stack: false
    .vgpr_count:     22
    .vgpr_spill_count: 0
    .wavefront_size: 64
  - .agpr_count:     0
    .args:
      - .address_space:  global
        .offset:         0
        .size:           8
        .value_kind:     global_buffer
      - .address_space:  global
        .offset:         8
        .size:           8
        .value_kind:     global_buffer
      - .address_space:  global
        .offset:         16
        .size:           8
        .value_kind:     global_buffer
      - .address_space:  global
        .offset:         24
        .size:           8
        .value_kind:     global_buffer
      - .address_space:  global
        .offset:         32
        .size:           8
        .value_kind:     global_buffer
      - .address_space:  global
        .offset:         40
        .size:           8
        .value_kind:     global_buffer
      - .address_space:  global
        .offset:         48
        .size:           8
        .value_kind:     global_buffer
      - .address_space:  global
        .offset:         56
        .size:           8
        .value_kind:     global_buffer
      - .offset:         64
        .size:           4
        .value_kind:     by_value
      - .offset:         68
        .size:           4
        .value_kind:     by_value
      - .offset:         72
        .size:           4
        .value_kind:     by_value
      - .offset:         76
        .size:           4
        .value_kind:     by_value
      - .offset:         80
        .size:           4
        .value_kind:     by_value
      - .offset:         84
        .size:           4
        .value_kind:     by_value
      - .offset:         88
        .size:           4
        .value_kind:     by_value
      - .offset:         92
        .size:           12
        .value_kind:     by_value
      - .offset:         104
        .size:           4
        .value_kind:     by_value
      - .offset:         108
        .size:           4
        .value_kind:     by_value
      - .offset:         112
        .size:           4
        .value_kind:     by_value
      - .offset:         116
        .size:           4
        .value_kind:     by_value
      - .offset:         120
        .size:           4
        .value_kind:     by_value
      - .offset:         124
        .size:           4
        .value_kind:     by_value
      - .offset:         128
        .size:           4
        .value_kind:     by_value
      - .offset:         132
        .size:           4
        .value_kind:     by_value
      - .offset:         136
        .size:           4
        .value_kind:     by_value
      - .offset:         140
        .size:           4
        .value_kind:     by_value
      - .offset:         144
        .size:           4
        .value_kind:     by_value
      - .offset:         152
        .size:           8
        .value_kind:     by_value
      - .offset:         160
        .size:           4
        .value_kind:     by_value
      - .offset:         164
        .size:           4
        .value_kind:     by_value
      - .offset:         168
        .size:           8
        .value_kind:     by_value
      - .offset:         176
        .size:           4
        .value_kind:     by_value
      - .offset:         180
        .size:           4
        .value_kind:     by_value
      - .offset:         184
        .size:           4
        .value_kind:     by_value
      - .offset:         188
        .size:           4
        .value_kind:     by_value
      - .offset:         192
        .size:           4
        .value_kind:     by_value
      - .offset:         200
        .size:           8
        .value_kind:     by_value
      - .offset:         208
        .size:           4
        .value_kind:     hidden_block_count_x
      - .offset:         212
        .size:           4
        .value_kind:     hidden_block_count_y
      - .offset:         216
        .size:           4
        .value_kind:     hidden_block_count_z
      - .offset:         220
        .size:           2
        .value_kind:     hidden_group_size_x
      - .offset:         222
        .size:           2
        .value_kind:     hidden_group_size_y
      - .offset:         224
        .size:           2
        .value_kind:     hidden_group_size_z
      - .offset:         226
        .size:           2
        .value_kind:     hidden_remainder_x
      - .offset:         228
        .size:           2
        .value_kind:     hidden_remainder_y
      - .offset:         230
        .size:           2
        .value_kind:     hidden_remainder_z
      - .offset:         248
        .size:           8
        .value_kind:     hidden_global_offset_x
      - .offset:         256
        .size:           8
        .value_kind:     hidden_global_offset_y
      - .offset:         264
        .size:           8
        .value_kind:     hidden_global_offset_z
      - .offset:         272
        .size:           2
        .value_kind:     hidden_grid_dims
    .group_segment_fixed_size: 5056
    .kernarg_segment_align: 8
    .kernarg_segment_size: 464
    .language:       OpenCL C
    .language_version:
      - 2
      - 0
    .max_flat_workgroup_size: 256
    .name:           _ZL15flash_attn_tileILi80ELi80ELi1ELi8ELb0EEvPKcS1_S1_S1_S1_PKiPfP15HIP_vector_typeIfLj2EEffffjfiS5_IjLj3EEiiiiiiiiiiiliiliiiiil
    .private_segment_fixed_size: 0
    .sgpr_count:     52
    .sgpr_spill_count: 0
    .symbol:         _ZL15flash_attn_tileILi80ELi80ELi1ELi8ELb0EEvPKcS1_S1_S1_S1_PKiPfP15HIP_vector_typeIfLj2EEffffjfiS5_IjLj3EEiiiiiiiiiiiliiliiiiil.kd
    .uniform_work_group_size: 1
    .uses_dynamic_stack: false
    .vgpr_count:     88
    .vgpr_spill_count: 0
    .wavefront_size: 64
  - .agpr_count:     0
    .args:
      - .actual_access:  read_only
        .address_space:  global
        .offset:         0
        .size:           8
        .value_kind:     global_buffer
      - .actual_access:  write_only
        .address_space:  global
        .offset:         8
        .size:           8
        .value_kind:     global_buffer
      - .offset:         16
        .size:           4
        .value_kind:     by_value
      - .offset:         20
        .size:           4
        .value_kind:     by_value
      - .offset:         24
        .size:           4
        .value_kind:     by_value
      - .offset:         32
        .size:           4
        .value_kind:     hidden_block_count_x
      - .offset:         36
        .size:           4
        .value_kind:     hidden_block_count_y
      - .offset:         40
        .size:           4
        .value_kind:     hidden_block_count_z
      - .offset:         44
        .size:           2
        .value_kind:     hidden_group_size_x
      - .offset:         46
        .size:           2
        .value_kind:     hidden_group_size_y
      - .offset:         48
        .size:           2
        .value_kind:     hidden_group_size_z
      - .offset:         50
        .size:           2
        .value_kind:     hidden_remainder_x
      - .offset:         52
        .size:           2
        .value_kind:     hidden_remainder_y
      - .offset:         54
        .size:           2
        .value_kind:     hidden_remainder_z
      - .offset:         72
        .size:           8
        .value_kind:     hidden_global_offset_x
      - .offset:         80
        .size:           8
        .value_kind:     hidden_global_offset_y
      - .offset:         88
        .size:           8
        .value_kind:     hidden_global_offset_z
      - .offset:         96
        .size:           2
        .value_kind:     hidden_grid_dims
    .group_segment_fixed_size: 128
    .kernarg_segment_align: 8
    .kernarg_segment_size: 288
    .language:       OpenCL C
    .language_version:
      - 2
      - 0
    .max_flat_workgroup_size: 128
    .name:           _ZL25flash_attn_mask_to_KV_maxILi1EEvPK7__half2Piiii
    .private_segment_fixed_size: 0
    .sgpr_count:     26
    .sgpr_spill_count: 0
    .symbol:         _ZL25flash_attn_mask_to_KV_maxILi1EEvPK7__half2Piiii.kd
    .uniform_work_group_size: 1
    .uses_dynamic_stack: false
    .vgpr_count:     18
    .vgpr_spill_count: 0
    .wavefront_size: 64
  - .agpr_count:     0
    .args:
      - .address_space:  global
        .offset:         0
        .size:           8
        .value_kind:     global_buffer
      - .address_space:  global
        .offset:         8
        .size:           8
        .value_kind:     global_buffer
      - .offset:         16
        .size:           4
        .value_kind:     by_value
      - .offset:         20
        .size:           4
        .value_kind:     by_value
      - .offset:         24
        .size:           4
        .value_kind:     by_value
      - .offset:         28
        .size:           4
        .value_kind:     by_value
      - .offset:         32
        .size:           4
        .value_kind:     by_value
      - .offset:         36
        .size:           4
        .value_kind:     by_value
      - .offset:         40
        .size:           12
        .value_kind:     by_value
      - .offset:         52
        .size:           12
        .value_kind:     by_value
      - .offset:         64
        .size:           12
        .value_kind:     by_value
    .group_segment_fixed_size: 0
    .kernarg_segment_align: 8
    .kernarg_segment_size: 76
    .language:       OpenCL C
    .language_version:
      - 2
      - 0
    .max_flat_workgroup_size: 80
    .name:           _ZL33flash_attn_stream_k_fixup_uniformILi80ELi1ELi8EEvPfPK15HIP_vector_typeIfLj2EEiiiiiiS1_IjLj3EES5_S5_
    .private_segment_fixed_size: 0
    .sgpr_count:     26
    .sgpr_spill_count: 0
    .symbol:         _ZL33flash_attn_stream_k_fixup_uniformILi80ELi1ELi8EEvPfPK15HIP_vector_typeIfLj2EEiiiiiiS1_IjLj3EES5_S5_.kd
    .uniform_work_group_size: 1
    .uses_dynamic_stack: false
    .vgpr_count:     16
    .vgpr_spill_count: 0
    .wavefront_size: 64
  - .agpr_count:     0
    .args:
      - .address_space:  global
        .offset:         0
        .size:           8
        .value_kind:     global_buffer
      - .address_space:  global
        .offset:         8
        .size:           8
        .value_kind:     global_buffer
      - .offset:         16
        .size:           4
        .value_kind:     by_value
      - .offset:         20
        .size:           4
        .value_kind:     by_value
      - .offset:         24
        .size:           4
        .value_kind:     by_value
      - .offset:         28
        .size:           4
        .value_kind:     by_value
      - .offset:         32
        .size:           12
        .value_kind:     by_value
      - .offset:         44
        .size:           12
        .value_kind:     by_value
      - .offset:         56
        .size:           12
        .value_kind:     by_value
      - .offset:         68
        .size:           12
        .value_kind:     by_value
      - .offset:         80
        .size:           4
        .value_kind:     hidden_block_count_x
      - .offset:         84
        .size:           4
        .value_kind:     hidden_block_count_y
      - .offset:         88
        .size:           4
        .value_kind:     hidden_block_count_z
      - .offset:         92
        .size:           2
        .value_kind:     hidden_group_size_x
      - .offset:         94
        .size:           2
        .value_kind:     hidden_group_size_y
      - .offset:         96
        .size:           2
        .value_kind:     hidden_group_size_z
      - .offset:         98
        .size:           2
        .value_kind:     hidden_remainder_x
      - .offset:         100
        .size:           2
        .value_kind:     hidden_remainder_y
      - .offset:         102
        .size:           2
        .value_kind:     hidden_remainder_z
      - .offset:         120
        .size:           8
        .value_kind:     hidden_global_offset_x
      - .offset:         128
        .size:           8
        .value_kind:     hidden_global_offset_y
      - .offset:         136
        .size:           8
        .value_kind:     hidden_global_offset_z
      - .offset:         144
        .size:           2
        .value_kind:     hidden_grid_dims
    .group_segment_fixed_size: 0
    .kernarg_segment_align: 8
    .kernarg_segment_size: 336
    .language:       OpenCL C
    .language_version:
      - 2
      - 0
    .max_flat_workgroup_size: 80
    .name:           _ZL33flash_attn_stream_k_fixup_generalILi80ELi1ELi8EEvPfPK15HIP_vector_typeIfLj2EEiiiiS1_IjLj3EES5_S5_S5_
    .private_segment_fixed_size: 0
    .sgpr_count:     38
    .sgpr_spill_count: 0
    .symbol:         _ZL33flash_attn_stream_k_fixup_generalILi80ELi1ELi8EEvPfPK15HIP_vector_typeIfLj2EEiiiiS1_IjLj3EES5_S5_S5_.kd
    .uniform_work_group_size: 1
    .uses_dynamic_stack: false
    .vgpr_count:     22
    .vgpr_spill_count: 0
    .wavefront_size: 64
  - .agpr_count:     0
    .args:
      - .address_space:  global
        .offset:         0
        .size:           8
        .value_kind:     global_buffer
      - .address_space:  global
        .offset:         8
        .size:           8
        .value_kind:     global_buffer
      - .address_space:  global
        .offset:         16
        .size:           8
        .value_kind:     global_buffer
      - .address_space:  global
        .offset:         24
        .size:           8
        .value_kind:     global_buffer
      - .address_space:  global
        .offset:         32
        .size:           8
        .value_kind:     global_buffer
      - .address_space:  global
        .offset:         40
        .size:           8
        .value_kind:     global_buffer
      - .address_space:  global
        .offset:         48
        .size:           8
        .value_kind:     global_buffer
      - .address_space:  global
        .offset:         56
        .size:           8
        .value_kind:     global_buffer
      - .offset:         64
        .size:           4
        .value_kind:     by_value
      - .offset:         68
        .size:           4
        .value_kind:     by_value
      - .offset:         72
        .size:           4
        .value_kind:     by_value
      - .offset:         76
        .size:           4
        .value_kind:     by_value
      - .offset:         80
        .size:           4
        .value_kind:     by_value
      - .offset:         84
        .size:           4
        .value_kind:     by_value
      - .offset:         88
        .size:           4
        .value_kind:     by_value
      - .offset:         92
        .size:           12
        .value_kind:     by_value
      - .offset:         104
        .size:           4
        .value_kind:     by_value
      - .offset:         108
        .size:           4
        .value_kind:     by_value
      - .offset:         112
        .size:           4
        .value_kind:     by_value
      - .offset:         116
        .size:           4
        .value_kind:     by_value
      - .offset:         120
        .size:           4
        .value_kind:     by_value
      - .offset:         124
        .size:           4
        .value_kind:     by_value
      - .offset:         128
        .size:           4
        .value_kind:     by_value
      - .offset:         132
        .size:           4
        .value_kind:     by_value
      - .offset:         136
        .size:           4
        .value_kind:     by_value
      - .offset:         140
        .size:           4
        .value_kind:     by_value
      - .offset:         144
        .size:           4
        .value_kind:     by_value
      - .offset:         152
        .size:           8
        .value_kind:     by_value
      - .offset:         160
        .size:           4
        .value_kind:     by_value
      - .offset:         164
        .size:           4
        .value_kind:     by_value
      - .offset:         168
        .size:           8
        .value_kind:     by_value
      - .offset:         176
        .size:           4
        .value_kind:     by_value
      - .offset:         180
        .size:           4
        .value_kind:     by_value
      - .offset:         184
        .size:           4
        .value_kind:     by_value
      - .offset:         188
        .size:           4
        .value_kind:     by_value
      - .offset:         192
        .size:           4
        .value_kind:     by_value
      - .offset:         200
        .size:           8
        .value_kind:     by_value
      - .offset:         208
        .size:           4
        .value_kind:     hidden_block_count_x
      - .offset:         212
        .size:           4
        .value_kind:     hidden_block_count_y
      - .offset:         216
        .size:           4
        .value_kind:     hidden_block_count_z
      - .offset:         220
        .size:           2
        .value_kind:     hidden_group_size_x
      - .offset:         222
        .size:           2
        .value_kind:     hidden_group_size_y
      - .offset:         224
        .size:           2
        .value_kind:     hidden_group_size_z
      - .offset:         226
        .size:           2
        .value_kind:     hidden_remainder_x
      - .offset:         228
        .size:           2
        .value_kind:     hidden_remainder_y
      - .offset:         230
        .size:           2
        .value_kind:     hidden_remainder_z
      - .offset:         248
        .size:           8
        .value_kind:     hidden_global_offset_x
      - .offset:         256
        .size:           8
        .value_kind:     hidden_global_offset_y
      - .offset:         264
        .size:           8
        .value_kind:     hidden_global_offset_z
      - .offset:         272
        .size:           2
        .value_kind:     hidden_grid_dims
    .group_segment_fixed_size: 17600
    .kernarg_segment_align: 8
    .kernarg_segment_size: 464
    .language:       OpenCL C
    .language_version:
      - 2
      - 0
    .max_flat_workgroup_size: 256
    .name:           _ZL15flash_attn_tileILi80ELi80ELi16ELi4ELb0EEvPKcS1_S1_S1_S1_PKiPfP15HIP_vector_typeIfLj2EEffffjfiS5_IjLj3EEiiiiiiiiiiiliiliiiiil
    .private_segment_fixed_size: 0
    .sgpr_count:     81
    .sgpr_spill_count: 0
    .symbol:         _ZL15flash_attn_tileILi80ELi80ELi16ELi4ELb0EEvPKcS1_S1_S1_S1_PKiPfP15HIP_vector_typeIfLj2EEffffjfiS5_IjLj3EEiiiiiiiiiiiliiliiiiil.kd
    .uniform_work_group_size: 1
    .uses_dynamic_stack: false
    .vgpr_count:     194
    .vgpr_spill_count: 0
    .wavefront_size: 64
  - .agpr_count:     0
    .args:
      - .actual_access:  read_only
        .address_space:  global
        .offset:         0
        .size:           8
        .value_kind:     global_buffer
      - .actual_access:  write_only
        .address_space:  global
        .offset:         8
        .size:           8
        .value_kind:     global_buffer
      - .offset:         16
        .size:           4
        .value_kind:     by_value
      - .offset:         20
        .size:           4
        .value_kind:     by_value
      - .offset:         24
        .size:           4
        .value_kind:     by_value
      - .offset:         32
        .size:           4
        .value_kind:     hidden_block_count_x
      - .offset:         36
        .size:           4
        .value_kind:     hidden_block_count_y
      - .offset:         40
        .size:           4
        .value_kind:     hidden_block_count_z
      - .offset:         44
        .size:           2
        .value_kind:     hidden_group_size_x
      - .offset:         46
        .size:           2
        .value_kind:     hidden_group_size_y
      - .offset:         48
        .size:           2
        .value_kind:     hidden_group_size_z
      - .offset:         50
        .size:           2
        .value_kind:     hidden_remainder_x
      - .offset:         52
        .size:           2
        .value_kind:     hidden_remainder_y
      - .offset:         54
        .size:           2
        .value_kind:     hidden_remainder_z
      - .offset:         72
        .size:           8
        .value_kind:     hidden_global_offset_x
      - .offset:         80
        .size:           8
        .value_kind:     hidden_global_offset_y
      - .offset:         88
        .size:           8
        .value_kind:     hidden_global_offset_z
      - .offset:         96
        .size:           2
        .value_kind:     hidden_grid_dims
    .group_segment_fixed_size: 128
    .kernarg_segment_align: 8
    .kernarg_segment_size: 288
    .language:       OpenCL C
    .language_version:
      - 2
      - 0
    .max_flat_workgroup_size: 128
    .name:           _ZL25flash_attn_mask_to_KV_maxILi16EEvPK7__half2Piiii
    .private_segment_fixed_size: 0
    .sgpr_count:     88
    .sgpr_spill_count: 0
    .symbol:         _ZL25flash_attn_mask_to_KV_maxILi16EEvPK7__half2Piiii.kd
    .uniform_work_group_size: 1
    .uses_dynamic_stack: false
    .vgpr_count:     12
    .vgpr_spill_count: 0
    .wavefront_size: 64
  - .agpr_count:     0
    .args:
      - .address_space:  global
        .offset:         0
        .size:           8
        .value_kind:     global_buffer
      - .address_space:  global
        .offset:         8
        .size:           8
        .value_kind:     global_buffer
      - .offset:         16
        .size:           4
        .value_kind:     by_value
      - .offset:         20
        .size:           4
        .value_kind:     by_value
      - .offset:         24
        .size:           4
        .value_kind:     by_value
      - .offset:         28
        .size:           4
        .value_kind:     by_value
      - .offset:         32
        .size:           4
        .value_kind:     by_value
      - .offset:         36
        .size:           4
        .value_kind:     by_value
      - .offset:         40
        .size:           12
        .value_kind:     by_value
      - .offset:         52
        .size:           12
        .value_kind:     by_value
      - .offset:         64
        .size:           12
        .value_kind:     by_value
    .group_segment_fixed_size: 0
    .kernarg_segment_align: 8
    .kernarg_segment_size: 76
    .language:       OpenCL C
    .language_version:
      - 2
      - 0
    .max_flat_workgroup_size: 80
    .name:           _ZL33flash_attn_stream_k_fixup_uniformILi80ELi16ELi4EEvPfPK15HIP_vector_typeIfLj2EEiiiiiiS1_IjLj3EES5_S5_
    .private_segment_fixed_size: 0
    .sgpr_count:     26
    .sgpr_spill_count: 0
    .symbol:         _ZL33flash_attn_stream_k_fixup_uniformILi80ELi16ELi4EEvPfPK15HIP_vector_typeIfLj2EEiiiiiiS1_IjLj3EES5_S5_.kd
    .uniform_work_group_size: 1
    .uses_dynamic_stack: false
    .vgpr_count:     16
    .vgpr_spill_count: 0
    .wavefront_size: 64
  - .agpr_count:     0
    .args:
      - .address_space:  global
        .offset:         0
        .size:           8
        .value_kind:     global_buffer
      - .address_space:  global
        .offset:         8
        .size:           8
        .value_kind:     global_buffer
      - .offset:         16
        .size:           4
        .value_kind:     by_value
      - .offset:         20
        .size:           4
        .value_kind:     by_value
      - .offset:         24
        .size:           4
        .value_kind:     by_value
      - .offset:         28
        .size:           4
        .value_kind:     by_value
      - .offset:         32
        .size:           12
        .value_kind:     by_value
      - .offset:         44
        .size:           12
        .value_kind:     by_value
      - .offset:         56
        .size:           12
        .value_kind:     by_value
      - .offset:         68
        .size:           12
        .value_kind:     by_value
      - .offset:         80
        .size:           4
        .value_kind:     hidden_block_count_x
      - .offset:         84
        .size:           4
        .value_kind:     hidden_block_count_y
      - .offset:         88
        .size:           4
        .value_kind:     hidden_block_count_z
      - .offset:         92
        .size:           2
        .value_kind:     hidden_group_size_x
      - .offset:         94
        .size:           2
        .value_kind:     hidden_group_size_y
      - .offset:         96
        .size:           2
        .value_kind:     hidden_group_size_z
      - .offset:         98
        .size:           2
        .value_kind:     hidden_remainder_x
      - .offset:         100
        .size:           2
        .value_kind:     hidden_remainder_y
      - .offset:         102
        .size:           2
        .value_kind:     hidden_remainder_z
      - .offset:         120
        .size:           8
        .value_kind:     hidden_global_offset_x
      - .offset:         128
        .size:           8
        .value_kind:     hidden_global_offset_y
      - .offset:         136
        .size:           8
        .value_kind:     hidden_global_offset_z
      - .offset:         144
        .size:           2
        .value_kind:     hidden_grid_dims
    .group_segment_fixed_size: 0
    .kernarg_segment_align: 8
    .kernarg_segment_size: 336
    .language:       OpenCL C
    .language_version:
      - 2
      - 0
    .max_flat_workgroup_size: 80
    .name:           _ZL33flash_attn_stream_k_fixup_generalILi80ELi16ELi4EEvPfPK15HIP_vector_typeIfLj2EEiiiiS1_IjLj3EES5_S5_S5_
    .private_segment_fixed_size: 0
    .sgpr_count:     38
    .sgpr_spill_count: 0
    .symbol:         _ZL33flash_attn_stream_k_fixup_generalILi80ELi16ELi4EEvPfPK15HIP_vector_typeIfLj2EEiiiiS1_IjLj3EES5_S5_S5_.kd
    .uniform_work_group_size: 1
    .uses_dynamic_stack: false
    .vgpr_count:     22
    .vgpr_spill_count: 0
    .wavefront_size: 64
  - .agpr_count:     0
    .args:
      - .address_space:  global
        .offset:         0
        .size:           8
        .value_kind:     global_buffer
      - .address_space:  global
        .offset:         8
        .size:           8
        .value_kind:     global_buffer
      - .address_space:  global
        .offset:         16
        .size:           8
        .value_kind:     global_buffer
      - .address_space:  global
        .offset:         24
        .size:           8
        .value_kind:     global_buffer
      - .address_space:  global
        .offset:         32
        .size:           8
        .value_kind:     global_buffer
      - .address_space:  global
        .offset:         40
        .size:           8
        .value_kind:     global_buffer
      - .address_space:  global
        .offset:         48
        .size:           8
        .value_kind:     global_buffer
      - .address_space:  global
        .offset:         56
        .size:           8
        .value_kind:     global_buffer
      - .offset:         64
        .size:           4
        .value_kind:     by_value
      - .offset:         68
        .size:           4
        .value_kind:     by_value
      - .offset:         72
        .size:           4
        .value_kind:     by_value
      - .offset:         76
        .size:           4
        .value_kind:     by_value
      - .offset:         80
        .size:           4
        .value_kind:     by_value
      - .offset:         84
        .size:           4
        .value_kind:     by_value
      - .offset:         88
        .size:           4
        .value_kind:     by_value
      - .offset:         92
        .size:           12
        .value_kind:     by_value
      - .offset:         104
        .size:           4
        .value_kind:     by_value
      - .offset:         108
        .size:           4
        .value_kind:     by_value
      - .offset:         112
        .size:           4
        .value_kind:     by_value
      - .offset:         116
        .size:           4
        .value_kind:     by_value
      - .offset:         120
        .size:           4
        .value_kind:     by_value
      - .offset:         124
        .size:           4
        .value_kind:     by_value
      - .offset:         128
        .size:           4
        .value_kind:     by_value
      - .offset:         132
        .size:           4
        .value_kind:     by_value
      - .offset:         136
        .size:           4
        .value_kind:     by_value
      - .offset:         140
        .size:           4
        .value_kind:     by_value
      - .offset:         144
        .size:           4
        .value_kind:     by_value
      - .offset:         152
        .size:           8
        .value_kind:     by_value
      - .offset:         160
        .size:           4
        .value_kind:     by_value
      - .offset:         164
        .size:           4
        .value_kind:     by_value
      - .offset:         168
        .size:           8
        .value_kind:     by_value
      - .offset:         176
        .size:           4
        .value_kind:     by_value
      - .offset:         180
        .size:           4
        .value_kind:     by_value
      - .offset:         184
        .size:           4
        .value_kind:     by_value
      - .offset:         188
        .size:           4
        .value_kind:     by_value
      - .offset:         192
        .size:           4
        .value_kind:     by_value
      - .offset:         200
        .size:           8
        .value_kind:     by_value
      - .offset:         208
        .size:           4
        .value_kind:     hidden_block_count_x
      - .offset:         212
        .size:           4
        .value_kind:     hidden_block_count_y
      - .offset:         216
        .size:           4
        .value_kind:     hidden_block_count_z
      - .offset:         220
        .size:           2
        .value_kind:     hidden_group_size_x
      - .offset:         222
        .size:           2
        .value_kind:     hidden_group_size_y
      - .offset:         224
        .size:           2
        .value_kind:     hidden_group_size_z
      - .offset:         226
        .size:           2
        .value_kind:     hidden_remainder_x
      - .offset:         228
        .size:           2
        .value_kind:     hidden_remainder_y
      - .offset:         230
        .size:           2
        .value_kind:     hidden_remainder_z
      - .offset:         248
        .size:           8
        .value_kind:     hidden_global_offset_x
      - .offset:         256
        .size:           8
        .value_kind:     hidden_global_offset_y
      - .offset:         264
        .size:           8
        .value_kind:     hidden_global_offset_z
      - .offset:         272
        .size:           2
        .value_kind:     hidden_grid_dims
    .group_segment_fixed_size: 10432
    .kernarg_segment_align: 8
    .kernarg_segment_size: 464
    .language:       OpenCL C
    .language_version:
      - 2
      - 0
    .max_flat_workgroup_size: 256
    .name:           _ZL15flash_attn_tileILi80ELi80ELi8ELi4ELb0EEvPKcS1_S1_S1_S1_PKiPfP15HIP_vector_typeIfLj2EEffffjfiS5_IjLj3EEiiiiiiiiiiiliiliiiiil
    .private_segment_fixed_size: 0
    .sgpr_count:     64
    .sgpr_spill_count: 0
    .symbol:         _ZL15flash_attn_tileILi80ELi80ELi8ELi4ELb0EEvPKcS1_S1_S1_S1_PKiPfP15HIP_vector_typeIfLj2EEffffjfiS5_IjLj3EEiiiiiiiiiiiliiliiiiil.kd
    .uniform_work_group_size: 1
    .uses_dynamic_stack: false
    .vgpr_count:     130
    .vgpr_spill_count: 0
    .wavefront_size: 64
  - .agpr_count:     0
    .args:
      - .address_space:  global
        .offset:         0
        .size:           8
        .value_kind:     global_buffer
      - .address_space:  global
        .offset:         8
        .size:           8
        .value_kind:     global_buffer
      - .offset:         16
        .size:           4
        .value_kind:     by_value
      - .offset:         20
        .size:           4
        .value_kind:     by_value
      - .offset:         24
        .size:           4
        .value_kind:     by_value
      - .offset:         28
        .size:           4
        .value_kind:     by_value
      - .offset:         32
        .size:           4
        .value_kind:     by_value
      - .offset:         36
        .size:           4
        .value_kind:     by_value
      - .offset:         40
        .size:           12
        .value_kind:     by_value
      - .offset:         52
        .size:           12
        .value_kind:     by_value
      - .offset:         64
        .size:           12
        .value_kind:     by_value
    .group_segment_fixed_size: 0
    .kernarg_segment_align: 8
    .kernarg_segment_size: 76
    .language:       OpenCL C
    .language_version:
      - 2
      - 0
    .max_flat_workgroup_size: 80
    .name:           _ZL33flash_attn_stream_k_fixup_uniformILi80ELi8ELi4EEvPfPK15HIP_vector_typeIfLj2EEiiiiiiS1_IjLj3EES5_S5_
    .private_segment_fixed_size: 0
    .sgpr_count:     26
    .sgpr_spill_count: 0
    .symbol:         _ZL33flash_attn_stream_k_fixup_uniformILi80ELi8ELi4EEvPfPK15HIP_vector_typeIfLj2EEiiiiiiS1_IjLj3EES5_S5_.kd
    .uniform_work_group_size: 1
    .uses_dynamic_stack: false
    .vgpr_count:     16
    .vgpr_spill_count: 0
    .wavefront_size: 64
  - .agpr_count:     0
    .args:
      - .address_space:  global
        .offset:         0
        .size:           8
        .value_kind:     global_buffer
      - .address_space:  global
        .offset:         8
        .size:           8
        .value_kind:     global_buffer
      - .offset:         16
        .size:           4
        .value_kind:     by_value
      - .offset:         20
        .size:           4
        .value_kind:     by_value
      - .offset:         24
        .size:           4
        .value_kind:     by_value
      - .offset:         28
        .size:           4
        .value_kind:     by_value
      - .offset:         32
        .size:           12
        .value_kind:     by_value
      - .offset:         44
        .size:           12
        .value_kind:     by_value
      - .offset:         56
        .size:           12
        .value_kind:     by_value
      - .offset:         68
        .size:           12
        .value_kind:     by_value
      - .offset:         80
        .size:           4
        .value_kind:     hidden_block_count_x
      - .offset:         84
        .size:           4
        .value_kind:     hidden_block_count_y
      - .offset:         88
        .size:           4
        .value_kind:     hidden_block_count_z
      - .offset:         92
        .size:           2
        .value_kind:     hidden_group_size_x
      - .offset:         94
        .size:           2
        .value_kind:     hidden_group_size_y
      - .offset:         96
        .size:           2
        .value_kind:     hidden_group_size_z
      - .offset:         98
        .size:           2
        .value_kind:     hidden_remainder_x
      - .offset:         100
        .size:           2
        .value_kind:     hidden_remainder_y
      - .offset:         102
        .size:           2
        .value_kind:     hidden_remainder_z
      - .offset:         120
        .size:           8
        .value_kind:     hidden_global_offset_x
      - .offset:         128
        .size:           8
        .value_kind:     hidden_global_offset_y
      - .offset:         136
        .size:           8
        .value_kind:     hidden_global_offset_z
      - .offset:         144
        .size:           2
        .value_kind:     hidden_grid_dims
    .group_segment_fixed_size: 0
    .kernarg_segment_align: 8
    .kernarg_segment_size: 336
    .language:       OpenCL C
    .language_version:
      - 2
      - 0
    .max_flat_workgroup_size: 80
    .name:           _ZL33flash_attn_stream_k_fixup_generalILi80ELi8ELi4EEvPfPK15HIP_vector_typeIfLj2EEiiiiS1_IjLj3EES5_S5_S5_
    .private_segment_fixed_size: 0
    .sgpr_count:     38
    .sgpr_spill_count: 0
    .symbol:         _ZL33flash_attn_stream_k_fixup_generalILi80ELi8ELi4EEvPfPK15HIP_vector_typeIfLj2EEiiiiS1_IjLj3EES5_S5_S5_.kd
    .uniform_work_group_size: 1
    .uses_dynamic_stack: false
    .vgpr_count:     22
    .vgpr_spill_count: 0
    .wavefront_size: 64
  - .agpr_count:     0
    .args:
      - .address_space:  global
        .offset:         0
        .size:           8
        .value_kind:     global_buffer
      - .address_space:  global
        .offset:         8
        .size:           8
        .value_kind:     global_buffer
      - .address_space:  global
        .offset:         16
        .size:           8
        .value_kind:     global_buffer
      - .address_space:  global
        .offset:         24
        .size:           8
        .value_kind:     global_buffer
      - .address_space:  global
        .offset:         32
        .size:           8
        .value_kind:     global_buffer
      - .address_space:  global
        .offset:         40
        .size:           8
        .value_kind:     global_buffer
      - .address_space:  global
        .offset:         48
        .size:           8
        .value_kind:     global_buffer
      - .address_space:  global
        .offset:         56
        .size:           8
        .value_kind:     global_buffer
      - .offset:         64
        .size:           4
        .value_kind:     by_value
      - .offset:         68
        .size:           4
        .value_kind:     by_value
      - .offset:         72
        .size:           4
        .value_kind:     by_value
      - .offset:         76
        .size:           4
        .value_kind:     by_value
      - .offset:         80
        .size:           4
        .value_kind:     by_value
      - .offset:         84
        .size:           4
        .value_kind:     by_value
      - .offset:         88
        .size:           4
        .value_kind:     by_value
      - .offset:         92
        .size:           12
        .value_kind:     by_value
      - .offset:         104
        .size:           4
        .value_kind:     by_value
      - .offset:         108
        .size:           4
        .value_kind:     by_value
      - .offset:         112
        .size:           4
        .value_kind:     by_value
      - .offset:         116
        .size:           4
        .value_kind:     by_value
      - .offset:         120
        .size:           4
        .value_kind:     by_value
      - .offset:         124
        .size:           4
        .value_kind:     by_value
      - .offset:         128
        .size:           4
        .value_kind:     by_value
      - .offset:         132
        .size:           4
        .value_kind:     by_value
      - .offset:         136
        .size:           4
        .value_kind:     by_value
      - .offset:         140
        .size:           4
        .value_kind:     by_value
      - .offset:         144
        .size:           4
        .value_kind:     by_value
      - .offset:         152
        .size:           8
        .value_kind:     by_value
      - .offset:         160
        .size:           4
        .value_kind:     by_value
      - .offset:         164
        .size:           4
        .value_kind:     by_value
      - .offset:         168
        .size:           8
        .value_kind:     by_value
      - .offset:         176
        .size:           4
        .value_kind:     by_value
      - .offset:         180
        .size:           4
        .value_kind:     by_value
      - .offset:         184
        .size:           4
        .value_kind:     by_value
      - .offset:         188
        .size:           4
        .value_kind:     by_value
      - .offset:         192
        .size:           4
        .value_kind:     by_value
      - .offset:         200
        .size:           8
        .value_kind:     by_value
      - .offset:         208
        .size:           4
        .value_kind:     hidden_block_count_x
      - .offset:         212
        .size:           4
        .value_kind:     hidden_block_count_y
      - .offset:         216
        .size:           4
        .value_kind:     hidden_block_count_z
      - .offset:         220
        .size:           2
        .value_kind:     hidden_group_size_x
      - .offset:         222
        .size:           2
        .value_kind:     hidden_group_size_y
      - .offset:         224
        .size:           2
        .value_kind:     hidden_group_size_z
      - .offset:         226
        .size:           2
        .value_kind:     hidden_remainder_x
      - .offset:         228
        .size:           2
        .value_kind:     hidden_remainder_y
      - .offset:         230
        .size:           2
        .value_kind:     hidden_remainder_z
      - .offset:         248
        .size:           8
        .value_kind:     hidden_global_offset_x
      - .offset:         256
        .size:           8
        .value_kind:     hidden_global_offset_y
      - .offset:         264
        .size:           8
        .value_kind:     hidden_global_offset_z
      - .offset:         272
        .size:           2
        .value_kind:     hidden_grid_dims
    .group_segment_fixed_size: 6848
    .kernarg_segment_align: 8
    .kernarg_segment_size: 464
    .language:       OpenCL C
    .language_version:
      - 2
      - 0
    .max_flat_workgroup_size: 256
    .name:           _ZL15flash_attn_tileILi80ELi80ELi4ELi4ELb0EEvPKcS1_S1_S1_S1_PKiPfP15HIP_vector_typeIfLj2EEffffjfiS5_IjLj3EEiiiiiiiiiiiliiliiiiil
    .private_segment_fixed_size: 0
    .sgpr_count:     56
    .sgpr_spill_count: 0
    .symbol:         _ZL15flash_attn_tileILi80ELi80ELi4ELi4ELb0EEvPKcS1_S1_S1_S1_PKiPfP15HIP_vector_typeIfLj2EEffffjfiS5_IjLj3EEiiiiiiiiiiiliiliiiiil.kd
    .uniform_work_group_size: 1
    .uses_dynamic_stack: false
    .vgpr_count:     104
    .vgpr_spill_count: 0
    .wavefront_size: 64
  - .agpr_count:     0
    .args:
      - .address_space:  global
        .offset:         0
        .size:           8
        .value_kind:     global_buffer
      - .address_space:  global
        .offset:         8
        .size:           8
        .value_kind:     global_buffer
      - .offset:         16
        .size:           4
        .value_kind:     by_value
      - .offset:         20
        .size:           4
        .value_kind:     by_value
      - .offset:         24
        .size:           4
        .value_kind:     by_value
      - .offset:         28
        .size:           4
        .value_kind:     by_value
      - .offset:         32
        .size:           4
        .value_kind:     by_value
      - .offset:         36
        .size:           4
        .value_kind:     by_value
      - .offset:         40
        .size:           12
        .value_kind:     by_value
      - .offset:         52
        .size:           12
        .value_kind:     by_value
      - .offset:         64
        .size:           12
        .value_kind:     by_value
    .group_segment_fixed_size: 0
    .kernarg_segment_align: 8
    .kernarg_segment_size: 76
    .language:       OpenCL C
    .language_version:
      - 2
      - 0
    .max_flat_workgroup_size: 80
    .name:           _ZL33flash_attn_stream_k_fixup_uniformILi80ELi4ELi4EEvPfPK15HIP_vector_typeIfLj2EEiiiiiiS1_IjLj3EES5_S5_
    .private_segment_fixed_size: 0
    .sgpr_count:     26
    .sgpr_spill_count: 0
    .symbol:         _ZL33flash_attn_stream_k_fixup_uniformILi80ELi4ELi4EEvPfPK15HIP_vector_typeIfLj2EEiiiiiiS1_IjLj3EES5_S5_.kd
    .uniform_work_group_size: 1
    .uses_dynamic_stack: false
    .vgpr_count:     16
    .vgpr_spill_count: 0
    .wavefront_size: 64
  - .agpr_count:     0
    .args:
      - .address_space:  global
        .offset:         0
        .size:           8
        .value_kind:     global_buffer
      - .address_space:  global
        .offset:         8
        .size:           8
        .value_kind:     global_buffer
      - .offset:         16
        .size:           4
        .value_kind:     by_value
      - .offset:         20
        .size:           4
        .value_kind:     by_value
      - .offset:         24
        .size:           4
        .value_kind:     by_value
      - .offset:         28
        .size:           4
        .value_kind:     by_value
      - .offset:         32
        .size:           12
        .value_kind:     by_value
      - .offset:         44
        .size:           12
        .value_kind:     by_value
      - .offset:         56
        .size:           12
        .value_kind:     by_value
      - .offset:         68
        .size:           12
        .value_kind:     by_value
      - .offset:         80
        .size:           4
        .value_kind:     hidden_block_count_x
      - .offset:         84
        .size:           4
        .value_kind:     hidden_block_count_y
      - .offset:         88
        .size:           4
        .value_kind:     hidden_block_count_z
      - .offset:         92
        .size:           2
        .value_kind:     hidden_group_size_x
      - .offset:         94
        .size:           2
        .value_kind:     hidden_group_size_y
      - .offset:         96
        .size:           2
        .value_kind:     hidden_group_size_z
      - .offset:         98
        .size:           2
        .value_kind:     hidden_remainder_x
      - .offset:         100
        .size:           2
        .value_kind:     hidden_remainder_y
      - .offset:         102
        .size:           2
        .value_kind:     hidden_remainder_z
      - .offset:         120
        .size:           8
        .value_kind:     hidden_global_offset_x
      - .offset:         128
        .size:           8
        .value_kind:     hidden_global_offset_y
      - .offset:         136
        .size:           8
        .value_kind:     hidden_global_offset_z
      - .offset:         144
        .size:           2
        .value_kind:     hidden_grid_dims
    .group_segment_fixed_size: 0
    .kernarg_segment_align: 8
    .kernarg_segment_size: 336
    .language:       OpenCL C
    .language_version:
      - 2
      - 0
    .max_flat_workgroup_size: 80
    .name:           _ZL33flash_attn_stream_k_fixup_generalILi80ELi4ELi4EEvPfPK15HIP_vector_typeIfLj2EEiiiiS1_IjLj3EES5_S5_S5_
    .private_segment_fixed_size: 0
    .sgpr_count:     38
    .sgpr_spill_count: 0
    .symbol:         _ZL33flash_attn_stream_k_fixup_generalILi80ELi4ELi4EEvPfPK15HIP_vector_typeIfLj2EEiiiiS1_IjLj3EES5_S5_S5_.kd
    .uniform_work_group_size: 1
    .uses_dynamic_stack: false
    .vgpr_count:     22
    .vgpr_spill_count: 0
    .wavefront_size: 64
  - .agpr_count:     0
    .args:
      - .address_space:  global
        .offset:         0
        .size:           8
        .value_kind:     global_buffer
      - .address_space:  global
        .offset:         8
        .size:           8
        .value_kind:     global_buffer
      - .address_space:  global
        .offset:         16
        .size:           8
        .value_kind:     global_buffer
      - .address_space:  global
        .offset:         24
        .size:           8
        .value_kind:     global_buffer
      - .address_space:  global
        .offset:         32
        .size:           8
        .value_kind:     global_buffer
      - .address_space:  global
        .offset:         40
        .size:           8
        .value_kind:     global_buffer
      - .address_space:  global
        .offset:         48
        .size:           8
        .value_kind:     global_buffer
      - .address_space:  global
        .offset:         56
        .size:           8
        .value_kind:     global_buffer
      - .offset:         64
        .size:           4
        .value_kind:     by_value
      - .offset:         68
        .size:           4
        .value_kind:     by_value
      - .offset:         72
        .size:           4
        .value_kind:     by_value
      - .offset:         76
        .size:           4
        .value_kind:     by_value
      - .offset:         80
        .size:           4
        .value_kind:     by_value
      - .offset:         84
        .size:           4
        .value_kind:     by_value
      - .offset:         88
        .size:           4
        .value_kind:     by_value
      - .offset:         92
        .size:           12
        .value_kind:     by_value
      - .offset:         104
        .size:           4
        .value_kind:     by_value
      - .offset:         108
        .size:           4
        .value_kind:     by_value
      - .offset:         112
        .size:           4
        .value_kind:     by_value
      - .offset:         116
        .size:           4
        .value_kind:     by_value
      - .offset:         120
        .size:           4
        .value_kind:     by_value
      - .offset:         124
        .size:           4
        .value_kind:     by_value
      - .offset:         128
        .size:           4
        .value_kind:     by_value
      - .offset:         132
        .size:           4
        .value_kind:     by_value
      - .offset:         136
        .size:           4
        .value_kind:     by_value
      - .offset:         140
        .size:           4
        .value_kind:     by_value
      - .offset:         144
        .size:           4
        .value_kind:     by_value
      - .offset:         152
        .size:           8
        .value_kind:     by_value
      - .offset:         160
        .size:           4
        .value_kind:     by_value
      - .offset:         164
        .size:           4
        .value_kind:     by_value
      - .offset:         168
        .size:           8
        .value_kind:     by_value
      - .offset:         176
        .size:           4
        .value_kind:     by_value
      - .offset:         180
        .size:           4
        .value_kind:     by_value
      - .offset:         184
        .size:           4
        .value_kind:     by_value
      - .offset:         188
        .size:           4
        .value_kind:     by_value
      - .offset:         192
        .size:           4
        .value_kind:     by_value
      - .offset:         200
        .size:           8
        .value_kind:     by_value
      - .offset:         208
        .size:           4
        .value_kind:     hidden_block_count_x
      - .offset:         212
        .size:           4
        .value_kind:     hidden_block_count_y
      - .offset:         216
        .size:           4
        .value_kind:     hidden_block_count_z
      - .offset:         220
        .size:           2
        .value_kind:     hidden_group_size_x
      - .offset:         222
        .size:           2
        .value_kind:     hidden_group_size_y
      - .offset:         224
        .size:           2
        .value_kind:     hidden_group_size_z
      - .offset:         226
        .size:           2
        .value_kind:     hidden_remainder_x
      - .offset:         228
        .size:           2
        .value_kind:     hidden_remainder_y
      - .offset:         230
        .size:           2
        .value_kind:     hidden_remainder_z
      - .offset:         248
        .size:           8
        .value_kind:     hidden_global_offset_x
      - .offset:         256
        .size:           8
        .value_kind:     hidden_global_offset_y
      - .offset:         264
        .size:           8
        .value_kind:     hidden_global_offset_z
      - .offset:         272
        .size:           2
        .value_kind:     hidden_grid_dims
    .group_segment_fixed_size: 5056
    .kernarg_segment_align: 8
    .kernarg_segment_size: 464
    .language:       OpenCL C
    .language_version:
      - 2
      - 0
    .max_flat_workgroup_size: 256
    .name:           _ZL15flash_attn_tileILi80ELi80ELi2ELi4ELb0EEvPKcS1_S1_S1_S1_PKiPfP15HIP_vector_typeIfLj2EEffffjfiS5_IjLj3EEiiiiiiiiiiiliiliiiiil
    .private_segment_fixed_size: 0
    .sgpr_count:     51
    .sgpr_spill_count: 0
    .symbol:         _ZL15flash_attn_tileILi80ELi80ELi2ELi4ELb0EEvPKcS1_S1_S1_S1_PKiPfP15HIP_vector_typeIfLj2EEffffjfiS5_IjLj3EEiiiiiiiiiiiliiliiiiil.kd
    .uniform_work_group_size: 1
    .uses_dynamic_stack: false
    .vgpr_count:     88
    .vgpr_spill_count: 0
    .wavefront_size: 64
  - .agpr_count:     0
    .args:
      - .address_space:  global
        .offset:         0
        .size:           8
        .value_kind:     global_buffer
      - .address_space:  global
        .offset:         8
        .size:           8
        .value_kind:     global_buffer
      - .offset:         16
        .size:           4
        .value_kind:     by_value
      - .offset:         20
        .size:           4
        .value_kind:     by_value
      - .offset:         24
        .size:           4
        .value_kind:     by_value
      - .offset:         28
        .size:           4
        .value_kind:     by_value
      - .offset:         32
        .size:           4
        .value_kind:     by_value
      - .offset:         36
        .size:           4
        .value_kind:     by_value
      - .offset:         40
        .size:           12
        .value_kind:     by_value
      - .offset:         52
        .size:           12
        .value_kind:     by_value
      - .offset:         64
        .size:           12
        .value_kind:     by_value
    .group_segment_fixed_size: 0
    .kernarg_segment_align: 8
    .kernarg_segment_size: 76
    .language:       OpenCL C
    .language_version:
      - 2
      - 0
    .max_flat_workgroup_size: 80
    .name:           _ZL33flash_attn_stream_k_fixup_uniformILi80ELi2ELi4EEvPfPK15HIP_vector_typeIfLj2EEiiiiiiS1_IjLj3EES5_S5_
    .private_segment_fixed_size: 0
    .sgpr_count:     26
    .sgpr_spill_count: 0
    .symbol:         _ZL33flash_attn_stream_k_fixup_uniformILi80ELi2ELi4EEvPfPK15HIP_vector_typeIfLj2EEiiiiiiS1_IjLj3EES5_S5_.kd
    .uniform_work_group_size: 1
    .uses_dynamic_stack: false
    .vgpr_count:     16
    .vgpr_spill_count: 0
    .wavefront_size: 64
  - .agpr_count:     0
    .args:
      - .address_space:  global
        .offset:         0
        .size:           8
        .value_kind:     global_buffer
      - .address_space:  global
        .offset:         8
        .size:           8
        .value_kind:     global_buffer
      - .offset:         16
        .size:           4
        .value_kind:     by_value
      - .offset:         20
        .size:           4
        .value_kind:     by_value
      - .offset:         24
        .size:           4
        .value_kind:     by_value
      - .offset:         28
        .size:           4
        .value_kind:     by_value
      - .offset:         32
        .size:           12
        .value_kind:     by_value
      - .offset:         44
        .size:           12
        .value_kind:     by_value
      - .offset:         56
        .size:           12
        .value_kind:     by_value
      - .offset:         68
        .size:           12
        .value_kind:     by_value
      - .offset:         80
        .size:           4
        .value_kind:     hidden_block_count_x
      - .offset:         84
        .size:           4
        .value_kind:     hidden_block_count_y
      - .offset:         88
        .size:           4
        .value_kind:     hidden_block_count_z
      - .offset:         92
        .size:           2
        .value_kind:     hidden_group_size_x
      - .offset:         94
        .size:           2
        .value_kind:     hidden_group_size_y
      - .offset:         96
        .size:           2
        .value_kind:     hidden_group_size_z
      - .offset:         98
        .size:           2
        .value_kind:     hidden_remainder_x
      - .offset:         100
        .size:           2
        .value_kind:     hidden_remainder_y
      - .offset:         102
        .size:           2
        .value_kind:     hidden_remainder_z
      - .offset:         120
        .size:           8
        .value_kind:     hidden_global_offset_x
      - .offset:         128
        .size:           8
        .value_kind:     hidden_global_offset_y
      - .offset:         136
        .size:           8
        .value_kind:     hidden_global_offset_z
      - .offset:         144
        .size:           2
        .value_kind:     hidden_grid_dims
    .group_segment_fixed_size: 0
    .kernarg_segment_align: 8
    .kernarg_segment_size: 336
    .language:       OpenCL C
    .language_version:
      - 2
      - 0
    .max_flat_workgroup_size: 80
    .name:           _ZL33flash_attn_stream_k_fixup_generalILi80ELi2ELi4EEvPfPK15HIP_vector_typeIfLj2EEiiiiS1_IjLj3EES5_S5_S5_
    .private_segment_fixed_size: 0
    .sgpr_count:     38
    .sgpr_spill_count: 0
    .symbol:         _ZL33flash_attn_stream_k_fixup_generalILi80ELi2ELi4EEvPfPK15HIP_vector_typeIfLj2EEiiiiS1_IjLj3EES5_S5_S5_.kd
    .uniform_work_group_size: 1
    .uses_dynamic_stack: false
    .vgpr_count:     22
    .vgpr_spill_count: 0
    .wavefront_size: 64
  - .agpr_count:     0
    .args:
      - .address_space:  global
        .offset:         0
        .size:           8
        .value_kind:     global_buffer
      - .address_space:  global
        .offset:         8
        .size:           8
        .value_kind:     global_buffer
      - .address_space:  global
        .offset:         16
        .size:           8
        .value_kind:     global_buffer
      - .address_space:  global
        .offset:         24
        .size:           8
        .value_kind:     global_buffer
      - .address_space:  global
        .offset:         32
        .size:           8
        .value_kind:     global_buffer
      - .address_space:  global
        .offset:         40
        .size:           8
        .value_kind:     global_buffer
      - .address_space:  global
        .offset:         48
        .size:           8
        .value_kind:     global_buffer
      - .address_space:  global
        .offset:         56
        .size:           8
        .value_kind:     global_buffer
      - .offset:         64
        .size:           4
        .value_kind:     by_value
      - .offset:         68
        .size:           4
        .value_kind:     by_value
      - .offset:         72
        .size:           4
        .value_kind:     by_value
      - .offset:         76
        .size:           4
        .value_kind:     by_value
      - .offset:         80
        .size:           4
        .value_kind:     by_value
      - .offset:         84
        .size:           4
        .value_kind:     by_value
      - .offset:         88
        .size:           4
        .value_kind:     by_value
      - .offset:         92
        .size:           12
        .value_kind:     by_value
      - .offset:         104
        .size:           4
        .value_kind:     by_value
      - .offset:         108
        .size:           4
        .value_kind:     by_value
      - .offset:         112
        .size:           4
        .value_kind:     by_value
      - .offset:         116
        .size:           4
        .value_kind:     by_value
      - .offset:         120
        .size:           4
        .value_kind:     by_value
      - .offset:         124
        .size:           4
        .value_kind:     by_value
      - .offset:         128
        .size:           4
        .value_kind:     by_value
      - .offset:         132
        .size:           4
        .value_kind:     by_value
      - .offset:         136
        .size:           4
        .value_kind:     by_value
      - .offset:         140
        .size:           4
        .value_kind:     by_value
      - .offset:         144
        .size:           4
        .value_kind:     by_value
      - .offset:         152
        .size:           8
        .value_kind:     by_value
      - .offset:         160
        .size:           4
        .value_kind:     by_value
      - .offset:         164
        .size:           4
        .value_kind:     by_value
      - .offset:         168
        .size:           8
        .value_kind:     by_value
      - .offset:         176
        .size:           4
        .value_kind:     by_value
      - .offset:         180
        .size:           4
        .value_kind:     by_value
      - .offset:         184
        .size:           4
        .value_kind:     by_value
      - .offset:         188
        .size:           4
        .value_kind:     by_value
      - .offset:         192
        .size:           4
        .value_kind:     by_value
      - .offset:         200
        .size:           8
        .value_kind:     by_value
      - .offset:         208
        .size:           4
        .value_kind:     hidden_block_count_x
      - .offset:         212
        .size:           4
        .value_kind:     hidden_block_count_y
      - .offset:         216
        .size:           4
        .value_kind:     hidden_block_count_z
      - .offset:         220
        .size:           2
        .value_kind:     hidden_group_size_x
      - .offset:         222
        .size:           2
        .value_kind:     hidden_group_size_y
      - .offset:         224
        .size:           2
        .value_kind:     hidden_group_size_z
      - .offset:         226
        .size:           2
        .value_kind:     hidden_remainder_x
      - .offset:         228
        .size:           2
        .value_kind:     hidden_remainder_y
      - .offset:         230
        .size:           2
        .value_kind:     hidden_remainder_z
      - .offset:         248
        .size:           8
        .value_kind:     hidden_global_offset_x
      - .offset:         256
        .size:           8
        .value_kind:     hidden_global_offset_y
      - .offset:         264
        .size:           8
        .value_kind:     hidden_global_offset_z
      - .offset:         272
        .size:           2
        .value_kind:     hidden_grid_dims
    .group_segment_fixed_size: 4160
    .kernarg_segment_align: 8
    .kernarg_segment_size: 464
    .language:       OpenCL C
    .language_version:
      - 2
      - 0
    .max_flat_workgroup_size: 128
    .name:           _ZL15flash_attn_tileILi80ELi80ELi1ELi4ELb0EEvPKcS1_S1_S1_S1_PKiPfP15HIP_vector_typeIfLj2EEffffjfiS5_IjLj3EEiiiiiiiiiiiliiliiiiil
    .private_segment_fixed_size: 0
    .sgpr_count:     50
    .sgpr_spill_count: 0
    .symbol:         _ZL15flash_attn_tileILi80ELi80ELi1ELi4ELb0EEvPKcS1_S1_S1_S1_PKiPfP15HIP_vector_typeIfLj2EEffffjfiS5_IjLj3EEiiiiiiiiiiiliiliiiiil.kd
    .uniform_work_group_size: 1
    .uses_dynamic_stack: false
    .vgpr_count:     89
    .vgpr_spill_count: 0
    .wavefront_size: 64
  - .agpr_count:     0
    .args:
      - .address_space:  global
        .offset:         0
        .size:           8
        .value_kind:     global_buffer
      - .address_space:  global
        .offset:         8
        .size:           8
        .value_kind:     global_buffer
      - .offset:         16
        .size:           4
        .value_kind:     by_value
      - .offset:         20
        .size:           4
        .value_kind:     by_value
      - .offset:         24
        .size:           4
        .value_kind:     by_value
      - .offset:         28
        .size:           4
        .value_kind:     by_value
      - .offset:         32
        .size:           4
        .value_kind:     by_value
      - .offset:         36
        .size:           4
        .value_kind:     by_value
      - .offset:         40
        .size:           12
        .value_kind:     by_value
      - .offset:         52
        .size:           12
        .value_kind:     by_value
      - .offset:         64
        .size:           12
        .value_kind:     by_value
    .group_segment_fixed_size: 0
    .kernarg_segment_align: 8
    .kernarg_segment_size: 76
    .language:       OpenCL C
    .language_version:
      - 2
      - 0
    .max_flat_workgroup_size: 80
    .name:           _ZL33flash_attn_stream_k_fixup_uniformILi80ELi1ELi4EEvPfPK15HIP_vector_typeIfLj2EEiiiiiiS1_IjLj3EES5_S5_
    .private_segment_fixed_size: 0
    .sgpr_count:     26
    .sgpr_spill_count: 0
    .symbol:         _ZL33flash_attn_stream_k_fixup_uniformILi80ELi1ELi4EEvPfPK15HIP_vector_typeIfLj2EEiiiiiiS1_IjLj3EES5_S5_.kd
    .uniform_work_group_size: 1
    .uses_dynamic_stack: false
    .vgpr_count:     16
    .vgpr_spill_count: 0
    .wavefront_size: 64
  - .agpr_count:     0
    .args:
      - .address_space:  global
        .offset:         0
        .size:           8
        .value_kind:     global_buffer
      - .address_space:  global
        .offset:         8
        .size:           8
        .value_kind:     global_buffer
      - .offset:         16
        .size:           4
        .value_kind:     by_value
      - .offset:         20
        .size:           4
        .value_kind:     by_value
      - .offset:         24
        .size:           4
        .value_kind:     by_value
      - .offset:         28
        .size:           4
        .value_kind:     by_value
      - .offset:         32
        .size:           12
        .value_kind:     by_value
      - .offset:         44
        .size:           12
        .value_kind:     by_value
      - .offset:         56
        .size:           12
        .value_kind:     by_value
      - .offset:         68
        .size:           12
        .value_kind:     by_value
      - .offset:         80
        .size:           4
        .value_kind:     hidden_block_count_x
      - .offset:         84
        .size:           4
        .value_kind:     hidden_block_count_y
      - .offset:         88
        .size:           4
        .value_kind:     hidden_block_count_z
      - .offset:         92
        .size:           2
        .value_kind:     hidden_group_size_x
      - .offset:         94
        .size:           2
        .value_kind:     hidden_group_size_y
      - .offset:         96
        .size:           2
        .value_kind:     hidden_group_size_z
      - .offset:         98
        .size:           2
        .value_kind:     hidden_remainder_x
      - .offset:         100
        .size:           2
        .value_kind:     hidden_remainder_y
      - .offset:         102
        .size:           2
        .value_kind:     hidden_remainder_z
      - .offset:         120
        .size:           8
        .value_kind:     hidden_global_offset_x
      - .offset:         128
        .size:           8
        .value_kind:     hidden_global_offset_y
      - .offset:         136
        .size:           8
        .value_kind:     hidden_global_offset_z
      - .offset:         144
        .size:           2
        .value_kind:     hidden_grid_dims
    .group_segment_fixed_size: 0
    .kernarg_segment_align: 8
    .kernarg_segment_size: 336
    .language:       OpenCL C
    .language_version:
      - 2
      - 0
    .max_flat_workgroup_size: 80
    .name:           _ZL33flash_attn_stream_k_fixup_generalILi80ELi1ELi4EEvPfPK15HIP_vector_typeIfLj2EEiiiiS1_IjLj3EES5_S5_S5_
    .private_segment_fixed_size: 0
    .sgpr_count:     38
    .sgpr_spill_count: 0
    .symbol:         _ZL33flash_attn_stream_k_fixup_generalILi80ELi1ELi4EEvPfPK15HIP_vector_typeIfLj2EEiiiiS1_IjLj3EES5_S5_S5_.kd
    .uniform_work_group_size: 1
    .uses_dynamic_stack: false
    .vgpr_count:     22
    .vgpr_spill_count: 0
    .wavefront_size: 64
  - .agpr_count:     0
    .args:
      - .address_space:  global
        .offset:         0
        .size:           8
        .value_kind:     global_buffer
      - .address_space:  global
        .offset:         8
        .size:           8
        .value_kind:     global_buffer
      - .address_space:  global
        .offset:         16
        .size:           8
        .value_kind:     global_buffer
      - .address_space:  global
        .offset:         24
        .size:           8
        .value_kind:     global_buffer
      - .address_space:  global
        .offset:         32
        .size:           8
        .value_kind:     global_buffer
      - .address_space:  global
        .offset:         40
        .size:           8
        .value_kind:     global_buffer
      - .address_space:  global
        .offset:         48
        .size:           8
        .value_kind:     global_buffer
      - .address_space:  global
        .offset:         56
        .size:           8
        .value_kind:     global_buffer
      - .offset:         64
        .size:           4
        .value_kind:     by_value
      - .offset:         68
        .size:           4
        .value_kind:     by_value
      - .offset:         72
        .size:           4
        .value_kind:     by_value
      - .offset:         76
        .size:           4
        .value_kind:     by_value
      - .offset:         80
        .size:           4
        .value_kind:     by_value
      - .offset:         84
        .size:           4
        .value_kind:     by_value
      - .offset:         88
        .size:           4
        .value_kind:     by_value
      - .offset:         92
        .size:           12
        .value_kind:     by_value
      - .offset:         104
        .size:           4
        .value_kind:     by_value
      - .offset:         108
        .size:           4
        .value_kind:     by_value
      - .offset:         112
        .size:           4
        .value_kind:     by_value
      - .offset:         116
        .size:           4
        .value_kind:     by_value
      - .offset:         120
        .size:           4
        .value_kind:     by_value
      - .offset:         124
        .size:           4
        .value_kind:     by_value
      - .offset:         128
        .size:           4
        .value_kind:     by_value
      - .offset:         132
        .size:           4
        .value_kind:     by_value
      - .offset:         136
        .size:           4
        .value_kind:     by_value
      - .offset:         140
        .size:           4
        .value_kind:     by_value
      - .offset:         144
        .size:           4
        .value_kind:     by_value
      - .offset:         152
        .size:           8
        .value_kind:     by_value
      - .offset:         160
        .size:           4
        .value_kind:     by_value
      - .offset:         164
        .size:           4
        .value_kind:     by_value
      - .offset:         168
        .size:           8
        .value_kind:     by_value
      - .offset:         176
        .size:           4
        .value_kind:     by_value
      - .offset:         180
        .size:           4
        .value_kind:     by_value
      - .offset:         184
        .size:           4
        .value_kind:     by_value
      - .offset:         188
        .size:           4
        .value_kind:     by_value
      - .offset:         192
        .size:           4
        .value_kind:     by_value
      - .offset:         200
        .size:           8
        .value_kind:     by_value
      - .offset:         208
        .size:           4
        .value_kind:     hidden_block_count_x
      - .offset:         212
        .size:           4
        .value_kind:     hidden_block_count_y
      - .offset:         216
        .size:           4
        .value_kind:     hidden_block_count_z
      - .offset:         220
        .size:           2
        .value_kind:     hidden_group_size_x
      - .offset:         222
        .size:           2
        .value_kind:     hidden_group_size_y
      - .offset:         224
        .size:           2
        .value_kind:     hidden_group_size_z
      - .offset:         226
        .size:           2
        .value_kind:     hidden_remainder_x
      - .offset:         228
        .size:           2
        .value_kind:     hidden_remainder_y
      - .offset:         230
        .size:           2
        .value_kind:     hidden_remainder_z
      - .offset:         248
        .size:           8
        .value_kind:     hidden_global_offset_x
      - .offset:         256
        .size:           8
        .value_kind:     hidden_global_offset_y
      - .offset:         264
        .size:           8
        .value_kind:     hidden_global_offset_z
      - .offset:         272
        .size:           2
        .value_kind:     hidden_grid_dims
    .group_segment_fixed_size: 17600
    .kernarg_segment_align: 8
    .kernarg_segment_size: 464
    .language:       OpenCL C
    .language_version:
      - 2
      - 0
    .max_flat_workgroup_size: 256
    .name:           _ZL15flash_attn_tileILi80ELi80ELi32ELi2ELb0EEvPKcS1_S1_S1_S1_PKiPfP15HIP_vector_typeIfLj2EEffffjfiS5_IjLj3EEiiiiiiiiiiiliiliiiiil
    .private_segment_fixed_size: 0
    .sgpr_count:     81
    .sgpr_spill_count: 0
    .symbol:         _ZL15flash_attn_tileILi80ELi80ELi32ELi2ELb0EEvPKcS1_S1_S1_S1_PKiPfP15HIP_vector_typeIfLj2EEffffjfiS5_IjLj3EEiiiiiiiiiiiliiliiiiil.kd
    .uniform_work_group_size: 1
    .uses_dynamic_stack: false
    .vgpr_count:     198
    .vgpr_spill_count: 0
    .wavefront_size: 64
  - .agpr_count:     0
    .args:
      - .actual_access:  read_only
        .address_space:  global
        .offset:         0
        .size:           8
        .value_kind:     global_buffer
      - .actual_access:  write_only
        .address_space:  global
        .offset:         8
        .size:           8
        .value_kind:     global_buffer
      - .offset:         16
        .size:           4
        .value_kind:     by_value
      - .offset:         20
        .size:           4
        .value_kind:     by_value
      - .offset:         24
        .size:           4
        .value_kind:     by_value
      - .offset:         32
        .size:           4
        .value_kind:     hidden_block_count_x
      - .offset:         36
        .size:           4
        .value_kind:     hidden_block_count_y
      - .offset:         40
        .size:           4
        .value_kind:     hidden_block_count_z
      - .offset:         44
        .size:           2
        .value_kind:     hidden_group_size_x
      - .offset:         46
        .size:           2
        .value_kind:     hidden_group_size_y
      - .offset:         48
        .size:           2
        .value_kind:     hidden_group_size_z
      - .offset:         50
        .size:           2
        .value_kind:     hidden_remainder_x
      - .offset:         52
        .size:           2
        .value_kind:     hidden_remainder_y
      - .offset:         54
        .size:           2
        .value_kind:     hidden_remainder_z
      - .offset:         72
        .size:           8
        .value_kind:     hidden_global_offset_x
      - .offset:         80
        .size:           8
        .value_kind:     hidden_global_offset_y
      - .offset:         88
        .size:           8
        .value_kind:     hidden_global_offset_z
      - .offset:         96
        .size:           2
        .value_kind:     hidden_grid_dims
    .group_segment_fixed_size: 128
    .kernarg_segment_align: 8
    .kernarg_segment_size: 288
    .language:       OpenCL C
    .language_version:
      - 2
      - 0
    .max_flat_workgroup_size: 128
    .name:           _ZL25flash_attn_mask_to_KV_maxILi32EEvPK7__half2Piiii
    .private_segment_fixed_size: 0
    .sgpr_count:     106
    .sgpr_spill_count: 44
    .symbol:         _ZL25flash_attn_mask_to_KV_maxILi32EEvPK7__half2Piiii.kd
    .uniform_work_group_size: 1
    .uses_dynamic_stack: false
    .vgpr_count:     13
    .vgpr_spill_count: 0
    .wavefront_size: 64
  - .agpr_count:     0
    .args:
      - .address_space:  global
        .offset:         0
        .size:           8
        .value_kind:     global_buffer
      - .address_space:  global
        .offset:         8
        .size:           8
        .value_kind:     global_buffer
      - .offset:         16
        .size:           4
        .value_kind:     by_value
      - .offset:         20
        .size:           4
        .value_kind:     by_value
      - .offset:         24
        .size:           4
        .value_kind:     by_value
      - .offset:         28
        .size:           4
        .value_kind:     by_value
      - .offset:         32
        .size:           4
        .value_kind:     by_value
      - .offset:         36
        .size:           4
        .value_kind:     by_value
      - .offset:         40
        .size:           12
        .value_kind:     by_value
      - .offset:         52
        .size:           12
        .value_kind:     by_value
      - .offset:         64
        .size:           12
        .value_kind:     by_value
    .group_segment_fixed_size: 0
    .kernarg_segment_align: 8
    .kernarg_segment_size: 76
    .language:       OpenCL C
    .language_version:
      - 2
      - 0
    .max_flat_workgroup_size: 80
    .name:           _ZL33flash_attn_stream_k_fixup_uniformILi80ELi32ELi2EEvPfPK15HIP_vector_typeIfLj2EEiiiiiiS1_IjLj3EES5_S5_
    .private_segment_fixed_size: 0
    .sgpr_count:     26
    .sgpr_spill_count: 0
    .symbol:         _ZL33flash_attn_stream_k_fixup_uniformILi80ELi32ELi2EEvPfPK15HIP_vector_typeIfLj2EEiiiiiiS1_IjLj3EES5_S5_.kd
    .uniform_work_group_size: 1
    .uses_dynamic_stack: false
    .vgpr_count:     16
    .vgpr_spill_count: 0
    .wavefront_size: 64
  - .agpr_count:     0
    .args:
      - .address_space:  global
        .offset:         0
        .size:           8
        .value_kind:     global_buffer
      - .address_space:  global
        .offset:         8
        .size:           8
        .value_kind:     global_buffer
      - .offset:         16
        .size:           4
        .value_kind:     by_value
      - .offset:         20
        .size:           4
        .value_kind:     by_value
      - .offset:         24
        .size:           4
        .value_kind:     by_value
      - .offset:         28
        .size:           4
        .value_kind:     by_value
      - .offset:         32
        .size:           12
        .value_kind:     by_value
      - .offset:         44
        .size:           12
        .value_kind:     by_value
      - .offset:         56
        .size:           12
        .value_kind:     by_value
      - .offset:         68
        .size:           12
        .value_kind:     by_value
      - .offset:         80
        .size:           4
        .value_kind:     hidden_block_count_x
      - .offset:         84
        .size:           4
        .value_kind:     hidden_block_count_y
      - .offset:         88
        .size:           4
        .value_kind:     hidden_block_count_z
      - .offset:         92
        .size:           2
        .value_kind:     hidden_group_size_x
      - .offset:         94
        .size:           2
        .value_kind:     hidden_group_size_y
      - .offset:         96
        .size:           2
        .value_kind:     hidden_group_size_z
      - .offset:         98
        .size:           2
        .value_kind:     hidden_remainder_x
      - .offset:         100
        .size:           2
        .value_kind:     hidden_remainder_y
      - .offset:         102
        .size:           2
        .value_kind:     hidden_remainder_z
      - .offset:         120
        .size:           8
        .value_kind:     hidden_global_offset_x
      - .offset:         128
        .size:           8
        .value_kind:     hidden_global_offset_y
      - .offset:         136
        .size:           8
        .value_kind:     hidden_global_offset_z
      - .offset:         144
        .size:           2
        .value_kind:     hidden_grid_dims
    .group_segment_fixed_size: 0
    .kernarg_segment_align: 8
    .kernarg_segment_size: 336
    .language:       OpenCL C
    .language_version:
      - 2
      - 0
    .max_flat_workgroup_size: 80
    .name:           _ZL33flash_attn_stream_k_fixup_generalILi80ELi32ELi2EEvPfPK15HIP_vector_typeIfLj2EEiiiiS1_IjLj3EES5_S5_S5_
    .private_segment_fixed_size: 0
    .sgpr_count:     38
    .sgpr_spill_count: 0
    .symbol:         _ZL33flash_attn_stream_k_fixup_generalILi80ELi32ELi2EEvPfPK15HIP_vector_typeIfLj2EEiiiiS1_IjLj3EES5_S5_S5_.kd
    .uniform_work_group_size: 1
    .uses_dynamic_stack: false
    .vgpr_count:     22
    .vgpr_spill_count: 0
    .wavefront_size: 64
  - .agpr_count:     0
    .args:
      - .address_space:  global
        .offset:         0
        .size:           8
        .value_kind:     global_buffer
      - .address_space:  global
        .offset:         8
        .size:           8
        .value_kind:     global_buffer
      - .address_space:  global
        .offset:         16
        .size:           8
        .value_kind:     global_buffer
      - .address_space:  global
        .offset:         24
        .size:           8
        .value_kind:     global_buffer
      - .address_space:  global
        .offset:         32
        .size:           8
        .value_kind:     global_buffer
      - .address_space:  global
        .offset:         40
        .size:           8
        .value_kind:     global_buffer
      - .address_space:  global
        .offset:         48
        .size:           8
        .value_kind:     global_buffer
      - .address_space:  global
        .offset:         56
        .size:           8
        .value_kind:     global_buffer
      - .offset:         64
        .size:           4
        .value_kind:     by_value
      - .offset:         68
        .size:           4
        .value_kind:     by_value
      - .offset:         72
        .size:           4
        .value_kind:     by_value
      - .offset:         76
        .size:           4
        .value_kind:     by_value
      - .offset:         80
        .size:           4
        .value_kind:     by_value
      - .offset:         84
        .size:           4
        .value_kind:     by_value
      - .offset:         88
        .size:           4
        .value_kind:     by_value
      - .offset:         92
        .size:           12
        .value_kind:     by_value
      - .offset:         104
        .size:           4
        .value_kind:     by_value
      - .offset:         108
        .size:           4
        .value_kind:     by_value
      - .offset:         112
        .size:           4
        .value_kind:     by_value
      - .offset:         116
        .size:           4
        .value_kind:     by_value
      - .offset:         120
        .size:           4
        .value_kind:     by_value
      - .offset:         124
        .size:           4
        .value_kind:     by_value
      - .offset:         128
        .size:           4
        .value_kind:     by_value
      - .offset:         132
        .size:           4
        .value_kind:     by_value
      - .offset:         136
        .size:           4
        .value_kind:     by_value
      - .offset:         140
        .size:           4
        .value_kind:     by_value
      - .offset:         144
        .size:           4
        .value_kind:     by_value
      - .offset:         152
        .size:           8
        .value_kind:     by_value
      - .offset:         160
        .size:           4
        .value_kind:     by_value
      - .offset:         164
        .size:           4
        .value_kind:     by_value
      - .offset:         168
        .size:           8
        .value_kind:     by_value
      - .offset:         176
        .size:           4
        .value_kind:     by_value
      - .offset:         180
        .size:           4
        .value_kind:     by_value
      - .offset:         184
        .size:           4
        .value_kind:     by_value
      - .offset:         188
        .size:           4
        .value_kind:     by_value
      - .offset:         192
        .size:           4
        .value_kind:     by_value
      - .offset:         200
        .size:           8
        .value_kind:     by_value
      - .offset:         208
        .size:           4
        .value_kind:     hidden_block_count_x
      - .offset:         212
        .size:           4
        .value_kind:     hidden_block_count_y
      - .offset:         216
        .size:           4
        .value_kind:     hidden_block_count_z
      - .offset:         220
        .size:           2
        .value_kind:     hidden_group_size_x
      - .offset:         222
        .size:           2
        .value_kind:     hidden_group_size_y
      - .offset:         224
        .size:           2
        .value_kind:     hidden_group_size_z
      - .offset:         226
        .size:           2
        .value_kind:     hidden_remainder_x
      - .offset:         228
        .size:           2
        .value_kind:     hidden_remainder_y
      - .offset:         230
        .size:           2
        .value_kind:     hidden_remainder_z
      - .offset:         248
        .size:           8
        .value_kind:     hidden_global_offset_x
      - .offset:         256
        .size:           8
        .value_kind:     hidden_global_offset_y
      - .offset:         264
        .size:           8
        .value_kind:     hidden_global_offset_z
      - .offset:         272
        .size:           2
        .value_kind:     hidden_grid_dims
    .group_segment_fixed_size: 10432
    .kernarg_segment_align: 8
    .kernarg_segment_size: 464
    .language:       OpenCL C
    .language_version:
      - 2
      - 0
    .max_flat_workgroup_size: 256
    .name:           _ZL15flash_attn_tileILi80ELi80ELi16ELi2ELb0EEvPKcS1_S1_S1_S1_PKiPfP15HIP_vector_typeIfLj2EEffffjfiS5_IjLj3EEiiiiiiiiiiiliiliiiiil
    .private_segment_fixed_size: 0
    .sgpr_count:     65
    .sgpr_spill_count: 0
    .symbol:         _ZL15flash_attn_tileILi80ELi80ELi16ELi2ELb0EEvPKcS1_S1_S1_S1_PKiPfP15HIP_vector_typeIfLj2EEffffjfiS5_IjLj3EEiiiiiiiiiiiliiliiiiil.kd
    .uniform_work_group_size: 1
    .uses_dynamic_stack: false
    .vgpr_count:     134
    .vgpr_spill_count: 0
    .wavefront_size: 64
  - .agpr_count:     0
    .args:
      - .address_space:  global
        .offset:         0
        .size:           8
        .value_kind:     global_buffer
      - .address_space:  global
        .offset:         8
        .size:           8
        .value_kind:     global_buffer
      - .offset:         16
        .size:           4
        .value_kind:     by_value
      - .offset:         20
        .size:           4
        .value_kind:     by_value
      - .offset:         24
        .size:           4
        .value_kind:     by_value
      - .offset:         28
        .size:           4
        .value_kind:     by_value
      - .offset:         32
        .size:           4
        .value_kind:     by_value
      - .offset:         36
        .size:           4
        .value_kind:     by_value
      - .offset:         40
        .size:           12
        .value_kind:     by_value
      - .offset:         52
        .size:           12
        .value_kind:     by_value
      - .offset:         64
        .size:           12
        .value_kind:     by_value
    .group_segment_fixed_size: 0
    .kernarg_segment_align: 8
    .kernarg_segment_size: 76
    .language:       OpenCL C
    .language_version:
      - 2
      - 0
    .max_flat_workgroup_size: 80
    .name:           _ZL33flash_attn_stream_k_fixup_uniformILi80ELi16ELi2EEvPfPK15HIP_vector_typeIfLj2EEiiiiiiS1_IjLj3EES5_S5_
    .private_segment_fixed_size: 0
    .sgpr_count:     26
    .sgpr_spill_count: 0
    .symbol:         _ZL33flash_attn_stream_k_fixup_uniformILi80ELi16ELi2EEvPfPK15HIP_vector_typeIfLj2EEiiiiiiS1_IjLj3EES5_S5_.kd
    .uniform_work_group_size: 1
    .uses_dynamic_stack: false
    .vgpr_count:     16
    .vgpr_spill_count: 0
    .wavefront_size: 64
  - .agpr_count:     0
    .args:
      - .address_space:  global
        .offset:         0
        .size:           8
        .value_kind:     global_buffer
      - .address_space:  global
        .offset:         8
        .size:           8
        .value_kind:     global_buffer
      - .offset:         16
        .size:           4
        .value_kind:     by_value
      - .offset:         20
        .size:           4
        .value_kind:     by_value
      - .offset:         24
        .size:           4
        .value_kind:     by_value
      - .offset:         28
        .size:           4
        .value_kind:     by_value
      - .offset:         32
        .size:           12
        .value_kind:     by_value
      - .offset:         44
        .size:           12
        .value_kind:     by_value
      - .offset:         56
        .size:           12
        .value_kind:     by_value
      - .offset:         68
        .size:           12
        .value_kind:     by_value
      - .offset:         80
        .size:           4
        .value_kind:     hidden_block_count_x
      - .offset:         84
        .size:           4
        .value_kind:     hidden_block_count_y
      - .offset:         88
        .size:           4
        .value_kind:     hidden_block_count_z
      - .offset:         92
        .size:           2
        .value_kind:     hidden_group_size_x
      - .offset:         94
        .size:           2
        .value_kind:     hidden_group_size_y
      - .offset:         96
        .size:           2
        .value_kind:     hidden_group_size_z
      - .offset:         98
        .size:           2
        .value_kind:     hidden_remainder_x
      - .offset:         100
        .size:           2
        .value_kind:     hidden_remainder_y
      - .offset:         102
        .size:           2
        .value_kind:     hidden_remainder_z
      - .offset:         120
        .size:           8
        .value_kind:     hidden_global_offset_x
      - .offset:         128
        .size:           8
        .value_kind:     hidden_global_offset_y
      - .offset:         136
        .size:           8
        .value_kind:     hidden_global_offset_z
      - .offset:         144
        .size:           2
        .value_kind:     hidden_grid_dims
    .group_segment_fixed_size: 0
    .kernarg_segment_align: 8
    .kernarg_segment_size: 336
    .language:       OpenCL C
    .language_version:
      - 2
      - 0
    .max_flat_workgroup_size: 80
    .name:           _ZL33flash_attn_stream_k_fixup_generalILi80ELi16ELi2EEvPfPK15HIP_vector_typeIfLj2EEiiiiS1_IjLj3EES5_S5_S5_
    .private_segment_fixed_size: 0
    .sgpr_count:     38
    .sgpr_spill_count: 0
    .symbol:         _ZL33flash_attn_stream_k_fixup_generalILi80ELi16ELi2EEvPfPK15HIP_vector_typeIfLj2EEiiiiS1_IjLj3EES5_S5_S5_.kd
    .uniform_work_group_size: 1
    .uses_dynamic_stack: false
    .vgpr_count:     22
    .vgpr_spill_count: 0
    .wavefront_size: 64
  - .agpr_count:     0
    .args:
      - .address_space:  global
        .offset:         0
        .size:           8
        .value_kind:     global_buffer
      - .address_space:  global
        .offset:         8
        .size:           8
        .value_kind:     global_buffer
      - .address_space:  global
        .offset:         16
        .size:           8
        .value_kind:     global_buffer
      - .address_space:  global
        .offset:         24
        .size:           8
        .value_kind:     global_buffer
      - .address_space:  global
        .offset:         32
        .size:           8
        .value_kind:     global_buffer
      - .address_space:  global
        .offset:         40
        .size:           8
        .value_kind:     global_buffer
      - .address_space:  global
        .offset:         48
        .size:           8
        .value_kind:     global_buffer
      - .address_space:  global
        .offset:         56
        .size:           8
        .value_kind:     global_buffer
      - .offset:         64
        .size:           4
        .value_kind:     by_value
      - .offset:         68
        .size:           4
        .value_kind:     by_value
      - .offset:         72
        .size:           4
        .value_kind:     by_value
      - .offset:         76
        .size:           4
        .value_kind:     by_value
      - .offset:         80
        .size:           4
        .value_kind:     by_value
      - .offset:         84
        .size:           4
        .value_kind:     by_value
      - .offset:         88
        .size:           4
        .value_kind:     by_value
      - .offset:         92
        .size:           12
        .value_kind:     by_value
      - .offset:         104
        .size:           4
        .value_kind:     by_value
      - .offset:         108
        .size:           4
        .value_kind:     by_value
      - .offset:         112
        .size:           4
        .value_kind:     by_value
      - .offset:         116
        .size:           4
        .value_kind:     by_value
      - .offset:         120
        .size:           4
        .value_kind:     by_value
      - .offset:         124
        .size:           4
        .value_kind:     by_value
      - .offset:         128
        .size:           4
        .value_kind:     by_value
      - .offset:         132
        .size:           4
        .value_kind:     by_value
      - .offset:         136
        .size:           4
        .value_kind:     by_value
      - .offset:         140
        .size:           4
        .value_kind:     by_value
      - .offset:         144
        .size:           4
        .value_kind:     by_value
      - .offset:         152
        .size:           8
        .value_kind:     by_value
      - .offset:         160
        .size:           4
        .value_kind:     by_value
      - .offset:         164
        .size:           4
        .value_kind:     by_value
      - .offset:         168
        .size:           8
        .value_kind:     by_value
      - .offset:         176
        .size:           4
        .value_kind:     by_value
      - .offset:         180
        .size:           4
        .value_kind:     by_value
      - .offset:         184
        .size:           4
        .value_kind:     by_value
      - .offset:         188
        .size:           4
        .value_kind:     by_value
      - .offset:         192
        .size:           4
        .value_kind:     by_value
      - .offset:         200
        .size:           8
        .value_kind:     by_value
      - .offset:         208
        .size:           4
        .value_kind:     hidden_block_count_x
      - .offset:         212
        .size:           4
        .value_kind:     hidden_block_count_y
      - .offset:         216
        .size:           4
        .value_kind:     hidden_block_count_z
      - .offset:         220
        .size:           2
        .value_kind:     hidden_group_size_x
      - .offset:         222
        .size:           2
        .value_kind:     hidden_group_size_y
      - .offset:         224
        .size:           2
        .value_kind:     hidden_group_size_z
      - .offset:         226
        .size:           2
        .value_kind:     hidden_remainder_x
      - .offset:         228
        .size:           2
        .value_kind:     hidden_remainder_y
      - .offset:         230
        .size:           2
        .value_kind:     hidden_remainder_z
      - .offset:         248
        .size:           8
        .value_kind:     hidden_global_offset_x
      - .offset:         256
        .size:           8
        .value_kind:     hidden_global_offset_y
      - .offset:         264
        .size:           8
        .value_kind:     hidden_global_offset_z
      - .offset:         272
        .size:           2
        .value_kind:     hidden_grid_dims
    .group_segment_fixed_size: 6848
    .kernarg_segment_align: 8
    .kernarg_segment_size: 464
    .language:       OpenCL C
    .language_version:
      - 2
      - 0
    .max_flat_workgroup_size: 256
    .name:           _ZL15flash_attn_tileILi80ELi80ELi8ELi2ELb0EEvPKcS1_S1_S1_S1_PKiPfP15HIP_vector_typeIfLj2EEffffjfiS5_IjLj3EEiiiiiiiiiiiliiliiiiil
    .private_segment_fixed_size: 0
    .sgpr_count:     56
    .sgpr_spill_count: 0
    .symbol:         _ZL15flash_attn_tileILi80ELi80ELi8ELi2ELb0EEvPKcS1_S1_S1_S1_PKiPfP15HIP_vector_typeIfLj2EEffffjfiS5_IjLj3EEiiiiiiiiiiiliiliiiiil.kd
    .uniform_work_group_size: 1
    .uses_dynamic_stack: false
    .vgpr_count:     102
    .vgpr_spill_count: 0
    .wavefront_size: 64
  - .agpr_count:     0
    .args:
      - .address_space:  global
        .offset:         0
        .size:           8
        .value_kind:     global_buffer
      - .address_space:  global
        .offset:         8
        .size:           8
        .value_kind:     global_buffer
      - .offset:         16
        .size:           4
        .value_kind:     by_value
      - .offset:         20
        .size:           4
        .value_kind:     by_value
      - .offset:         24
        .size:           4
        .value_kind:     by_value
      - .offset:         28
        .size:           4
        .value_kind:     by_value
      - .offset:         32
        .size:           4
        .value_kind:     by_value
      - .offset:         36
        .size:           4
        .value_kind:     by_value
      - .offset:         40
        .size:           12
        .value_kind:     by_value
      - .offset:         52
        .size:           12
        .value_kind:     by_value
      - .offset:         64
        .size:           12
        .value_kind:     by_value
    .group_segment_fixed_size: 0
    .kernarg_segment_align: 8
    .kernarg_segment_size: 76
    .language:       OpenCL C
    .language_version:
      - 2
      - 0
    .max_flat_workgroup_size: 80
    .name:           _ZL33flash_attn_stream_k_fixup_uniformILi80ELi8ELi2EEvPfPK15HIP_vector_typeIfLj2EEiiiiiiS1_IjLj3EES5_S5_
    .private_segment_fixed_size: 0
    .sgpr_count:     26
    .sgpr_spill_count: 0
    .symbol:         _ZL33flash_attn_stream_k_fixup_uniformILi80ELi8ELi2EEvPfPK15HIP_vector_typeIfLj2EEiiiiiiS1_IjLj3EES5_S5_.kd
    .uniform_work_group_size: 1
    .uses_dynamic_stack: false
    .vgpr_count:     16
    .vgpr_spill_count: 0
    .wavefront_size: 64
  - .agpr_count:     0
    .args:
      - .address_space:  global
        .offset:         0
        .size:           8
        .value_kind:     global_buffer
      - .address_space:  global
        .offset:         8
        .size:           8
        .value_kind:     global_buffer
      - .offset:         16
        .size:           4
        .value_kind:     by_value
      - .offset:         20
        .size:           4
        .value_kind:     by_value
      - .offset:         24
        .size:           4
        .value_kind:     by_value
      - .offset:         28
        .size:           4
        .value_kind:     by_value
      - .offset:         32
        .size:           12
        .value_kind:     by_value
      - .offset:         44
        .size:           12
        .value_kind:     by_value
      - .offset:         56
        .size:           12
        .value_kind:     by_value
      - .offset:         68
        .size:           12
        .value_kind:     by_value
      - .offset:         80
        .size:           4
        .value_kind:     hidden_block_count_x
      - .offset:         84
        .size:           4
        .value_kind:     hidden_block_count_y
      - .offset:         88
        .size:           4
        .value_kind:     hidden_block_count_z
      - .offset:         92
        .size:           2
        .value_kind:     hidden_group_size_x
      - .offset:         94
        .size:           2
        .value_kind:     hidden_group_size_y
      - .offset:         96
        .size:           2
        .value_kind:     hidden_group_size_z
      - .offset:         98
        .size:           2
        .value_kind:     hidden_remainder_x
      - .offset:         100
        .size:           2
        .value_kind:     hidden_remainder_y
      - .offset:         102
        .size:           2
        .value_kind:     hidden_remainder_z
      - .offset:         120
        .size:           8
        .value_kind:     hidden_global_offset_x
      - .offset:         128
        .size:           8
        .value_kind:     hidden_global_offset_y
      - .offset:         136
        .size:           8
        .value_kind:     hidden_global_offset_z
      - .offset:         144
        .size:           2
        .value_kind:     hidden_grid_dims
    .group_segment_fixed_size: 0
    .kernarg_segment_align: 8
    .kernarg_segment_size: 336
    .language:       OpenCL C
    .language_version:
      - 2
      - 0
    .max_flat_workgroup_size: 80
    .name:           _ZL33flash_attn_stream_k_fixup_generalILi80ELi8ELi2EEvPfPK15HIP_vector_typeIfLj2EEiiiiS1_IjLj3EES5_S5_S5_
    .private_segment_fixed_size: 0
    .sgpr_count:     38
    .sgpr_spill_count: 0
    .symbol:         _ZL33flash_attn_stream_k_fixup_generalILi80ELi8ELi2EEvPfPK15HIP_vector_typeIfLj2EEiiiiS1_IjLj3EES5_S5_S5_.kd
    .uniform_work_group_size: 1
    .uses_dynamic_stack: false
    .vgpr_count:     22
    .vgpr_spill_count: 0
    .wavefront_size: 64
  - .agpr_count:     0
    .args:
      - .address_space:  global
        .offset:         0
        .size:           8
        .value_kind:     global_buffer
      - .address_space:  global
        .offset:         8
        .size:           8
        .value_kind:     global_buffer
      - .address_space:  global
        .offset:         16
        .size:           8
        .value_kind:     global_buffer
      - .address_space:  global
        .offset:         24
        .size:           8
        .value_kind:     global_buffer
      - .address_space:  global
        .offset:         32
        .size:           8
        .value_kind:     global_buffer
      - .address_space:  global
        .offset:         40
        .size:           8
        .value_kind:     global_buffer
      - .address_space:  global
        .offset:         48
        .size:           8
        .value_kind:     global_buffer
      - .address_space:  global
        .offset:         56
        .size:           8
        .value_kind:     global_buffer
      - .offset:         64
        .size:           4
        .value_kind:     by_value
      - .offset:         68
        .size:           4
        .value_kind:     by_value
      - .offset:         72
        .size:           4
        .value_kind:     by_value
      - .offset:         76
        .size:           4
        .value_kind:     by_value
      - .offset:         80
        .size:           4
        .value_kind:     by_value
      - .offset:         84
        .size:           4
        .value_kind:     by_value
      - .offset:         88
        .size:           4
        .value_kind:     by_value
      - .offset:         92
        .size:           12
        .value_kind:     by_value
      - .offset:         104
        .size:           4
        .value_kind:     by_value
      - .offset:         108
        .size:           4
        .value_kind:     by_value
      - .offset:         112
        .size:           4
        .value_kind:     by_value
      - .offset:         116
        .size:           4
        .value_kind:     by_value
      - .offset:         120
        .size:           4
        .value_kind:     by_value
      - .offset:         124
        .size:           4
        .value_kind:     by_value
      - .offset:         128
        .size:           4
        .value_kind:     by_value
      - .offset:         132
        .size:           4
        .value_kind:     by_value
      - .offset:         136
        .size:           4
        .value_kind:     by_value
      - .offset:         140
        .size:           4
        .value_kind:     by_value
      - .offset:         144
        .size:           4
        .value_kind:     by_value
      - .offset:         152
        .size:           8
        .value_kind:     by_value
      - .offset:         160
        .size:           4
        .value_kind:     by_value
      - .offset:         164
        .size:           4
        .value_kind:     by_value
      - .offset:         168
        .size:           8
        .value_kind:     by_value
      - .offset:         176
        .size:           4
        .value_kind:     by_value
      - .offset:         180
        .size:           4
        .value_kind:     by_value
      - .offset:         184
        .size:           4
        .value_kind:     by_value
      - .offset:         188
        .size:           4
        .value_kind:     by_value
      - .offset:         192
        .size:           4
        .value_kind:     by_value
      - .offset:         200
        .size:           8
        .value_kind:     by_value
      - .offset:         208
        .size:           4
        .value_kind:     hidden_block_count_x
      - .offset:         212
        .size:           4
        .value_kind:     hidden_block_count_y
      - .offset:         216
        .size:           4
        .value_kind:     hidden_block_count_z
      - .offset:         220
        .size:           2
        .value_kind:     hidden_group_size_x
      - .offset:         222
        .size:           2
        .value_kind:     hidden_group_size_y
      - .offset:         224
        .size:           2
        .value_kind:     hidden_group_size_z
      - .offset:         226
        .size:           2
        .value_kind:     hidden_remainder_x
      - .offset:         228
        .size:           2
        .value_kind:     hidden_remainder_y
      - .offset:         230
        .size:           2
        .value_kind:     hidden_remainder_z
      - .offset:         248
        .size:           8
        .value_kind:     hidden_global_offset_x
      - .offset:         256
        .size:           8
        .value_kind:     hidden_global_offset_y
      - .offset:         264
        .size:           8
        .value_kind:     hidden_global_offset_z
      - .offset:         272
        .size:           2
        .value_kind:     hidden_grid_dims
    .group_segment_fixed_size: 5056
    .kernarg_segment_align: 8
    .kernarg_segment_size: 464
    .language:       OpenCL C
    .language_version:
      - 2
      - 0
    .max_flat_workgroup_size: 256
    .name:           _ZL15flash_attn_tileILi80ELi80ELi4ELi2ELb0EEvPKcS1_S1_S1_S1_PKiPfP15HIP_vector_typeIfLj2EEffffjfiS5_IjLj3EEiiiiiiiiiiiliiliiiiil
    .private_segment_fixed_size: 0
    .sgpr_count:     51
    .sgpr_spill_count: 0
    .symbol:         _ZL15flash_attn_tileILi80ELi80ELi4ELi2ELb0EEvPKcS1_S1_S1_S1_PKiPfP15HIP_vector_typeIfLj2EEffffjfiS5_IjLj3EEiiiiiiiiiiiliiliiiiil.kd
    .uniform_work_group_size: 1
    .uses_dynamic_stack: false
    .vgpr_count:     88
    .vgpr_spill_count: 0
    .wavefront_size: 64
  - .agpr_count:     0
    .args:
      - .address_space:  global
        .offset:         0
        .size:           8
        .value_kind:     global_buffer
      - .address_space:  global
        .offset:         8
        .size:           8
        .value_kind:     global_buffer
      - .offset:         16
        .size:           4
        .value_kind:     by_value
      - .offset:         20
        .size:           4
        .value_kind:     by_value
      - .offset:         24
        .size:           4
        .value_kind:     by_value
      - .offset:         28
        .size:           4
        .value_kind:     by_value
      - .offset:         32
        .size:           4
        .value_kind:     by_value
      - .offset:         36
        .size:           4
        .value_kind:     by_value
      - .offset:         40
        .size:           12
        .value_kind:     by_value
      - .offset:         52
        .size:           12
        .value_kind:     by_value
      - .offset:         64
        .size:           12
        .value_kind:     by_value
    .group_segment_fixed_size: 0
    .kernarg_segment_align: 8
    .kernarg_segment_size: 76
    .language:       OpenCL C
    .language_version:
      - 2
      - 0
    .max_flat_workgroup_size: 80
    .name:           _ZL33flash_attn_stream_k_fixup_uniformILi80ELi4ELi2EEvPfPK15HIP_vector_typeIfLj2EEiiiiiiS1_IjLj3EES5_S5_
    .private_segment_fixed_size: 0
    .sgpr_count:     26
    .sgpr_spill_count: 0
    .symbol:         _ZL33flash_attn_stream_k_fixup_uniformILi80ELi4ELi2EEvPfPK15HIP_vector_typeIfLj2EEiiiiiiS1_IjLj3EES5_S5_.kd
    .uniform_work_group_size: 1
    .uses_dynamic_stack: false
    .vgpr_count:     16
    .vgpr_spill_count: 0
    .wavefront_size: 64
  - .agpr_count:     0
    .args:
      - .address_space:  global
        .offset:         0
        .size:           8
        .value_kind:     global_buffer
      - .address_space:  global
        .offset:         8
        .size:           8
        .value_kind:     global_buffer
      - .offset:         16
        .size:           4
        .value_kind:     by_value
      - .offset:         20
        .size:           4
        .value_kind:     by_value
      - .offset:         24
        .size:           4
        .value_kind:     by_value
      - .offset:         28
        .size:           4
        .value_kind:     by_value
      - .offset:         32
        .size:           12
        .value_kind:     by_value
      - .offset:         44
        .size:           12
        .value_kind:     by_value
      - .offset:         56
        .size:           12
        .value_kind:     by_value
      - .offset:         68
        .size:           12
        .value_kind:     by_value
      - .offset:         80
        .size:           4
        .value_kind:     hidden_block_count_x
      - .offset:         84
        .size:           4
        .value_kind:     hidden_block_count_y
      - .offset:         88
        .size:           4
        .value_kind:     hidden_block_count_z
      - .offset:         92
        .size:           2
        .value_kind:     hidden_group_size_x
      - .offset:         94
        .size:           2
        .value_kind:     hidden_group_size_y
      - .offset:         96
        .size:           2
        .value_kind:     hidden_group_size_z
      - .offset:         98
        .size:           2
        .value_kind:     hidden_remainder_x
      - .offset:         100
        .size:           2
        .value_kind:     hidden_remainder_y
      - .offset:         102
        .size:           2
        .value_kind:     hidden_remainder_z
      - .offset:         120
        .size:           8
        .value_kind:     hidden_global_offset_x
      - .offset:         128
        .size:           8
        .value_kind:     hidden_global_offset_y
      - .offset:         136
        .size:           8
        .value_kind:     hidden_global_offset_z
      - .offset:         144
        .size:           2
        .value_kind:     hidden_grid_dims
    .group_segment_fixed_size: 0
    .kernarg_segment_align: 8
    .kernarg_segment_size: 336
    .language:       OpenCL C
    .language_version:
      - 2
      - 0
    .max_flat_workgroup_size: 80
    .name:           _ZL33flash_attn_stream_k_fixup_generalILi80ELi4ELi2EEvPfPK15HIP_vector_typeIfLj2EEiiiiS1_IjLj3EES5_S5_S5_
    .private_segment_fixed_size: 0
    .sgpr_count:     38
    .sgpr_spill_count: 0
    .symbol:         _ZL33flash_attn_stream_k_fixup_generalILi80ELi4ELi2EEvPfPK15HIP_vector_typeIfLj2EEiiiiS1_IjLj3EES5_S5_S5_.kd
    .uniform_work_group_size: 1
    .uses_dynamic_stack: false
    .vgpr_count:     22
    .vgpr_spill_count: 0
    .wavefront_size: 64
  - .agpr_count:     0
    .args:
      - .address_space:  global
        .offset:         0
        .size:           8
        .value_kind:     global_buffer
      - .address_space:  global
        .offset:         8
        .size:           8
        .value_kind:     global_buffer
      - .address_space:  global
        .offset:         16
        .size:           8
        .value_kind:     global_buffer
      - .address_space:  global
        .offset:         24
        .size:           8
        .value_kind:     global_buffer
      - .address_space:  global
        .offset:         32
        .size:           8
        .value_kind:     global_buffer
      - .address_space:  global
        .offset:         40
        .size:           8
        .value_kind:     global_buffer
      - .address_space:  global
        .offset:         48
        .size:           8
        .value_kind:     global_buffer
      - .address_space:  global
        .offset:         56
        .size:           8
        .value_kind:     global_buffer
      - .offset:         64
        .size:           4
        .value_kind:     by_value
      - .offset:         68
        .size:           4
        .value_kind:     by_value
      - .offset:         72
        .size:           4
        .value_kind:     by_value
      - .offset:         76
        .size:           4
        .value_kind:     by_value
      - .offset:         80
        .size:           4
        .value_kind:     by_value
      - .offset:         84
        .size:           4
        .value_kind:     by_value
      - .offset:         88
        .size:           4
        .value_kind:     by_value
      - .offset:         92
        .size:           12
        .value_kind:     by_value
      - .offset:         104
        .size:           4
        .value_kind:     by_value
      - .offset:         108
        .size:           4
        .value_kind:     by_value
      - .offset:         112
        .size:           4
        .value_kind:     by_value
      - .offset:         116
        .size:           4
        .value_kind:     by_value
      - .offset:         120
        .size:           4
        .value_kind:     by_value
      - .offset:         124
        .size:           4
        .value_kind:     by_value
      - .offset:         128
        .size:           4
        .value_kind:     by_value
      - .offset:         132
        .size:           4
        .value_kind:     by_value
      - .offset:         136
        .size:           4
        .value_kind:     by_value
      - .offset:         140
        .size:           4
        .value_kind:     by_value
      - .offset:         144
        .size:           4
        .value_kind:     by_value
      - .offset:         152
        .size:           8
        .value_kind:     by_value
      - .offset:         160
        .size:           4
        .value_kind:     by_value
      - .offset:         164
        .size:           4
        .value_kind:     by_value
      - .offset:         168
        .size:           8
        .value_kind:     by_value
      - .offset:         176
        .size:           4
        .value_kind:     by_value
      - .offset:         180
        .size:           4
        .value_kind:     by_value
      - .offset:         184
        .size:           4
        .value_kind:     by_value
      - .offset:         188
        .size:           4
        .value_kind:     by_value
      - .offset:         192
        .size:           4
        .value_kind:     by_value
      - .offset:         200
        .size:           8
        .value_kind:     by_value
      - .offset:         208
        .size:           4
        .value_kind:     hidden_block_count_x
      - .offset:         212
        .size:           4
        .value_kind:     hidden_block_count_y
      - .offset:         216
        .size:           4
        .value_kind:     hidden_block_count_z
      - .offset:         220
        .size:           2
        .value_kind:     hidden_group_size_x
      - .offset:         222
        .size:           2
        .value_kind:     hidden_group_size_y
      - .offset:         224
        .size:           2
        .value_kind:     hidden_group_size_z
      - .offset:         226
        .size:           2
        .value_kind:     hidden_remainder_x
      - .offset:         228
        .size:           2
        .value_kind:     hidden_remainder_y
      - .offset:         230
        .size:           2
        .value_kind:     hidden_remainder_z
      - .offset:         248
        .size:           8
        .value_kind:     hidden_global_offset_x
      - .offset:         256
        .size:           8
        .value_kind:     hidden_global_offset_y
      - .offset:         264
        .size:           8
        .value_kind:     hidden_global_offset_z
      - .offset:         272
        .size:           2
        .value_kind:     hidden_grid_dims
    .group_segment_fixed_size: 4160
    .kernarg_segment_align: 8
    .kernarg_segment_size: 464
    .language:       OpenCL C
    .language_version:
      - 2
      - 0
    .max_flat_workgroup_size: 128
    .name:           _ZL15flash_attn_tileILi80ELi80ELi2ELi2ELb0EEvPKcS1_S1_S1_S1_PKiPfP15HIP_vector_typeIfLj2EEffffjfiS5_IjLj3EEiiiiiiiiiiiliiliiiiil
    .private_segment_fixed_size: 0
    .sgpr_count:     50
    .sgpr_spill_count: 0
    .symbol:         _ZL15flash_attn_tileILi80ELi80ELi2ELi2ELb0EEvPKcS1_S1_S1_S1_PKiPfP15HIP_vector_typeIfLj2EEffffjfiS5_IjLj3EEiiiiiiiiiiiliiliiiiil.kd
    .uniform_work_group_size: 1
    .uses_dynamic_stack: false
    .vgpr_count:     89
    .vgpr_spill_count: 0
    .wavefront_size: 64
  - .agpr_count:     0
    .args:
      - .address_space:  global
        .offset:         0
        .size:           8
        .value_kind:     global_buffer
      - .address_space:  global
        .offset:         8
        .size:           8
        .value_kind:     global_buffer
      - .offset:         16
        .size:           4
        .value_kind:     by_value
      - .offset:         20
        .size:           4
        .value_kind:     by_value
      - .offset:         24
        .size:           4
        .value_kind:     by_value
      - .offset:         28
        .size:           4
        .value_kind:     by_value
      - .offset:         32
        .size:           4
        .value_kind:     by_value
      - .offset:         36
        .size:           4
        .value_kind:     by_value
      - .offset:         40
        .size:           12
        .value_kind:     by_value
      - .offset:         52
        .size:           12
        .value_kind:     by_value
      - .offset:         64
        .size:           12
        .value_kind:     by_value
    .group_segment_fixed_size: 0
    .kernarg_segment_align: 8
    .kernarg_segment_size: 76
    .language:       OpenCL C
    .language_version:
      - 2
      - 0
    .max_flat_workgroup_size: 80
    .name:           _ZL33flash_attn_stream_k_fixup_uniformILi80ELi2ELi2EEvPfPK15HIP_vector_typeIfLj2EEiiiiiiS1_IjLj3EES5_S5_
    .private_segment_fixed_size: 0
    .sgpr_count:     26
    .sgpr_spill_count: 0
    .symbol:         _ZL33flash_attn_stream_k_fixup_uniformILi80ELi2ELi2EEvPfPK15HIP_vector_typeIfLj2EEiiiiiiS1_IjLj3EES5_S5_.kd
    .uniform_work_group_size: 1
    .uses_dynamic_stack: false
    .vgpr_count:     16
    .vgpr_spill_count: 0
    .wavefront_size: 64
  - .agpr_count:     0
    .args:
      - .address_space:  global
        .offset:         0
        .size:           8
        .value_kind:     global_buffer
      - .address_space:  global
        .offset:         8
        .size:           8
        .value_kind:     global_buffer
      - .offset:         16
        .size:           4
        .value_kind:     by_value
      - .offset:         20
        .size:           4
        .value_kind:     by_value
      - .offset:         24
        .size:           4
        .value_kind:     by_value
      - .offset:         28
        .size:           4
        .value_kind:     by_value
      - .offset:         32
        .size:           12
        .value_kind:     by_value
      - .offset:         44
        .size:           12
        .value_kind:     by_value
      - .offset:         56
        .size:           12
        .value_kind:     by_value
      - .offset:         68
        .size:           12
        .value_kind:     by_value
      - .offset:         80
        .size:           4
        .value_kind:     hidden_block_count_x
      - .offset:         84
        .size:           4
        .value_kind:     hidden_block_count_y
      - .offset:         88
        .size:           4
        .value_kind:     hidden_block_count_z
      - .offset:         92
        .size:           2
        .value_kind:     hidden_group_size_x
      - .offset:         94
        .size:           2
        .value_kind:     hidden_group_size_y
      - .offset:         96
        .size:           2
        .value_kind:     hidden_group_size_z
      - .offset:         98
        .size:           2
        .value_kind:     hidden_remainder_x
      - .offset:         100
        .size:           2
        .value_kind:     hidden_remainder_y
      - .offset:         102
        .size:           2
        .value_kind:     hidden_remainder_z
      - .offset:         120
        .size:           8
        .value_kind:     hidden_global_offset_x
      - .offset:         128
        .size:           8
        .value_kind:     hidden_global_offset_y
      - .offset:         136
        .size:           8
        .value_kind:     hidden_global_offset_z
      - .offset:         144
        .size:           2
        .value_kind:     hidden_grid_dims
    .group_segment_fixed_size: 0
    .kernarg_segment_align: 8
    .kernarg_segment_size: 336
    .language:       OpenCL C
    .language_version:
      - 2
      - 0
    .max_flat_workgroup_size: 80
    .name:           _ZL33flash_attn_stream_k_fixup_generalILi80ELi2ELi2EEvPfPK15HIP_vector_typeIfLj2EEiiiiS1_IjLj3EES5_S5_S5_
    .private_segment_fixed_size: 0
    .sgpr_count:     38
    .sgpr_spill_count: 0
    .symbol:         _ZL33flash_attn_stream_k_fixup_generalILi80ELi2ELi2EEvPfPK15HIP_vector_typeIfLj2EEiiiiS1_IjLj3EES5_S5_S5_.kd
    .uniform_work_group_size: 1
    .uses_dynamic_stack: false
    .vgpr_count:     22
    .vgpr_spill_count: 0
    .wavefront_size: 64
  - .agpr_count:     0
    .args:
      - .address_space:  global
        .offset:         0
        .size:           8
        .value_kind:     global_buffer
      - .address_space:  global
        .offset:         8
        .size:           8
        .value_kind:     global_buffer
      - .address_space:  global
        .offset:         16
        .size:           8
        .value_kind:     global_buffer
      - .address_space:  global
        .offset:         24
        .size:           8
        .value_kind:     global_buffer
      - .address_space:  global
        .offset:         32
        .size:           8
        .value_kind:     global_buffer
      - .address_space:  global
        .offset:         40
        .size:           8
        .value_kind:     global_buffer
      - .address_space:  global
        .offset:         48
        .size:           8
        .value_kind:     global_buffer
      - .address_space:  global
        .offset:         56
        .size:           8
        .value_kind:     global_buffer
      - .offset:         64
        .size:           4
        .value_kind:     by_value
      - .offset:         68
        .size:           4
        .value_kind:     by_value
      - .offset:         72
        .size:           4
        .value_kind:     by_value
      - .offset:         76
        .size:           4
        .value_kind:     by_value
      - .offset:         80
        .size:           4
        .value_kind:     by_value
      - .offset:         84
        .size:           4
        .value_kind:     by_value
      - .offset:         88
        .size:           4
        .value_kind:     by_value
      - .offset:         92
        .size:           12
        .value_kind:     by_value
      - .offset:         104
        .size:           4
        .value_kind:     by_value
      - .offset:         108
        .size:           4
        .value_kind:     by_value
      - .offset:         112
        .size:           4
        .value_kind:     by_value
      - .offset:         116
        .size:           4
        .value_kind:     by_value
      - .offset:         120
        .size:           4
        .value_kind:     by_value
      - .offset:         124
        .size:           4
        .value_kind:     by_value
      - .offset:         128
        .size:           4
        .value_kind:     by_value
      - .offset:         132
        .size:           4
        .value_kind:     by_value
      - .offset:         136
        .size:           4
        .value_kind:     by_value
      - .offset:         140
        .size:           4
        .value_kind:     by_value
      - .offset:         144
        .size:           4
        .value_kind:     by_value
      - .offset:         152
        .size:           8
        .value_kind:     by_value
      - .offset:         160
        .size:           4
        .value_kind:     by_value
      - .offset:         164
        .size:           4
        .value_kind:     by_value
      - .offset:         168
        .size:           8
        .value_kind:     by_value
      - .offset:         176
        .size:           4
        .value_kind:     by_value
      - .offset:         180
        .size:           4
        .value_kind:     by_value
      - .offset:         184
        .size:           4
        .value_kind:     by_value
      - .offset:         188
        .size:           4
        .value_kind:     by_value
      - .offset:         192
        .size:           4
        .value_kind:     by_value
      - .offset:         200
        .size:           8
        .value_kind:     by_value
      - .offset:         208
        .size:           4
        .value_kind:     hidden_block_count_x
      - .offset:         212
        .size:           4
        .value_kind:     hidden_block_count_y
      - .offset:         216
        .size:           4
        .value_kind:     hidden_block_count_z
      - .offset:         220
        .size:           2
        .value_kind:     hidden_group_size_x
      - .offset:         222
        .size:           2
        .value_kind:     hidden_group_size_y
      - .offset:         224
        .size:           2
        .value_kind:     hidden_group_size_z
      - .offset:         226
        .size:           2
        .value_kind:     hidden_remainder_x
      - .offset:         228
        .size:           2
        .value_kind:     hidden_remainder_y
      - .offset:         230
        .size:           2
        .value_kind:     hidden_remainder_z
      - .offset:         248
        .size:           8
        .value_kind:     hidden_global_offset_x
      - .offset:         256
        .size:           8
        .value_kind:     hidden_global_offset_y
      - .offset:         264
        .size:           8
        .value_kind:     hidden_global_offset_z
      - .offset:         272
        .size:           2
        .value_kind:     hidden_grid_dims
    .group_segment_fixed_size: 3712
    .kernarg_segment_align: 8
    .kernarg_segment_size: 464
    .language:       OpenCL C
    .language_version:
      - 2
      - 0
    .max_flat_workgroup_size: 64
    .name:           _ZL15flash_attn_tileILi80ELi80ELi1ELi2ELb0EEvPKcS1_S1_S1_S1_PKiPfP15HIP_vector_typeIfLj2EEffffjfiS5_IjLj3EEiiiiiiiiiiiliiliiiiil
    .private_segment_fixed_size: 0
    .sgpr_count:     50
    .sgpr_spill_count: 0
    .symbol:         _ZL15flash_attn_tileILi80ELi80ELi1ELi2ELb0EEvPKcS1_S1_S1_S1_PKiPfP15HIP_vector_typeIfLj2EEffffjfiS5_IjLj3EEiiiiiiiiiiiliiliiiiil.kd
    .uniform_work_group_size: 1
    .uses_dynamic_stack: false
    .vgpr_count:     100
    .vgpr_spill_count: 0
    .wavefront_size: 64
  - .agpr_count:     0
    .args:
      - .address_space:  global
        .offset:         0
        .size:           8
        .value_kind:     global_buffer
      - .address_space:  global
        .offset:         8
        .size:           8
        .value_kind:     global_buffer
      - .offset:         16
        .size:           4
        .value_kind:     by_value
      - .offset:         20
        .size:           4
        .value_kind:     by_value
      - .offset:         24
        .size:           4
        .value_kind:     by_value
      - .offset:         28
        .size:           4
        .value_kind:     by_value
      - .offset:         32
        .size:           4
        .value_kind:     by_value
      - .offset:         36
        .size:           4
        .value_kind:     by_value
      - .offset:         40
        .size:           12
        .value_kind:     by_value
      - .offset:         52
        .size:           12
        .value_kind:     by_value
      - .offset:         64
        .size:           12
        .value_kind:     by_value
    .group_segment_fixed_size: 0
    .kernarg_segment_align: 8
    .kernarg_segment_size: 76
    .language:       OpenCL C
    .language_version:
      - 2
      - 0
    .max_flat_workgroup_size: 80
    .name:           _ZL33flash_attn_stream_k_fixup_uniformILi80ELi1ELi2EEvPfPK15HIP_vector_typeIfLj2EEiiiiiiS1_IjLj3EES5_S5_
    .private_segment_fixed_size: 0
    .sgpr_count:     26
    .sgpr_spill_count: 0
    .symbol:         _ZL33flash_attn_stream_k_fixup_uniformILi80ELi1ELi2EEvPfPK15HIP_vector_typeIfLj2EEiiiiiiS1_IjLj3EES5_S5_.kd
    .uniform_work_group_size: 1
    .uses_dynamic_stack: false
    .vgpr_count:     16
    .vgpr_spill_count: 0
    .wavefront_size: 64
  - .agpr_count:     0
    .args:
      - .address_space:  global
        .offset:         0
        .size:           8
        .value_kind:     global_buffer
      - .address_space:  global
        .offset:         8
        .size:           8
        .value_kind:     global_buffer
      - .offset:         16
        .size:           4
        .value_kind:     by_value
      - .offset:         20
        .size:           4
        .value_kind:     by_value
      - .offset:         24
        .size:           4
        .value_kind:     by_value
      - .offset:         28
        .size:           4
        .value_kind:     by_value
      - .offset:         32
        .size:           12
        .value_kind:     by_value
      - .offset:         44
        .size:           12
        .value_kind:     by_value
      - .offset:         56
        .size:           12
        .value_kind:     by_value
      - .offset:         68
        .size:           12
        .value_kind:     by_value
      - .offset:         80
        .size:           4
        .value_kind:     hidden_block_count_x
      - .offset:         84
        .size:           4
        .value_kind:     hidden_block_count_y
      - .offset:         88
        .size:           4
        .value_kind:     hidden_block_count_z
      - .offset:         92
        .size:           2
        .value_kind:     hidden_group_size_x
      - .offset:         94
        .size:           2
        .value_kind:     hidden_group_size_y
      - .offset:         96
        .size:           2
        .value_kind:     hidden_group_size_z
      - .offset:         98
        .size:           2
        .value_kind:     hidden_remainder_x
      - .offset:         100
        .size:           2
        .value_kind:     hidden_remainder_y
      - .offset:         102
        .size:           2
        .value_kind:     hidden_remainder_z
      - .offset:         120
        .size:           8
        .value_kind:     hidden_global_offset_x
      - .offset:         128
        .size:           8
        .value_kind:     hidden_global_offset_y
      - .offset:         136
        .size:           8
        .value_kind:     hidden_global_offset_z
      - .offset:         144
        .size:           2
        .value_kind:     hidden_grid_dims
    .group_segment_fixed_size: 0
    .kernarg_segment_align: 8
    .kernarg_segment_size: 336
    .language:       OpenCL C
    .language_version:
      - 2
      - 0
    .max_flat_workgroup_size: 80
    .name:           _ZL33flash_attn_stream_k_fixup_generalILi80ELi1ELi2EEvPfPK15HIP_vector_typeIfLj2EEiiiiS1_IjLj3EES5_S5_S5_
    .private_segment_fixed_size: 0
    .sgpr_count:     38
    .sgpr_spill_count: 0
    .symbol:         _ZL33flash_attn_stream_k_fixup_generalILi80ELi1ELi2EEvPfPK15HIP_vector_typeIfLj2EEiiiiS1_IjLj3EES5_S5_S5_.kd
    .uniform_work_group_size: 1
    .uses_dynamic_stack: false
    .vgpr_count:     22
    .vgpr_spill_count: 0
    .wavefront_size: 64
  - .agpr_count:     0
    .args:
      - .address_space:  global
        .offset:         0
        .size:           8
        .value_kind:     global_buffer
      - .address_space:  global
        .offset:         8
        .size:           8
        .value_kind:     global_buffer
      - .address_space:  global
        .offset:         16
        .size:           8
        .value_kind:     global_buffer
      - .address_space:  global
        .offset:         24
        .size:           8
        .value_kind:     global_buffer
      - .address_space:  global
        .offset:         32
        .size:           8
        .value_kind:     global_buffer
      - .address_space:  global
        .offset:         40
        .size:           8
        .value_kind:     global_buffer
      - .address_space:  global
        .offset:         48
        .size:           8
        .value_kind:     global_buffer
      - .address_space:  global
        .offset:         56
        .size:           8
        .value_kind:     global_buffer
      - .offset:         64
        .size:           4
        .value_kind:     by_value
      - .offset:         68
        .size:           4
        .value_kind:     by_value
      - .offset:         72
        .size:           4
        .value_kind:     by_value
      - .offset:         76
        .size:           4
        .value_kind:     by_value
      - .offset:         80
        .size:           4
        .value_kind:     by_value
      - .offset:         84
        .size:           4
        .value_kind:     by_value
      - .offset:         88
        .size:           4
        .value_kind:     by_value
      - .offset:         92
        .size:           12
        .value_kind:     by_value
      - .offset:         104
        .size:           4
        .value_kind:     by_value
      - .offset:         108
        .size:           4
        .value_kind:     by_value
      - .offset:         112
        .size:           4
        .value_kind:     by_value
      - .offset:         116
        .size:           4
        .value_kind:     by_value
      - .offset:         120
        .size:           4
        .value_kind:     by_value
      - .offset:         124
        .size:           4
        .value_kind:     by_value
      - .offset:         128
        .size:           4
        .value_kind:     by_value
      - .offset:         132
        .size:           4
        .value_kind:     by_value
      - .offset:         136
        .size:           4
        .value_kind:     by_value
      - .offset:         140
        .size:           4
        .value_kind:     by_value
      - .offset:         144
        .size:           4
        .value_kind:     by_value
      - .offset:         152
        .size:           8
        .value_kind:     by_value
      - .offset:         160
        .size:           4
        .value_kind:     by_value
      - .offset:         164
        .size:           4
        .value_kind:     by_value
      - .offset:         168
        .size:           8
        .value_kind:     by_value
      - .offset:         176
        .size:           4
        .value_kind:     by_value
      - .offset:         180
        .size:           4
        .value_kind:     by_value
      - .offset:         184
        .size:           4
        .value_kind:     by_value
      - .offset:         188
        .size:           4
        .value_kind:     by_value
      - .offset:         192
        .size:           4
        .value_kind:     by_value
      - .offset:         200
        .size:           8
        .value_kind:     by_value
      - .offset:         208
        .size:           4
        .value_kind:     hidden_block_count_x
      - .offset:         212
        .size:           4
        .value_kind:     hidden_block_count_y
      - .offset:         216
        .size:           4
        .value_kind:     hidden_block_count_z
      - .offset:         220
        .size:           2
        .value_kind:     hidden_group_size_x
      - .offset:         222
        .size:           2
        .value_kind:     hidden_group_size_y
      - .offset:         224
        .size:           2
        .value_kind:     hidden_group_size_z
      - .offset:         226
        .size:           2
        .value_kind:     hidden_remainder_x
      - .offset:         228
        .size:           2
        .value_kind:     hidden_remainder_y
      - .offset:         230
        .size:           2
        .value_kind:     hidden_remainder_z
      - .offset:         248
        .size:           8
        .value_kind:     hidden_global_offset_x
      - .offset:         256
        .size:           8
        .value_kind:     hidden_global_offset_y
      - .offset:         264
        .size:           8
        .value_kind:     hidden_global_offset_z
      - .offset:         272
        .size:           2
        .value_kind:     hidden_grid_dims
    .group_segment_fixed_size: 21696
    .kernarg_segment_align: 8
    .kernarg_segment_size: 464
    .language:       OpenCL C
    .language_version:
      - 2
      - 0
    .max_flat_workgroup_size: 256
    .name:           _ZL15flash_attn_tileILi80ELi80ELi64ELi1ELb0EEvPKcS1_S1_S1_S1_PKiPfP15HIP_vector_typeIfLj2EEffffjfiS5_IjLj3EEiiiiiiiiiiiliiliiiiil
    .private_segment_fixed_size: 32
    .sgpr_count:     89
    .sgpr_spill_count: 0
    .symbol:         _ZL15flash_attn_tileILi80ELi80ELi64ELi1ELb0EEvPKcS1_S1_S1_S1_PKiPfP15HIP_vector_typeIfLj2EEffffjfiS5_IjLj3EEiiiiiiiiiiiliiliiiiil.kd
    .uniform_work_group_size: 1
    .uses_dynamic_stack: false
    .vgpr_count:     208
    .vgpr_spill_count: 0
    .wavefront_size: 64
  - .agpr_count:     0
    .args:
      - .actual_access:  read_only
        .address_space:  global
        .offset:         0
        .size:           8
        .value_kind:     global_buffer
      - .actual_access:  write_only
        .address_space:  global
        .offset:         8
        .size:           8
        .value_kind:     global_buffer
      - .offset:         16
        .size:           4
        .value_kind:     by_value
      - .offset:         20
        .size:           4
        .value_kind:     by_value
      - .offset:         24
        .size:           4
        .value_kind:     by_value
      - .offset:         32
        .size:           4
        .value_kind:     hidden_block_count_x
      - .offset:         36
        .size:           4
        .value_kind:     hidden_block_count_y
      - .offset:         40
        .size:           4
        .value_kind:     hidden_block_count_z
      - .offset:         44
        .size:           2
        .value_kind:     hidden_group_size_x
      - .offset:         46
        .size:           2
        .value_kind:     hidden_group_size_y
      - .offset:         48
        .size:           2
        .value_kind:     hidden_group_size_z
      - .offset:         50
        .size:           2
        .value_kind:     hidden_remainder_x
      - .offset:         52
        .size:           2
        .value_kind:     hidden_remainder_y
      - .offset:         54
        .size:           2
        .value_kind:     hidden_remainder_z
      - .offset:         72
        .size:           8
        .value_kind:     hidden_global_offset_x
      - .offset:         80
        .size:           8
        .value_kind:     hidden_global_offset_y
      - .offset:         88
        .size:           8
        .value_kind:     hidden_global_offset_z
      - .offset:         96
        .size:           2
        .value_kind:     hidden_grid_dims
    .group_segment_fixed_size: 128
    .kernarg_segment_align: 8
    .kernarg_segment_size: 288
    .language:       OpenCL C
    .language_version:
      - 2
      - 0
    .max_flat_workgroup_size: 128
    .name:           _ZL25flash_attn_mask_to_KV_maxILi64EEvPK7__half2Piiii
    .private_segment_fixed_size: 0
    .sgpr_count:     106
    .sgpr_spill_count: 172
    .symbol:         _ZL25flash_attn_mask_to_KV_maxILi64EEvPK7__half2Piiii.kd
    .uniform_work_group_size: 1
    .uses_dynamic_stack: false
    .vgpr_count:     15
    .vgpr_spill_count: 0
    .wavefront_size: 64
  - .agpr_count:     0
    .args:
      - .address_space:  global
        .offset:         0
        .size:           8
        .value_kind:     global_buffer
      - .address_space:  global
        .offset:         8
        .size:           8
        .value_kind:     global_buffer
      - .offset:         16
        .size:           4
        .value_kind:     by_value
      - .offset:         20
        .size:           4
        .value_kind:     by_value
      - .offset:         24
        .size:           4
        .value_kind:     by_value
      - .offset:         28
        .size:           4
        .value_kind:     by_value
      - .offset:         32
        .size:           4
        .value_kind:     by_value
      - .offset:         36
        .size:           4
        .value_kind:     by_value
      - .offset:         40
        .size:           12
        .value_kind:     by_value
      - .offset:         52
        .size:           12
        .value_kind:     by_value
      - .offset:         64
        .size:           12
        .value_kind:     by_value
    .group_segment_fixed_size: 0
    .kernarg_segment_align: 8
    .kernarg_segment_size: 76
    .language:       OpenCL C
    .language_version:
      - 2
      - 0
    .max_flat_workgroup_size: 80
    .name:           _ZL33flash_attn_stream_k_fixup_uniformILi80ELi64ELi1EEvPfPK15HIP_vector_typeIfLj2EEiiiiiiS1_IjLj3EES5_S5_
    .private_segment_fixed_size: 0
    .sgpr_count:     26
    .sgpr_spill_count: 0
    .symbol:         _ZL33flash_attn_stream_k_fixup_uniformILi80ELi64ELi1EEvPfPK15HIP_vector_typeIfLj2EEiiiiiiS1_IjLj3EES5_S5_.kd
    .uniform_work_group_size: 1
    .uses_dynamic_stack: false
    .vgpr_count:     16
    .vgpr_spill_count: 0
    .wavefront_size: 64
  - .agpr_count:     0
    .args:
      - .address_space:  global
        .offset:         0
        .size:           8
        .value_kind:     global_buffer
      - .address_space:  global
        .offset:         8
        .size:           8
        .value_kind:     global_buffer
      - .offset:         16
        .size:           4
        .value_kind:     by_value
      - .offset:         20
        .size:           4
        .value_kind:     by_value
      - .offset:         24
        .size:           4
        .value_kind:     by_value
      - .offset:         28
        .size:           4
        .value_kind:     by_value
      - .offset:         32
        .size:           12
        .value_kind:     by_value
      - .offset:         44
        .size:           12
        .value_kind:     by_value
      - .offset:         56
        .size:           12
        .value_kind:     by_value
      - .offset:         68
        .size:           12
        .value_kind:     by_value
      - .offset:         80
        .size:           4
        .value_kind:     hidden_block_count_x
      - .offset:         84
        .size:           4
        .value_kind:     hidden_block_count_y
      - .offset:         88
        .size:           4
        .value_kind:     hidden_block_count_z
      - .offset:         92
        .size:           2
        .value_kind:     hidden_group_size_x
      - .offset:         94
        .size:           2
        .value_kind:     hidden_group_size_y
      - .offset:         96
        .size:           2
        .value_kind:     hidden_group_size_z
      - .offset:         98
        .size:           2
        .value_kind:     hidden_remainder_x
      - .offset:         100
        .size:           2
        .value_kind:     hidden_remainder_y
      - .offset:         102
        .size:           2
        .value_kind:     hidden_remainder_z
      - .offset:         120
        .size:           8
        .value_kind:     hidden_global_offset_x
      - .offset:         128
        .size:           8
        .value_kind:     hidden_global_offset_y
      - .offset:         136
        .size:           8
        .value_kind:     hidden_global_offset_z
      - .offset:         144
        .size:           2
        .value_kind:     hidden_grid_dims
    .group_segment_fixed_size: 0
    .kernarg_segment_align: 8
    .kernarg_segment_size: 336
    .language:       OpenCL C
    .language_version:
      - 2
      - 0
    .max_flat_workgroup_size: 80
    .name:           _ZL33flash_attn_stream_k_fixup_generalILi80ELi64ELi1EEvPfPK15HIP_vector_typeIfLj2EEiiiiS1_IjLj3EES5_S5_S5_
    .private_segment_fixed_size: 0
    .sgpr_count:     38
    .sgpr_spill_count: 0
    .symbol:         _ZL33flash_attn_stream_k_fixup_generalILi80ELi64ELi1EEvPfPK15HIP_vector_typeIfLj2EEiiiiS1_IjLj3EES5_S5_S5_.kd
    .uniform_work_group_size: 1
    .uses_dynamic_stack: false
    .vgpr_count:     22
    .vgpr_spill_count: 0
    .wavefront_size: 64
  - .agpr_count:     0
    .args:
      - .address_space:  global
        .offset:         0
        .size:           8
        .value_kind:     global_buffer
      - .address_space:  global
        .offset:         8
        .size:           8
        .value_kind:     global_buffer
      - .address_space:  global
        .offset:         16
        .size:           8
        .value_kind:     global_buffer
      - .address_space:  global
        .offset:         24
        .size:           8
        .value_kind:     global_buffer
      - .address_space:  global
        .offset:         32
        .size:           8
        .value_kind:     global_buffer
      - .address_space:  global
        .offset:         40
        .size:           8
        .value_kind:     global_buffer
      - .address_space:  global
        .offset:         48
        .size:           8
        .value_kind:     global_buffer
      - .address_space:  global
        .offset:         56
        .size:           8
        .value_kind:     global_buffer
      - .offset:         64
        .size:           4
        .value_kind:     by_value
      - .offset:         68
        .size:           4
        .value_kind:     by_value
      - .offset:         72
        .size:           4
        .value_kind:     by_value
      - .offset:         76
        .size:           4
        .value_kind:     by_value
      - .offset:         80
        .size:           4
        .value_kind:     by_value
      - .offset:         84
        .size:           4
        .value_kind:     by_value
      - .offset:         88
        .size:           4
        .value_kind:     by_value
      - .offset:         92
        .size:           12
        .value_kind:     by_value
      - .offset:         104
        .size:           4
        .value_kind:     by_value
      - .offset:         108
        .size:           4
        .value_kind:     by_value
      - .offset:         112
        .size:           4
        .value_kind:     by_value
      - .offset:         116
        .size:           4
        .value_kind:     by_value
      - .offset:         120
        .size:           4
        .value_kind:     by_value
      - .offset:         124
        .size:           4
        .value_kind:     by_value
      - .offset:         128
        .size:           4
        .value_kind:     by_value
      - .offset:         132
        .size:           4
        .value_kind:     by_value
      - .offset:         136
        .size:           4
        .value_kind:     by_value
      - .offset:         140
        .size:           4
        .value_kind:     by_value
      - .offset:         144
        .size:           4
        .value_kind:     by_value
      - .offset:         152
        .size:           8
        .value_kind:     by_value
      - .offset:         160
        .size:           4
        .value_kind:     by_value
      - .offset:         164
        .size:           4
        .value_kind:     by_value
      - .offset:         168
        .size:           8
        .value_kind:     by_value
      - .offset:         176
        .size:           4
        .value_kind:     by_value
      - .offset:         180
        .size:           4
        .value_kind:     by_value
      - .offset:         184
        .size:           4
        .value_kind:     by_value
      - .offset:         188
        .size:           4
        .value_kind:     by_value
      - .offset:         192
        .size:           4
        .value_kind:     by_value
      - .offset:         200
        .size:           8
        .value_kind:     by_value
      - .offset:         208
        .size:           4
        .value_kind:     hidden_block_count_x
      - .offset:         212
        .size:           4
        .value_kind:     hidden_block_count_y
      - .offset:         216
        .size:           4
        .value_kind:     hidden_block_count_z
      - .offset:         220
        .size:           2
        .value_kind:     hidden_group_size_x
      - .offset:         222
        .size:           2
        .value_kind:     hidden_group_size_y
      - .offset:         224
        .size:           2
        .value_kind:     hidden_group_size_z
      - .offset:         226
        .size:           2
        .value_kind:     hidden_remainder_x
      - .offset:         228
        .size:           2
        .value_kind:     hidden_remainder_y
      - .offset:         230
        .size:           2
        .value_kind:     hidden_remainder_z
      - .offset:         248
        .size:           8
        .value_kind:     hidden_global_offset_x
      - .offset:         256
        .size:           8
        .value_kind:     hidden_global_offset_y
      - .offset:         264
        .size:           8
        .value_kind:     hidden_global_offset_z
      - .offset:         272
        .size:           2
        .value_kind:     hidden_grid_dims
    .group_segment_fixed_size: 10432
    .kernarg_segment_align: 8
    .kernarg_segment_size: 464
    .language:       OpenCL C
    .language_version:
      - 2
      - 0
    .max_flat_workgroup_size: 256
    .name:           _ZL15flash_attn_tileILi80ELi80ELi32ELi1ELb0EEvPKcS1_S1_S1_S1_PKiPfP15HIP_vector_typeIfLj2EEffffjfiS5_IjLj3EEiiiiiiiiiiiliiliiiiil
    .private_segment_fixed_size: 32
    .sgpr_count:     71
    .sgpr_spill_count: 0
    .symbol:         _ZL15flash_attn_tileILi80ELi80ELi32ELi1ELb0EEvPKcS1_S1_S1_S1_PKiPfP15HIP_vector_typeIfLj2EEffffjfiS5_IjLj3EEiiiiiiiiiiiliiliiiiil.kd
    .uniform_work_group_size: 1
    .uses_dynamic_stack: false
    .vgpr_count:     142
    .vgpr_spill_count: 0
    .wavefront_size: 64
  - .agpr_count:     0
    .args:
      - .address_space:  global
        .offset:         0
        .size:           8
        .value_kind:     global_buffer
      - .address_space:  global
        .offset:         8
        .size:           8
        .value_kind:     global_buffer
      - .offset:         16
        .size:           4
        .value_kind:     by_value
      - .offset:         20
        .size:           4
        .value_kind:     by_value
      - .offset:         24
        .size:           4
        .value_kind:     by_value
      - .offset:         28
        .size:           4
        .value_kind:     by_value
      - .offset:         32
        .size:           4
        .value_kind:     by_value
      - .offset:         36
        .size:           4
        .value_kind:     by_value
      - .offset:         40
        .size:           12
        .value_kind:     by_value
      - .offset:         52
        .size:           12
        .value_kind:     by_value
      - .offset:         64
        .size:           12
        .value_kind:     by_value
    .group_segment_fixed_size: 0
    .kernarg_segment_align: 8
    .kernarg_segment_size: 76
    .language:       OpenCL C
    .language_version:
      - 2
      - 0
    .max_flat_workgroup_size: 80
    .name:           _ZL33flash_attn_stream_k_fixup_uniformILi80ELi32ELi1EEvPfPK15HIP_vector_typeIfLj2EEiiiiiiS1_IjLj3EES5_S5_
    .private_segment_fixed_size: 0
    .sgpr_count:     26
    .sgpr_spill_count: 0
    .symbol:         _ZL33flash_attn_stream_k_fixup_uniformILi80ELi32ELi1EEvPfPK15HIP_vector_typeIfLj2EEiiiiiiS1_IjLj3EES5_S5_.kd
    .uniform_work_group_size: 1
    .uses_dynamic_stack: false
    .vgpr_count:     16
    .vgpr_spill_count: 0
    .wavefront_size: 64
  - .agpr_count:     0
    .args:
      - .address_space:  global
        .offset:         0
        .size:           8
        .value_kind:     global_buffer
      - .address_space:  global
        .offset:         8
        .size:           8
        .value_kind:     global_buffer
      - .offset:         16
        .size:           4
        .value_kind:     by_value
      - .offset:         20
        .size:           4
        .value_kind:     by_value
      - .offset:         24
        .size:           4
        .value_kind:     by_value
      - .offset:         28
        .size:           4
        .value_kind:     by_value
      - .offset:         32
        .size:           12
        .value_kind:     by_value
      - .offset:         44
        .size:           12
        .value_kind:     by_value
      - .offset:         56
        .size:           12
        .value_kind:     by_value
      - .offset:         68
        .size:           12
        .value_kind:     by_value
      - .offset:         80
        .size:           4
        .value_kind:     hidden_block_count_x
      - .offset:         84
        .size:           4
        .value_kind:     hidden_block_count_y
      - .offset:         88
        .size:           4
        .value_kind:     hidden_block_count_z
      - .offset:         92
        .size:           2
        .value_kind:     hidden_group_size_x
      - .offset:         94
        .size:           2
        .value_kind:     hidden_group_size_y
      - .offset:         96
        .size:           2
        .value_kind:     hidden_group_size_z
      - .offset:         98
        .size:           2
        .value_kind:     hidden_remainder_x
      - .offset:         100
        .size:           2
        .value_kind:     hidden_remainder_y
      - .offset:         102
        .size:           2
        .value_kind:     hidden_remainder_z
      - .offset:         120
        .size:           8
        .value_kind:     hidden_global_offset_x
      - .offset:         128
        .size:           8
        .value_kind:     hidden_global_offset_y
      - .offset:         136
        .size:           8
        .value_kind:     hidden_global_offset_z
      - .offset:         144
        .size:           2
        .value_kind:     hidden_grid_dims
    .group_segment_fixed_size: 0
    .kernarg_segment_align: 8
    .kernarg_segment_size: 336
    .language:       OpenCL C
    .language_version:
      - 2
      - 0
    .max_flat_workgroup_size: 80
    .name:           _ZL33flash_attn_stream_k_fixup_generalILi80ELi32ELi1EEvPfPK15HIP_vector_typeIfLj2EEiiiiS1_IjLj3EES5_S5_S5_
    .private_segment_fixed_size: 0
    .sgpr_count:     38
    .sgpr_spill_count: 0
    .symbol:         _ZL33flash_attn_stream_k_fixup_generalILi80ELi32ELi1EEvPfPK15HIP_vector_typeIfLj2EEiiiiS1_IjLj3EES5_S5_S5_.kd
    .uniform_work_group_size: 1
    .uses_dynamic_stack: false
    .vgpr_count:     22
    .vgpr_spill_count: 0
    .wavefront_size: 64
  - .agpr_count:     0
    .args:
      - .address_space:  global
        .offset:         0
        .size:           8
        .value_kind:     global_buffer
      - .address_space:  global
        .offset:         8
        .size:           8
        .value_kind:     global_buffer
      - .address_space:  global
        .offset:         16
        .size:           8
        .value_kind:     global_buffer
      - .address_space:  global
        .offset:         24
        .size:           8
        .value_kind:     global_buffer
      - .address_space:  global
        .offset:         32
        .size:           8
        .value_kind:     global_buffer
      - .address_space:  global
        .offset:         40
        .size:           8
        .value_kind:     global_buffer
      - .address_space:  global
        .offset:         48
        .size:           8
        .value_kind:     global_buffer
      - .address_space:  global
        .offset:         56
        .size:           8
        .value_kind:     global_buffer
      - .offset:         64
        .size:           4
        .value_kind:     by_value
      - .offset:         68
        .size:           4
        .value_kind:     by_value
      - .offset:         72
        .size:           4
        .value_kind:     by_value
      - .offset:         76
        .size:           4
        .value_kind:     by_value
      - .offset:         80
        .size:           4
        .value_kind:     by_value
      - .offset:         84
        .size:           4
        .value_kind:     by_value
      - .offset:         88
        .size:           4
        .value_kind:     by_value
      - .offset:         92
        .size:           12
        .value_kind:     by_value
      - .offset:         104
        .size:           4
        .value_kind:     by_value
      - .offset:         108
        .size:           4
        .value_kind:     by_value
      - .offset:         112
        .size:           4
        .value_kind:     by_value
      - .offset:         116
        .size:           4
        .value_kind:     by_value
      - .offset:         120
        .size:           4
        .value_kind:     by_value
      - .offset:         124
        .size:           4
        .value_kind:     by_value
      - .offset:         128
        .size:           4
        .value_kind:     by_value
      - .offset:         132
        .size:           4
        .value_kind:     by_value
      - .offset:         136
        .size:           4
        .value_kind:     by_value
      - .offset:         140
        .size:           4
        .value_kind:     by_value
      - .offset:         144
        .size:           4
        .value_kind:     by_value
      - .offset:         152
        .size:           8
        .value_kind:     by_value
      - .offset:         160
        .size:           4
        .value_kind:     by_value
      - .offset:         164
        .size:           4
        .value_kind:     by_value
      - .offset:         168
        .size:           8
        .value_kind:     by_value
      - .offset:         176
        .size:           4
        .value_kind:     by_value
      - .offset:         180
        .size:           4
        .value_kind:     by_value
      - .offset:         184
        .size:           4
        .value_kind:     by_value
      - .offset:         188
        .size:           4
        .value_kind:     by_value
      - .offset:         192
        .size:           4
        .value_kind:     by_value
      - .offset:         200
        .size:           8
        .value_kind:     by_value
      - .offset:         208
        .size:           4
        .value_kind:     hidden_block_count_x
      - .offset:         212
        .size:           4
        .value_kind:     hidden_block_count_y
      - .offset:         216
        .size:           4
        .value_kind:     hidden_block_count_z
      - .offset:         220
        .size:           2
        .value_kind:     hidden_group_size_x
      - .offset:         222
        .size:           2
        .value_kind:     hidden_group_size_y
      - .offset:         224
        .size:           2
        .value_kind:     hidden_group_size_z
      - .offset:         226
        .size:           2
        .value_kind:     hidden_remainder_x
      - .offset:         228
        .size:           2
        .value_kind:     hidden_remainder_y
      - .offset:         230
        .size:           2
        .value_kind:     hidden_remainder_z
      - .offset:         248
        .size:           8
        .value_kind:     hidden_global_offset_x
      - .offset:         256
        .size:           8
        .value_kind:     hidden_global_offset_y
      - .offset:         264
        .size:           8
        .value_kind:     hidden_global_offset_z
      - .offset:         272
        .size:           2
        .value_kind:     hidden_grid_dims
    .group_segment_fixed_size: 6848
    .kernarg_segment_align: 8
    .kernarg_segment_size: 464
    .language:       OpenCL C
    .language_version:
      - 2
      - 0
    .max_flat_workgroup_size: 256
    .name:           _ZL15flash_attn_tileILi80ELi80ELi16ELi1ELb0EEvPKcS1_S1_S1_S1_PKiPfP15HIP_vector_typeIfLj2EEffffjfiS5_IjLj3EEiiiiiiiiiiiliiliiiiil
    .private_segment_fixed_size: 32
    .sgpr_count:     63
    .sgpr_spill_count: 0
    .symbol:         _ZL15flash_attn_tileILi80ELi80ELi16ELi1ELb0EEvPKcS1_S1_S1_S1_PKiPfP15HIP_vector_typeIfLj2EEffffjfiS5_IjLj3EEiiiiiiiiiiiliiliiiiil.kd
    .uniform_work_group_size: 1
    .uses_dynamic_stack: false
    .vgpr_count:     108
    .vgpr_spill_count: 0
    .wavefront_size: 64
  - .agpr_count:     0
    .args:
      - .address_space:  global
        .offset:         0
        .size:           8
        .value_kind:     global_buffer
      - .address_space:  global
        .offset:         8
        .size:           8
        .value_kind:     global_buffer
      - .offset:         16
        .size:           4
        .value_kind:     by_value
      - .offset:         20
        .size:           4
        .value_kind:     by_value
      - .offset:         24
        .size:           4
        .value_kind:     by_value
      - .offset:         28
        .size:           4
        .value_kind:     by_value
      - .offset:         32
        .size:           4
        .value_kind:     by_value
      - .offset:         36
        .size:           4
        .value_kind:     by_value
      - .offset:         40
        .size:           12
        .value_kind:     by_value
      - .offset:         52
        .size:           12
        .value_kind:     by_value
      - .offset:         64
        .size:           12
        .value_kind:     by_value
    .group_segment_fixed_size: 0
    .kernarg_segment_align: 8
    .kernarg_segment_size: 76
    .language:       OpenCL C
    .language_version:
      - 2
      - 0
    .max_flat_workgroup_size: 80
    .name:           _ZL33flash_attn_stream_k_fixup_uniformILi80ELi16ELi1EEvPfPK15HIP_vector_typeIfLj2EEiiiiiiS1_IjLj3EES5_S5_
    .private_segment_fixed_size: 0
    .sgpr_count:     26
    .sgpr_spill_count: 0
    .symbol:         _ZL33flash_attn_stream_k_fixup_uniformILi80ELi16ELi1EEvPfPK15HIP_vector_typeIfLj2EEiiiiiiS1_IjLj3EES5_S5_.kd
    .uniform_work_group_size: 1
    .uses_dynamic_stack: false
    .vgpr_count:     16
    .vgpr_spill_count: 0
    .wavefront_size: 64
  - .agpr_count:     0
    .args:
      - .address_space:  global
        .offset:         0
        .size:           8
        .value_kind:     global_buffer
      - .address_space:  global
        .offset:         8
        .size:           8
        .value_kind:     global_buffer
      - .offset:         16
        .size:           4
        .value_kind:     by_value
      - .offset:         20
        .size:           4
        .value_kind:     by_value
      - .offset:         24
        .size:           4
        .value_kind:     by_value
      - .offset:         28
        .size:           4
        .value_kind:     by_value
      - .offset:         32
        .size:           12
        .value_kind:     by_value
      - .offset:         44
        .size:           12
        .value_kind:     by_value
      - .offset:         56
        .size:           12
        .value_kind:     by_value
      - .offset:         68
        .size:           12
        .value_kind:     by_value
      - .offset:         80
        .size:           4
        .value_kind:     hidden_block_count_x
      - .offset:         84
        .size:           4
        .value_kind:     hidden_block_count_y
      - .offset:         88
        .size:           4
        .value_kind:     hidden_block_count_z
      - .offset:         92
        .size:           2
        .value_kind:     hidden_group_size_x
      - .offset:         94
        .size:           2
        .value_kind:     hidden_group_size_y
      - .offset:         96
        .size:           2
        .value_kind:     hidden_group_size_z
      - .offset:         98
        .size:           2
        .value_kind:     hidden_remainder_x
      - .offset:         100
        .size:           2
        .value_kind:     hidden_remainder_y
      - .offset:         102
        .size:           2
        .value_kind:     hidden_remainder_z
      - .offset:         120
        .size:           8
        .value_kind:     hidden_global_offset_x
      - .offset:         128
        .size:           8
        .value_kind:     hidden_global_offset_y
      - .offset:         136
        .size:           8
        .value_kind:     hidden_global_offset_z
      - .offset:         144
        .size:           2
        .value_kind:     hidden_grid_dims
    .group_segment_fixed_size: 0
    .kernarg_segment_align: 8
    .kernarg_segment_size: 336
    .language:       OpenCL C
    .language_version:
      - 2
      - 0
    .max_flat_workgroup_size: 80
    .name:           _ZL33flash_attn_stream_k_fixup_generalILi80ELi16ELi1EEvPfPK15HIP_vector_typeIfLj2EEiiiiS1_IjLj3EES5_S5_S5_
    .private_segment_fixed_size: 0
    .sgpr_count:     38
    .sgpr_spill_count: 0
    .symbol:         _ZL33flash_attn_stream_k_fixup_generalILi80ELi16ELi1EEvPfPK15HIP_vector_typeIfLj2EEiiiiS1_IjLj3EES5_S5_S5_.kd
    .uniform_work_group_size: 1
    .uses_dynamic_stack: false
    .vgpr_count:     22
    .vgpr_spill_count: 0
    .wavefront_size: 64
  - .agpr_count:     0
    .args:
      - .address_space:  global
        .offset:         0
        .size:           8
        .value_kind:     global_buffer
      - .address_space:  global
        .offset:         8
        .size:           8
        .value_kind:     global_buffer
      - .address_space:  global
        .offset:         16
        .size:           8
        .value_kind:     global_buffer
      - .address_space:  global
        .offset:         24
        .size:           8
        .value_kind:     global_buffer
      - .address_space:  global
        .offset:         32
        .size:           8
        .value_kind:     global_buffer
      - .address_space:  global
        .offset:         40
        .size:           8
        .value_kind:     global_buffer
      - .address_space:  global
        .offset:         48
        .size:           8
        .value_kind:     global_buffer
      - .address_space:  global
        .offset:         56
        .size:           8
        .value_kind:     global_buffer
      - .offset:         64
        .size:           4
        .value_kind:     by_value
      - .offset:         68
        .size:           4
        .value_kind:     by_value
      - .offset:         72
        .size:           4
        .value_kind:     by_value
      - .offset:         76
        .size:           4
        .value_kind:     by_value
      - .offset:         80
        .size:           4
        .value_kind:     by_value
      - .offset:         84
        .size:           4
        .value_kind:     by_value
      - .offset:         88
        .size:           4
        .value_kind:     by_value
      - .offset:         92
        .size:           12
        .value_kind:     by_value
      - .offset:         104
        .size:           4
        .value_kind:     by_value
      - .offset:         108
        .size:           4
        .value_kind:     by_value
      - .offset:         112
        .size:           4
        .value_kind:     by_value
      - .offset:         116
        .size:           4
        .value_kind:     by_value
      - .offset:         120
        .size:           4
        .value_kind:     by_value
      - .offset:         124
        .size:           4
        .value_kind:     by_value
      - .offset:         128
        .size:           4
        .value_kind:     by_value
      - .offset:         132
        .size:           4
        .value_kind:     by_value
      - .offset:         136
        .size:           4
        .value_kind:     by_value
      - .offset:         140
        .size:           4
        .value_kind:     by_value
      - .offset:         144
        .size:           4
        .value_kind:     by_value
      - .offset:         152
        .size:           8
        .value_kind:     by_value
      - .offset:         160
        .size:           4
        .value_kind:     by_value
      - .offset:         164
        .size:           4
        .value_kind:     by_value
      - .offset:         168
        .size:           8
        .value_kind:     by_value
      - .offset:         176
        .size:           4
        .value_kind:     by_value
      - .offset:         180
        .size:           4
        .value_kind:     by_value
      - .offset:         184
        .size:           4
        .value_kind:     by_value
      - .offset:         188
        .size:           4
        .value_kind:     by_value
      - .offset:         192
        .size:           4
        .value_kind:     by_value
      - .offset:         200
        .size:           8
        .value_kind:     by_value
      - .offset:         208
        .size:           4
        .value_kind:     hidden_block_count_x
      - .offset:         212
        .size:           4
        .value_kind:     hidden_block_count_y
      - .offset:         216
        .size:           4
        .value_kind:     hidden_block_count_z
      - .offset:         220
        .size:           2
        .value_kind:     hidden_group_size_x
      - .offset:         222
        .size:           2
        .value_kind:     hidden_group_size_y
      - .offset:         224
        .size:           2
        .value_kind:     hidden_group_size_z
      - .offset:         226
        .size:           2
        .value_kind:     hidden_remainder_x
      - .offset:         228
        .size:           2
        .value_kind:     hidden_remainder_y
      - .offset:         230
        .size:           2
        .value_kind:     hidden_remainder_z
      - .offset:         248
        .size:           8
        .value_kind:     hidden_global_offset_x
      - .offset:         256
        .size:           8
        .value_kind:     hidden_global_offset_y
      - .offset:         264
        .size:           8
        .value_kind:     hidden_global_offset_z
      - .offset:         272
        .size:           2
        .value_kind:     hidden_grid_dims
    .group_segment_fixed_size: 5056
    .kernarg_segment_align: 8
    .kernarg_segment_size: 464
    .language:       OpenCL C
    .language_version:
      - 2
      - 0
    .max_flat_workgroup_size: 256
    .name:           _ZL15flash_attn_tileILi80ELi80ELi8ELi1ELb0EEvPKcS1_S1_S1_S1_PKiPfP15HIP_vector_typeIfLj2EEffffjfiS5_IjLj3EEiiiiiiiiiiiliiliiiiil
    .private_segment_fixed_size: 32
    .sgpr_count:     58
    .sgpr_spill_count: 0
    .symbol:         _ZL15flash_attn_tileILi80ELi80ELi8ELi1ELb0EEvPKcS1_S1_S1_S1_PKiPfP15HIP_vector_typeIfLj2EEffffjfiS5_IjLj3EEiiiiiiiiiiiliiliiiiil.kd
    .uniform_work_group_size: 1
    .uses_dynamic_stack: false
    .vgpr_count:     90
    .vgpr_spill_count: 0
    .wavefront_size: 64
  - .agpr_count:     0
    .args:
      - .address_space:  global
        .offset:         0
        .size:           8
        .value_kind:     global_buffer
      - .address_space:  global
        .offset:         8
        .size:           8
        .value_kind:     global_buffer
      - .offset:         16
        .size:           4
        .value_kind:     by_value
      - .offset:         20
        .size:           4
        .value_kind:     by_value
      - .offset:         24
        .size:           4
        .value_kind:     by_value
      - .offset:         28
        .size:           4
        .value_kind:     by_value
      - .offset:         32
        .size:           4
        .value_kind:     by_value
      - .offset:         36
        .size:           4
        .value_kind:     by_value
      - .offset:         40
        .size:           12
        .value_kind:     by_value
      - .offset:         52
        .size:           12
        .value_kind:     by_value
      - .offset:         64
        .size:           12
        .value_kind:     by_value
    .group_segment_fixed_size: 0
    .kernarg_segment_align: 8
    .kernarg_segment_size: 76
    .language:       OpenCL C
    .language_version:
      - 2
      - 0
    .max_flat_workgroup_size: 80
    .name:           _ZL33flash_attn_stream_k_fixup_uniformILi80ELi8ELi1EEvPfPK15HIP_vector_typeIfLj2EEiiiiiiS1_IjLj3EES5_S5_
    .private_segment_fixed_size: 0
    .sgpr_count:     26
    .sgpr_spill_count: 0
    .symbol:         _ZL33flash_attn_stream_k_fixup_uniformILi80ELi8ELi1EEvPfPK15HIP_vector_typeIfLj2EEiiiiiiS1_IjLj3EES5_S5_.kd
    .uniform_work_group_size: 1
    .uses_dynamic_stack: false
    .vgpr_count:     16
    .vgpr_spill_count: 0
    .wavefront_size: 64
  - .agpr_count:     0
    .args:
      - .address_space:  global
        .offset:         0
        .size:           8
        .value_kind:     global_buffer
      - .address_space:  global
        .offset:         8
        .size:           8
        .value_kind:     global_buffer
      - .offset:         16
        .size:           4
        .value_kind:     by_value
      - .offset:         20
        .size:           4
        .value_kind:     by_value
      - .offset:         24
        .size:           4
        .value_kind:     by_value
      - .offset:         28
        .size:           4
        .value_kind:     by_value
      - .offset:         32
        .size:           12
        .value_kind:     by_value
      - .offset:         44
        .size:           12
        .value_kind:     by_value
      - .offset:         56
        .size:           12
        .value_kind:     by_value
      - .offset:         68
        .size:           12
        .value_kind:     by_value
      - .offset:         80
        .size:           4
        .value_kind:     hidden_block_count_x
      - .offset:         84
        .size:           4
        .value_kind:     hidden_block_count_y
      - .offset:         88
        .size:           4
        .value_kind:     hidden_block_count_z
      - .offset:         92
        .size:           2
        .value_kind:     hidden_group_size_x
      - .offset:         94
        .size:           2
        .value_kind:     hidden_group_size_y
      - .offset:         96
        .size:           2
        .value_kind:     hidden_group_size_z
      - .offset:         98
        .size:           2
        .value_kind:     hidden_remainder_x
      - .offset:         100
        .size:           2
        .value_kind:     hidden_remainder_y
      - .offset:         102
        .size:           2
        .value_kind:     hidden_remainder_z
      - .offset:         120
        .size:           8
        .value_kind:     hidden_global_offset_x
      - .offset:         128
        .size:           8
        .value_kind:     hidden_global_offset_y
      - .offset:         136
        .size:           8
        .value_kind:     hidden_global_offset_z
      - .offset:         144
        .size:           2
        .value_kind:     hidden_grid_dims
    .group_segment_fixed_size: 0
    .kernarg_segment_align: 8
    .kernarg_segment_size: 336
    .language:       OpenCL C
    .language_version:
      - 2
      - 0
    .max_flat_workgroup_size: 80
    .name:           _ZL33flash_attn_stream_k_fixup_generalILi80ELi8ELi1EEvPfPK15HIP_vector_typeIfLj2EEiiiiS1_IjLj3EES5_S5_S5_
    .private_segment_fixed_size: 0
    .sgpr_count:     38
    .sgpr_spill_count: 0
    .symbol:         _ZL33flash_attn_stream_k_fixup_generalILi80ELi8ELi1EEvPfPK15HIP_vector_typeIfLj2EEiiiiS1_IjLj3EES5_S5_S5_.kd
    .uniform_work_group_size: 1
    .uses_dynamic_stack: false
    .vgpr_count:     22
    .vgpr_spill_count: 0
    .wavefront_size: 64
  - .agpr_count:     0
    .args:
      - .address_space:  global
        .offset:         0
        .size:           8
        .value_kind:     global_buffer
      - .address_space:  global
        .offset:         8
        .size:           8
        .value_kind:     global_buffer
      - .address_space:  global
        .offset:         16
        .size:           8
        .value_kind:     global_buffer
      - .address_space:  global
        .offset:         24
        .size:           8
        .value_kind:     global_buffer
      - .address_space:  global
        .offset:         32
        .size:           8
        .value_kind:     global_buffer
      - .address_space:  global
        .offset:         40
        .size:           8
        .value_kind:     global_buffer
      - .address_space:  global
        .offset:         48
        .size:           8
        .value_kind:     global_buffer
      - .address_space:  global
        .offset:         56
        .size:           8
        .value_kind:     global_buffer
      - .offset:         64
        .size:           4
        .value_kind:     by_value
      - .offset:         68
        .size:           4
        .value_kind:     by_value
      - .offset:         72
        .size:           4
        .value_kind:     by_value
      - .offset:         76
        .size:           4
        .value_kind:     by_value
      - .offset:         80
        .size:           4
        .value_kind:     by_value
      - .offset:         84
        .size:           4
        .value_kind:     by_value
      - .offset:         88
        .size:           4
        .value_kind:     by_value
      - .offset:         92
        .size:           12
        .value_kind:     by_value
      - .offset:         104
        .size:           4
        .value_kind:     by_value
      - .offset:         108
        .size:           4
        .value_kind:     by_value
      - .offset:         112
        .size:           4
        .value_kind:     by_value
      - .offset:         116
        .size:           4
        .value_kind:     by_value
      - .offset:         120
        .size:           4
        .value_kind:     by_value
      - .offset:         124
        .size:           4
        .value_kind:     by_value
      - .offset:         128
        .size:           4
        .value_kind:     by_value
      - .offset:         132
        .size:           4
        .value_kind:     by_value
      - .offset:         136
        .size:           4
        .value_kind:     by_value
      - .offset:         140
        .size:           4
        .value_kind:     by_value
      - .offset:         144
        .size:           4
        .value_kind:     by_value
      - .offset:         152
        .size:           8
        .value_kind:     by_value
      - .offset:         160
        .size:           4
        .value_kind:     by_value
      - .offset:         164
        .size:           4
        .value_kind:     by_value
      - .offset:         168
        .size:           8
        .value_kind:     by_value
      - .offset:         176
        .size:           4
        .value_kind:     by_value
      - .offset:         180
        .size:           4
        .value_kind:     by_value
      - .offset:         184
        .size:           4
        .value_kind:     by_value
      - .offset:         188
        .size:           4
        .value_kind:     by_value
      - .offset:         192
        .size:           4
        .value_kind:     by_value
      - .offset:         200
        .size:           8
        .value_kind:     by_value
      - .offset:         208
        .size:           4
        .value_kind:     hidden_block_count_x
      - .offset:         212
        .size:           4
        .value_kind:     hidden_block_count_y
      - .offset:         216
        .size:           4
        .value_kind:     hidden_block_count_z
      - .offset:         220
        .size:           2
        .value_kind:     hidden_group_size_x
      - .offset:         222
        .size:           2
        .value_kind:     hidden_group_size_y
      - .offset:         224
        .size:           2
        .value_kind:     hidden_group_size_z
      - .offset:         226
        .size:           2
        .value_kind:     hidden_remainder_x
      - .offset:         228
        .size:           2
        .value_kind:     hidden_remainder_y
      - .offset:         230
        .size:           2
        .value_kind:     hidden_remainder_z
      - .offset:         248
        .size:           8
        .value_kind:     hidden_global_offset_x
      - .offset:         256
        .size:           8
        .value_kind:     hidden_global_offset_y
      - .offset:         264
        .size:           8
        .value_kind:     hidden_global_offset_z
      - .offset:         272
        .size:           2
        .value_kind:     hidden_grid_dims
    .group_segment_fixed_size: 4160
    .kernarg_segment_align: 8
    .kernarg_segment_size: 464
    .language:       OpenCL C
    .language_version:
      - 2
      - 0
    .max_flat_workgroup_size: 128
    .name:           _ZL15flash_attn_tileILi80ELi80ELi4ELi1ELb0EEvPKcS1_S1_S1_S1_PKiPfP15HIP_vector_typeIfLj2EEffffjfiS5_IjLj3EEiiiiiiiiiiiliiliiiiil
    .private_segment_fixed_size: 32
    .sgpr_count:     58
    .sgpr_spill_count: 0
    .symbol:         _ZL15flash_attn_tileILi80ELi80ELi4ELi1ELb0EEvPKcS1_S1_S1_S1_PKiPfP15HIP_vector_typeIfLj2EEffffjfiS5_IjLj3EEiiiiiiiiiiiliiliiiiil.kd
    .uniform_work_group_size: 1
    .uses_dynamic_stack: false
    .vgpr_count:     92
    .vgpr_spill_count: 0
    .wavefront_size: 64
  - .agpr_count:     0
    .args:
      - .address_space:  global
        .offset:         0
        .size:           8
        .value_kind:     global_buffer
      - .address_space:  global
        .offset:         8
        .size:           8
        .value_kind:     global_buffer
      - .offset:         16
        .size:           4
        .value_kind:     by_value
      - .offset:         20
        .size:           4
        .value_kind:     by_value
      - .offset:         24
        .size:           4
        .value_kind:     by_value
      - .offset:         28
        .size:           4
        .value_kind:     by_value
      - .offset:         32
        .size:           4
        .value_kind:     by_value
      - .offset:         36
        .size:           4
        .value_kind:     by_value
      - .offset:         40
        .size:           12
        .value_kind:     by_value
      - .offset:         52
        .size:           12
        .value_kind:     by_value
      - .offset:         64
        .size:           12
        .value_kind:     by_value
    .group_segment_fixed_size: 0
    .kernarg_segment_align: 8
    .kernarg_segment_size: 76
    .language:       OpenCL C
    .language_version:
      - 2
      - 0
    .max_flat_workgroup_size: 80
    .name:           _ZL33flash_attn_stream_k_fixup_uniformILi80ELi4ELi1EEvPfPK15HIP_vector_typeIfLj2EEiiiiiiS1_IjLj3EES5_S5_
    .private_segment_fixed_size: 0
    .sgpr_count:     26
    .sgpr_spill_count: 0
    .symbol:         _ZL33flash_attn_stream_k_fixup_uniformILi80ELi4ELi1EEvPfPK15HIP_vector_typeIfLj2EEiiiiiiS1_IjLj3EES5_S5_.kd
    .uniform_work_group_size: 1
    .uses_dynamic_stack: false
    .vgpr_count:     16
    .vgpr_spill_count: 0
    .wavefront_size: 64
  - .agpr_count:     0
    .args:
      - .address_space:  global
        .offset:         0
        .size:           8
        .value_kind:     global_buffer
      - .address_space:  global
        .offset:         8
        .size:           8
        .value_kind:     global_buffer
      - .offset:         16
        .size:           4
        .value_kind:     by_value
      - .offset:         20
        .size:           4
        .value_kind:     by_value
      - .offset:         24
        .size:           4
        .value_kind:     by_value
      - .offset:         28
        .size:           4
        .value_kind:     by_value
      - .offset:         32
        .size:           12
        .value_kind:     by_value
      - .offset:         44
        .size:           12
        .value_kind:     by_value
      - .offset:         56
        .size:           12
        .value_kind:     by_value
      - .offset:         68
        .size:           12
        .value_kind:     by_value
      - .offset:         80
        .size:           4
        .value_kind:     hidden_block_count_x
      - .offset:         84
        .size:           4
        .value_kind:     hidden_block_count_y
      - .offset:         88
        .size:           4
        .value_kind:     hidden_block_count_z
      - .offset:         92
        .size:           2
        .value_kind:     hidden_group_size_x
      - .offset:         94
        .size:           2
        .value_kind:     hidden_group_size_y
      - .offset:         96
        .size:           2
        .value_kind:     hidden_group_size_z
      - .offset:         98
        .size:           2
        .value_kind:     hidden_remainder_x
      - .offset:         100
        .size:           2
        .value_kind:     hidden_remainder_y
      - .offset:         102
        .size:           2
        .value_kind:     hidden_remainder_z
      - .offset:         120
        .size:           8
        .value_kind:     hidden_global_offset_x
      - .offset:         128
        .size:           8
        .value_kind:     hidden_global_offset_y
      - .offset:         136
        .size:           8
        .value_kind:     hidden_global_offset_z
      - .offset:         144
        .size:           2
        .value_kind:     hidden_grid_dims
    .group_segment_fixed_size: 0
    .kernarg_segment_align: 8
    .kernarg_segment_size: 336
    .language:       OpenCL C
    .language_version:
      - 2
      - 0
    .max_flat_workgroup_size: 80
    .name:           _ZL33flash_attn_stream_k_fixup_generalILi80ELi4ELi1EEvPfPK15HIP_vector_typeIfLj2EEiiiiS1_IjLj3EES5_S5_S5_
    .private_segment_fixed_size: 0
    .sgpr_count:     38
    .sgpr_spill_count: 0
    .symbol:         _ZL33flash_attn_stream_k_fixup_generalILi80ELi4ELi1EEvPfPK15HIP_vector_typeIfLj2EEiiiiS1_IjLj3EES5_S5_S5_.kd
    .uniform_work_group_size: 1
    .uses_dynamic_stack: false
    .vgpr_count:     22
    .vgpr_spill_count: 0
    .wavefront_size: 64
  - .agpr_count:     0
    .args:
      - .address_space:  global
        .offset:         0
        .size:           8
        .value_kind:     global_buffer
      - .address_space:  global
        .offset:         8
        .size:           8
        .value_kind:     global_buffer
      - .address_space:  global
        .offset:         16
        .size:           8
        .value_kind:     global_buffer
      - .address_space:  global
        .offset:         24
        .size:           8
        .value_kind:     global_buffer
      - .address_space:  global
        .offset:         32
        .size:           8
        .value_kind:     global_buffer
      - .address_space:  global
        .offset:         40
        .size:           8
        .value_kind:     global_buffer
      - .address_space:  global
        .offset:         48
        .size:           8
        .value_kind:     global_buffer
      - .address_space:  global
        .offset:         56
        .size:           8
        .value_kind:     global_buffer
      - .offset:         64
        .size:           4
        .value_kind:     by_value
      - .offset:         68
        .size:           4
        .value_kind:     by_value
      - .offset:         72
        .size:           4
        .value_kind:     by_value
      - .offset:         76
        .size:           4
        .value_kind:     by_value
      - .offset:         80
        .size:           4
        .value_kind:     by_value
      - .offset:         84
        .size:           4
        .value_kind:     by_value
      - .offset:         88
        .size:           4
        .value_kind:     by_value
      - .offset:         92
        .size:           12
        .value_kind:     by_value
      - .offset:         104
        .size:           4
        .value_kind:     by_value
      - .offset:         108
        .size:           4
        .value_kind:     by_value
      - .offset:         112
        .size:           4
        .value_kind:     by_value
      - .offset:         116
        .size:           4
        .value_kind:     by_value
      - .offset:         120
        .size:           4
        .value_kind:     by_value
      - .offset:         124
        .size:           4
        .value_kind:     by_value
      - .offset:         128
        .size:           4
        .value_kind:     by_value
      - .offset:         132
        .size:           4
        .value_kind:     by_value
      - .offset:         136
        .size:           4
        .value_kind:     by_value
      - .offset:         140
        .size:           4
        .value_kind:     by_value
      - .offset:         144
        .size:           4
        .value_kind:     by_value
      - .offset:         152
        .size:           8
        .value_kind:     by_value
      - .offset:         160
        .size:           4
        .value_kind:     by_value
      - .offset:         164
        .size:           4
        .value_kind:     by_value
      - .offset:         168
        .size:           8
        .value_kind:     by_value
      - .offset:         176
        .size:           4
        .value_kind:     by_value
      - .offset:         180
        .size:           4
        .value_kind:     by_value
      - .offset:         184
        .size:           4
        .value_kind:     by_value
      - .offset:         188
        .size:           4
        .value_kind:     by_value
      - .offset:         192
        .size:           4
        .value_kind:     by_value
      - .offset:         200
        .size:           8
        .value_kind:     by_value
      - .offset:         208
        .size:           4
        .value_kind:     hidden_block_count_x
      - .offset:         212
        .size:           4
        .value_kind:     hidden_block_count_y
      - .offset:         216
        .size:           4
        .value_kind:     hidden_block_count_z
      - .offset:         220
        .size:           2
        .value_kind:     hidden_group_size_x
      - .offset:         222
        .size:           2
        .value_kind:     hidden_group_size_y
      - .offset:         224
        .size:           2
        .value_kind:     hidden_group_size_z
      - .offset:         226
        .size:           2
        .value_kind:     hidden_remainder_x
      - .offset:         228
        .size:           2
        .value_kind:     hidden_remainder_y
      - .offset:         230
        .size:           2
        .value_kind:     hidden_remainder_z
      - .offset:         248
        .size:           8
        .value_kind:     hidden_global_offset_x
      - .offset:         256
        .size:           8
        .value_kind:     hidden_global_offset_y
      - .offset:         264
        .size:           8
        .value_kind:     hidden_global_offset_z
      - .offset:         272
        .size:           2
        .value_kind:     hidden_grid_dims
    .group_segment_fixed_size: 3712
    .kernarg_segment_align: 8
    .kernarg_segment_size: 464
    .language:       OpenCL C
    .language_version:
      - 2
      - 0
    .max_flat_workgroup_size: 64
    .name:           _ZL15flash_attn_tileILi80ELi80ELi2ELi1ELb0EEvPKcS1_S1_S1_S1_PKiPfP15HIP_vector_typeIfLj2EEffffjfiS5_IjLj3EEiiiiiiiiiiiliiliiiiil
    .private_segment_fixed_size: 32
    .sgpr_count:     58
    .sgpr_spill_count: 0
    .symbol:         _ZL15flash_attn_tileILi80ELi80ELi2ELi1ELb0EEvPKcS1_S1_S1_S1_PKiPfP15HIP_vector_typeIfLj2EEffffjfiS5_IjLj3EEiiiiiiiiiiiliiliiiiil.kd
    .uniform_work_group_size: 1
    .uses_dynamic_stack: false
    .vgpr_count:     102
    .vgpr_spill_count: 0
    .wavefront_size: 64
  - .agpr_count:     0
    .args:
      - .address_space:  global
        .offset:         0
        .size:           8
        .value_kind:     global_buffer
      - .address_space:  global
        .offset:         8
        .size:           8
        .value_kind:     global_buffer
      - .offset:         16
        .size:           4
        .value_kind:     by_value
      - .offset:         20
        .size:           4
        .value_kind:     by_value
      - .offset:         24
        .size:           4
        .value_kind:     by_value
      - .offset:         28
        .size:           4
        .value_kind:     by_value
      - .offset:         32
        .size:           4
        .value_kind:     by_value
      - .offset:         36
        .size:           4
        .value_kind:     by_value
      - .offset:         40
        .size:           12
        .value_kind:     by_value
      - .offset:         52
        .size:           12
        .value_kind:     by_value
      - .offset:         64
        .size:           12
        .value_kind:     by_value
    .group_segment_fixed_size: 0
    .kernarg_segment_align: 8
    .kernarg_segment_size: 76
    .language:       OpenCL C
    .language_version:
      - 2
      - 0
    .max_flat_workgroup_size: 80
    .name:           _ZL33flash_attn_stream_k_fixup_uniformILi80ELi2ELi1EEvPfPK15HIP_vector_typeIfLj2EEiiiiiiS1_IjLj3EES5_S5_
    .private_segment_fixed_size: 0
    .sgpr_count:     26
    .sgpr_spill_count: 0
    .symbol:         _ZL33flash_attn_stream_k_fixup_uniformILi80ELi2ELi1EEvPfPK15HIP_vector_typeIfLj2EEiiiiiiS1_IjLj3EES5_S5_.kd
    .uniform_work_group_size: 1
    .uses_dynamic_stack: false
    .vgpr_count:     16
    .vgpr_spill_count: 0
    .wavefront_size: 64
  - .agpr_count:     0
    .args:
      - .address_space:  global
        .offset:         0
        .size:           8
        .value_kind:     global_buffer
      - .address_space:  global
        .offset:         8
        .size:           8
        .value_kind:     global_buffer
      - .offset:         16
        .size:           4
        .value_kind:     by_value
      - .offset:         20
        .size:           4
        .value_kind:     by_value
      - .offset:         24
        .size:           4
        .value_kind:     by_value
      - .offset:         28
        .size:           4
        .value_kind:     by_value
      - .offset:         32
        .size:           12
        .value_kind:     by_value
      - .offset:         44
        .size:           12
        .value_kind:     by_value
      - .offset:         56
        .size:           12
        .value_kind:     by_value
      - .offset:         68
        .size:           12
        .value_kind:     by_value
      - .offset:         80
        .size:           4
        .value_kind:     hidden_block_count_x
      - .offset:         84
        .size:           4
        .value_kind:     hidden_block_count_y
      - .offset:         88
        .size:           4
        .value_kind:     hidden_block_count_z
      - .offset:         92
        .size:           2
        .value_kind:     hidden_group_size_x
      - .offset:         94
        .size:           2
        .value_kind:     hidden_group_size_y
      - .offset:         96
        .size:           2
        .value_kind:     hidden_group_size_z
      - .offset:         98
        .size:           2
        .value_kind:     hidden_remainder_x
      - .offset:         100
        .size:           2
        .value_kind:     hidden_remainder_y
      - .offset:         102
        .size:           2
        .value_kind:     hidden_remainder_z
      - .offset:         120
        .size:           8
        .value_kind:     hidden_global_offset_x
      - .offset:         128
        .size:           8
        .value_kind:     hidden_global_offset_y
      - .offset:         136
        .size:           8
        .value_kind:     hidden_global_offset_z
      - .offset:         144
        .size:           2
        .value_kind:     hidden_grid_dims
    .group_segment_fixed_size: 0
    .kernarg_segment_align: 8
    .kernarg_segment_size: 336
    .language:       OpenCL C
    .language_version:
      - 2
      - 0
    .max_flat_workgroup_size: 80
    .name:           _ZL33flash_attn_stream_k_fixup_generalILi80ELi2ELi1EEvPfPK15HIP_vector_typeIfLj2EEiiiiS1_IjLj3EES5_S5_S5_
    .private_segment_fixed_size: 0
    .sgpr_count:     38
    .sgpr_spill_count: 0
    .symbol:         _ZL33flash_attn_stream_k_fixup_generalILi80ELi2ELi1EEvPfPK15HIP_vector_typeIfLj2EEiiiiS1_IjLj3EES5_S5_S5_.kd
    .uniform_work_group_size: 1
    .uses_dynamic_stack: false
    .vgpr_count:     22
    .vgpr_spill_count: 0
    .wavefront_size: 64
  - .agpr_count:     0
    .args:
      - .address_space:  global
        .offset:         0
        .size:           8
        .value_kind:     global_buffer
      - .address_space:  global
        .offset:         8
        .size:           8
        .value_kind:     global_buffer
      - .address_space:  global
        .offset:         16
        .size:           8
        .value_kind:     global_buffer
      - .address_space:  global
        .offset:         24
        .size:           8
        .value_kind:     global_buffer
      - .address_space:  global
        .offset:         32
        .size:           8
        .value_kind:     global_buffer
      - .address_space:  global
        .offset:         40
        .size:           8
        .value_kind:     global_buffer
      - .address_space:  global
        .offset:         48
        .size:           8
        .value_kind:     global_buffer
      - .address_space:  global
        .offset:         56
        .size:           8
        .value_kind:     global_buffer
      - .offset:         64
        .size:           4
        .value_kind:     by_value
      - .offset:         68
        .size:           4
        .value_kind:     by_value
      - .offset:         72
        .size:           4
        .value_kind:     by_value
      - .offset:         76
        .size:           4
        .value_kind:     by_value
      - .offset:         80
        .size:           4
        .value_kind:     by_value
      - .offset:         84
        .size:           4
        .value_kind:     by_value
      - .offset:         88
        .size:           4
        .value_kind:     by_value
      - .offset:         92
        .size:           12
        .value_kind:     by_value
      - .offset:         104
        .size:           4
        .value_kind:     by_value
      - .offset:         108
        .size:           4
        .value_kind:     by_value
      - .offset:         112
        .size:           4
        .value_kind:     by_value
      - .offset:         116
        .size:           4
        .value_kind:     by_value
      - .offset:         120
        .size:           4
        .value_kind:     by_value
      - .offset:         124
        .size:           4
        .value_kind:     by_value
      - .offset:         128
        .size:           4
        .value_kind:     by_value
      - .offset:         132
        .size:           4
        .value_kind:     by_value
      - .offset:         136
        .size:           4
        .value_kind:     by_value
      - .offset:         140
        .size:           4
        .value_kind:     by_value
      - .offset:         144
        .size:           4
        .value_kind:     by_value
      - .offset:         152
        .size:           8
        .value_kind:     by_value
      - .offset:         160
        .size:           4
        .value_kind:     by_value
      - .offset:         164
        .size:           4
        .value_kind:     by_value
      - .offset:         168
        .size:           8
        .value_kind:     by_value
      - .offset:         176
        .size:           4
        .value_kind:     by_value
      - .offset:         180
        .size:           4
        .value_kind:     by_value
      - .offset:         184
        .size:           4
        .value_kind:     by_value
      - .offset:         188
        .size:           4
        .value_kind:     by_value
      - .offset:         192
        .size:           4
        .value_kind:     by_value
      - .offset:         200
        .size:           8
        .value_kind:     by_value
      - .offset:         208
        .size:           4
        .value_kind:     hidden_block_count_x
      - .offset:         212
        .size:           4
        .value_kind:     hidden_block_count_y
      - .offset:         216
        .size:           4
        .value_kind:     hidden_block_count_z
      - .offset:         220
        .size:           2
        .value_kind:     hidden_group_size_x
      - .offset:         222
        .size:           2
        .value_kind:     hidden_group_size_y
      - .offset:         224
        .size:           2
        .value_kind:     hidden_group_size_z
      - .offset:         226
        .size:           2
        .value_kind:     hidden_remainder_x
      - .offset:         228
        .size:           2
        .value_kind:     hidden_remainder_y
      - .offset:         230
        .size:           2
        .value_kind:     hidden_remainder_z
      - .offset:         248
        .size:           8
        .value_kind:     hidden_global_offset_x
      - .offset:         256
        .size:           8
        .value_kind:     hidden_global_offset_y
      - .offset:         264
        .size:           8
        .value_kind:     hidden_global_offset_z
      - .offset:         272
        .size:           2
        .value_kind:     hidden_grid_dims
      - .offset:         288
        .size:           8
        .value_kind:     hidden_hostcall_buffer
    .group_segment_fixed_size: 0
    .kernarg_segment_align: 8
    .kernarg_segment_size: 464
    .language:       OpenCL C
    .language_version:
      - 2
      - 0
    .max_flat_workgroup_size: 256
    .name:           _ZL15flash_attn_tileILi80ELi80ELi8ELi8ELb1EEvPKcS1_S1_S1_S1_PKiPfP15HIP_vector_typeIfLj2EEffffjfiS5_IjLj3EEiiiiiiiiiiiliiliiiiil
    .private_segment_fixed_size: 16
    .sgpr_count:     40
    .sgpr_spill_count: 0
    .symbol:         _ZL15flash_attn_tileILi80ELi80ELi8ELi8ELb1EEvPKcS1_S1_S1_S1_PKiPfP15HIP_vector_typeIfLj2EEffffjfiS5_IjLj3EEiiiiiiiiiiiliiliiiiil.kd
    .uniform_work_group_size: 1
    .uses_dynamic_stack: false
    .vgpr_count:     39
    .vgpr_spill_count: 0
    .wavefront_size: 64
  - .agpr_count:     0
    .args:
      - .address_space:  global
        .offset:         0
        .size:           8
        .value_kind:     global_buffer
      - .address_space:  global
        .offset:         8
        .size:           8
        .value_kind:     global_buffer
      - .address_space:  global
        .offset:         16
        .size:           8
        .value_kind:     global_buffer
      - .address_space:  global
        .offset:         24
        .size:           8
        .value_kind:     global_buffer
      - .address_space:  global
        .offset:         32
        .size:           8
        .value_kind:     global_buffer
      - .address_space:  global
        .offset:         40
        .size:           8
        .value_kind:     global_buffer
      - .address_space:  global
        .offset:         48
        .size:           8
        .value_kind:     global_buffer
      - .address_space:  global
        .offset:         56
        .size:           8
        .value_kind:     global_buffer
      - .offset:         64
        .size:           4
        .value_kind:     by_value
      - .offset:         68
        .size:           4
        .value_kind:     by_value
      - .offset:         72
        .size:           4
        .value_kind:     by_value
      - .offset:         76
        .size:           4
        .value_kind:     by_value
      - .offset:         80
        .size:           4
        .value_kind:     by_value
      - .offset:         84
        .size:           4
        .value_kind:     by_value
      - .offset:         88
        .size:           4
        .value_kind:     by_value
      - .offset:         92
        .size:           12
        .value_kind:     by_value
      - .offset:         104
        .size:           4
        .value_kind:     by_value
      - .offset:         108
        .size:           4
        .value_kind:     by_value
      - .offset:         112
        .size:           4
        .value_kind:     by_value
      - .offset:         116
        .size:           4
        .value_kind:     by_value
      - .offset:         120
        .size:           4
        .value_kind:     by_value
      - .offset:         124
        .size:           4
        .value_kind:     by_value
      - .offset:         128
        .size:           4
        .value_kind:     by_value
      - .offset:         132
        .size:           4
        .value_kind:     by_value
      - .offset:         136
        .size:           4
        .value_kind:     by_value
      - .offset:         140
        .size:           4
        .value_kind:     by_value
      - .offset:         144
        .size:           4
        .value_kind:     by_value
      - .offset:         152
        .size:           8
        .value_kind:     by_value
      - .offset:         160
        .size:           4
        .value_kind:     by_value
      - .offset:         164
        .size:           4
        .value_kind:     by_value
      - .offset:         168
        .size:           8
        .value_kind:     by_value
      - .offset:         176
        .size:           4
        .value_kind:     by_value
      - .offset:         180
        .size:           4
        .value_kind:     by_value
      - .offset:         184
        .size:           4
        .value_kind:     by_value
      - .offset:         188
        .size:           4
        .value_kind:     by_value
      - .offset:         192
        .size:           4
        .value_kind:     by_value
      - .offset:         200
        .size:           8
        .value_kind:     by_value
      - .offset:         208
        .size:           4
        .value_kind:     hidden_block_count_x
      - .offset:         212
        .size:           4
        .value_kind:     hidden_block_count_y
      - .offset:         216
        .size:           4
        .value_kind:     hidden_block_count_z
      - .offset:         220
        .size:           2
        .value_kind:     hidden_group_size_x
      - .offset:         222
        .size:           2
        .value_kind:     hidden_group_size_y
      - .offset:         224
        .size:           2
        .value_kind:     hidden_group_size_z
      - .offset:         226
        .size:           2
        .value_kind:     hidden_remainder_x
      - .offset:         228
        .size:           2
        .value_kind:     hidden_remainder_y
      - .offset:         230
        .size:           2
        .value_kind:     hidden_remainder_z
      - .offset:         248
        .size:           8
        .value_kind:     hidden_global_offset_x
      - .offset:         256
        .size:           8
        .value_kind:     hidden_global_offset_y
      - .offset:         264
        .size:           8
        .value_kind:     hidden_global_offset_z
      - .offset:         272
        .size:           2
        .value_kind:     hidden_grid_dims
      - .offset:         288
        .size:           8
        .value_kind:     hidden_hostcall_buffer
    .group_segment_fixed_size: 0
    .kernarg_segment_align: 8
    .kernarg_segment_size: 464
    .language:       OpenCL C
    .language_version:
      - 2
      - 0
    .max_flat_workgroup_size: 256
    .name:           _ZL15flash_attn_tileILi80ELi80ELi4ELi8ELb1EEvPKcS1_S1_S1_S1_PKiPfP15HIP_vector_typeIfLj2EEffffjfiS5_IjLj3EEiiiiiiiiiiiliiliiiiil
    .private_segment_fixed_size: 16
    .sgpr_count:     40
    .sgpr_spill_count: 0
    .symbol:         _ZL15flash_attn_tileILi80ELi80ELi4ELi8ELb1EEvPKcS1_S1_S1_S1_PKiPfP15HIP_vector_typeIfLj2EEffffjfiS5_IjLj3EEiiiiiiiiiiiliiliiiiil.kd
    .uniform_work_group_size: 1
    .uses_dynamic_stack: false
    .vgpr_count:     39
    .vgpr_spill_count: 0
    .wavefront_size: 64
  - .agpr_count:     0
    .args:
      - .address_space:  global
        .offset:         0
        .size:           8
        .value_kind:     global_buffer
      - .address_space:  global
        .offset:         8
        .size:           8
        .value_kind:     global_buffer
      - .address_space:  global
        .offset:         16
        .size:           8
        .value_kind:     global_buffer
      - .address_space:  global
        .offset:         24
        .size:           8
        .value_kind:     global_buffer
      - .address_space:  global
        .offset:         32
        .size:           8
        .value_kind:     global_buffer
      - .address_space:  global
        .offset:         40
        .size:           8
        .value_kind:     global_buffer
      - .address_space:  global
        .offset:         48
        .size:           8
        .value_kind:     global_buffer
      - .address_space:  global
        .offset:         56
        .size:           8
        .value_kind:     global_buffer
      - .offset:         64
        .size:           4
        .value_kind:     by_value
      - .offset:         68
        .size:           4
        .value_kind:     by_value
      - .offset:         72
        .size:           4
        .value_kind:     by_value
      - .offset:         76
        .size:           4
        .value_kind:     by_value
      - .offset:         80
        .size:           4
        .value_kind:     by_value
      - .offset:         84
        .size:           4
        .value_kind:     by_value
      - .offset:         88
        .size:           4
        .value_kind:     by_value
      - .offset:         92
        .size:           12
        .value_kind:     by_value
      - .offset:         104
        .size:           4
        .value_kind:     by_value
      - .offset:         108
        .size:           4
        .value_kind:     by_value
      - .offset:         112
        .size:           4
        .value_kind:     by_value
      - .offset:         116
        .size:           4
        .value_kind:     by_value
      - .offset:         120
        .size:           4
        .value_kind:     by_value
      - .offset:         124
        .size:           4
        .value_kind:     by_value
      - .offset:         128
        .size:           4
        .value_kind:     by_value
      - .offset:         132
        .size:           4
        .value_kind:     by_value
      - .offset:         136
        .size:           4
        .value_kind:     by_value
      - .offset:         140
        .size:           4
        .value_kind:     by_value
      - .offset:         144
        .size:           4
        .value_kind:     by_value
      - .offset:         152
        .size:           8
        .value_kind:     by_value
      - .offset:         160
        .size:           4
        .value_kind:     by_value
      - .offset:         164
        .size:           4
        .value_kind:     by_value
      - .offset:         168
        .size:           8
        .value_kind:     by_value
      - .offset:         176
        .size:           4
        .value_kind:     by_value
      - .offset:         180
        .size:           4
        .value_kind:     by_value
      - .offset:         184
        .size:           4
        .value_kind:     by_value
      - .offset:         188
        .size:           4
        .value_kind:     by_value
      - .offset:         192
        .size:           4
        .value_kind:     by_value
      - .offset:         200
        .size:           8
        .value_kind:     by_value
      - .offset:         208
        .size:           4
        .value_kind:     hidden_block_count_x
      - .offset:         212
        .size:           4
        .value_kind:     hidden_block_count_y
      - .offset:         216
        .size:           4
        .value_kind:     hidden_block_count_z
      - .offset:         220
        .size:           2
        .value_kind:     hidden_group_size_x
      - .offset:         222
        .size:           2
        .value_kind:     hidden_group_size_y
      - .offset:         224
        .size:           2
        .value_kind:     hidden_group_size_z
      - .offset:         226
        .size:           2
        .value_kind:     hidden_remainder_x
      - .offset:         228
        .size:           2
        .value_kind:     hidden_remainder_y
      - .offset:         230
        .size:           2
        .value_kind:     hidden_remainder_z
      - .offset:         248
        .size:           8
        .value_kind:     hidden_global_offset_x
      - .offset:         256
        .size:           8
        .value_kind:     hidden_global_offset_y
      - .offset:         264
        .size:           8
        .value_kind:     hidden_global_offset_z
      - .offset:         272
        .size:           2
        .value_kind:     hidden_grid_dims
      - .offset:         288
        .size:           8
        .value_kind:     hidden_hostcall_buffer
    .group_segment_fixed_size: 0
    .kernarg_segment_align: 8
    .kernarg_segment_size: 464
    .language:       OpenCL C
    .language_version:
      - 2
      - 0
    .max_flat_workgroup_size: 256
    .name:           _ZL15flash_attn_tileILi80ELi80ELi2ELi8ELb1EEvPKcS1_S1_S1_S1_PKiPfP15HIP_vector_typeIfLj2EEffffjfiS5_IjLj3EEiiiiiiiiiiiliiliiiiil
    .private_segment_fixed_size: 16
    .sgpr_count:     40
    .sgpr_spill_count: 0
    .symbol:         _ZL15flash_attn_tileILi80ELi80ELi2ELi8ELb1EEvPKcS1_S1_S1_S1_PKiPfP15HIP_vector_typeIfLj2EEffffjfiS5_IjLj3EEiiiiiiiiiiiliiliiiiil.kd
    .uniform_work_group_size: 1
    .uses_dynamic_stack: false
    .vgpr_count:     39
    .vgpr_spill_count: 0
    .wavefront_size: 64
  - .agpr_count:     0
    .args:
      - .address_space:  global
        .offset:         0
        .size:           8
        .value_kind:     global_buffer
      - .address_space:  global
        .offset:         8
        .size:           8
        .value_kind:     global_buffer
      - .address_space:  global
        .offset:         16
        .size:           8
        .value_kind:     global_buffer
      - .address_space:  global
        .offset:         24
        .size:           8
        .value_kind:     global_buffer
      - .address_space:  global
        .offset:         32
        .size:           8
        .value_kind:     global_buffer
      - .address_space:  global
        .offset:         40
        .size:           8
        .value_kind:     global_buffer
      - .address_space:  global
        .offset:         48
        .size:           8
        .value_kind:     global_buffer
      - .address_space:  global
        .offset:         56
        .size:           8
        .value_kind:     global_buffer
      - .offset:         64
        .size:           4
        .value_kind:     by_value
      - .offset:         68
        .size:           4
        .value_kind:     by_value
      - .offset:         72
        .size:           4
        .value_kind:     by_value
      - .offset:         76
        .size:           4
        .value_kind:     by_value
      - .offset:         80
        .size:           4
        .value_kind:     by_value
      - .offset:         84
        .size:           4
        .value_kind:     by_value
      - .offset:         88
        .size:           4
        .value_kind:     by_value
      - .offset:         92
        .size:           12
        .value_kind:     by_value
      - .offset:         104
        .size:           4
        .value_kind:     by_value
      - .offset:         108
        .size:           4
        .value_kind:     by_value
      - .offset:         112
        .size:           4
        .value_kind:     by_value
      - .offset:         116
        .size:           4
        .value_kind:     by_value
      - .offset:         120
        .size:           4
        .value_kind:     by_value
      - .offset:         124
        .size:           4
        .value_kind:     by_value
      - .offset:         128
        .size:           4
        .value_kind:     by_value
      - .offset:         132
        .size:           4
        .value_kind:     by_value
      - .offset:         136
        .size:           4
        .value_kind:     by_value
      - .offset:         140
        .size:           4
        .value_kind:     by_value
      - .offset:         144
        .size:           4
        .value_kind:     by_value
      - .offset:         152
        .size:           8
        .value_kind:     by_value
      - .offset:         160
        .size:           4
        .value_kind:     by_value
      - .offset:         164
        .size:           4
        .value_kind:     by_value
      - .offset:         168
        .size:           8
        .value_kind:     by_value
      - .offset:         176
        .size:           4
        .value_kind:     by_value
      - .offset:         180
        .size:           4
        .value_kind:     by_value
      - .offset:         184
        .size:           4
        .value_kind:     by_value
      - .offset:         188
        .size:           4
        .value_kind:     by_value
      - .offset:         192
        .size:           4
        .value_kind:     by_value
      - .offset:         200
        .size:           8
        .value_kind:     by_value
      - .offset:         208
        .size:           4
        .value_kind:     hidden_block_count_x
      - .offset:         212
        .size:           4
        .value_kind:     hidden_block_count_y
      - .offset:         216
        .size:           4
        .value_kind:     hidden_block_count_z
      - .offset:         220
        .size:           2
        .value_kind:     hidden_group_size_x
      - .offset:         222
        .size:           2
        .value_kind:     hidden_group_size_y
      - .offset:         224
        .size:           2
        .value_kind:     hidden_group_size_z
      - .offset:         226
        .size:           2
        .value_kind:     hidden_remainder_x
      - .offset:         228
        .size:           2
        .value_kind:     hidden_remainder_y
      - .offset:         230
        .size:           2
        .value_kind:     hidden_remainder_z
      - .offset:         248
        .size:           8
        .value_kind:     hidden_global_offset_x
      - .offset:         256
        .size:           8
        .value_kind:     hidden_global_offset_y
      - .offset:         264
        .size:           8
        .value_kind:     hidden_global_offset_z
      - .offset:         272
        .size:           2
        .value_kind:     hidden_grid_dims
      - .offset:         288
        .size:           8
        .value_kind:     hidden_hostcall_buffer
    .group_segment_fixed_size: 0
    .kernarg_segment_align: 8
    .kernarg_segment_size: 464
    .language:       OpenCL C
    .language_version:
      - 2
      - 0
    .max_flat_workgroup_size: 256
    .name:           _ZL15flash_attn_tileILi80ELi80ELi1ELi8ELb1EEvPKcS1_S1_S1_S1_PKiPfP15HIP_vector_typeIfLj2EEffffjfiS5_IjLj3EEiiiiiiiiiiiliiliiiiil
    .private_segment_fixed_size: 16
    .sgpr_count:     40
    .sgpr_spill_count: 0
    .symbol:         _ZL15flash_attn_tileILi80ELi80ELi1ELi8ELb1EEvPKcS1_S1_S1_S1_PKiPfP15HIP_vector_typeIfLj2EEffffjfiS5_IjLj3EEiiiiiiiiiiiliiliiiiil.kd
    .uniform_work_group_size: 1
    .uses_dynamic_stack: false
    .vgpr_count:     39
    .vgpr_spill_count: 0
    .wavefront_size: 64
  - .agpr_count:     0
    .args:
      - .address_space:  global
        .offset:         0
        .size:           8
        .value_kind:     global_buffer
      - .address_space:  global
        .offset:         8
        .size:           8
        .value_kind:     global_buffer
      - .address_space:  global
        .offset:         16
        .size:           8
        .value_kind:     global_buffer
      - .address_space:  global
        .offset:         24
        .size:           8
        .value_kind:     global_buffer
      - .address_space:  global
        .offset:         32
        .size:           8
        .value_kind:     global_buffer
      - .address_space:  global
        .offset:         40
        .size:           8
        .value_kind:     global_buffer
      - .address_space:  global
        .offset:         48
        .size:           8
        .value_kind:     global_buffer
      - .address_space:  global
        .offset:         56
        .size:           8
        .value_kind:     global_buffer
      - .offset:         64
        .size:           4
        .value_kind:     by_value
      - .offset:         68
        .size:           4
        .value_kind:     by_value
      - .offset:         72
        .size:           4
        .value_kind:     by_value
      - .offset:         76
        .size:           4
        .value_kind:     by_value
      - .offset:         80
        .size:           4
        .value_kind:     by_value
      - .offset:         84
        .size:           4
        .value_kind:     by_value
      - .offset:         88
        .size:           4
        .value_kind:     by_value
      - .offset:         92
        .size:           12
        .value_kind:     by_value
      - .offset:         104
        .size:           4
        .value_kind:     by_value
      - .offset:         108
        .size:           4
        .value_kind:     by_value
      - .offset:         112
        .size:           4
        .value_kind:     by_value
      - .offset:         116
        .size:           4
        .value_kind:     by_value
      - .offset:         120
        .size:           4
        .value_kind:     by_value
      - .offset:         124
        .size:           4
        .value_kind:     by_value
      - .offset:         128
        .size:           4
        .value_kind:     by_value
      - .offset:         132
        .size:           4
        .value_kind:     by_value
      - .offset:         136
        .size:           4
        .value_kind:     by_value
      - .offset:         140
        .size:           4
        .value_kind:     by_value
      - .offset:         144
        .size:           4
        .value_kind:     by_value
      - .offset:         152
        .size:           8
        .value_kind:     by_value
      - .offset:         160
        .size:           4
        .value_kind:     by_value
      - .offset:         164
        .size:           4
        .value_kind:     by_value
      - .offset:         168
        .size:           8
        .value_kind:     by_value
      - .offset:         176
        .size:           4
        .value_kind:     by_value
      - .offset:         180
        .size:           4
        .value_kind:     by_value
      - .offset:         184
        .size:           4
        .value_kind:     by_value
      - .offset:         188
        .size:           4
        .value_kind:     by_value
      - .offset:         192
        .size:           4
        .value_kind:     by_value
      - .offset:         200
        .size:           8
        .value_kind:     by_value
      - .offset:         208
        .size:           4
        .value_kind:     hidden_block_count_x
      - .offset:         212
        .size:           4
        .value_kind:     hidden_block_count_y
      - .offset:         216
        .size:           4
        .value_kind:     hidden_block_count_z
      - .offset:         220
        .size:           2
        .value_kind:     hidden_group_size_x
      - .offset:         222
        .size:           2
        .value_kind:     hidden_group_size_y
      - .offset:         224
        .size:           2
        .value_kind:     hidden_group_size_z
      - .offset:         226
        .size:           2
        .value_kind:     hidden_remainder_x
      - .offset:         228
        .size:           2
        .value_kind:     hidden_remainder_y
      - .offset:         230
        .size:           2
        .value_kind:     hidden_remainder_z
      - .offset:         248
        .size:           8
        .value_kind:     hidden_global_offset_x
      - .offset:         256
        .size:           8
        .value_kind:     hidden_global_offset_y
      - .offset:         264
        .size:           8
        .value_kind:     hidden_global_offset_z
      - .offset:         272
        .size:           2
        .value_kind:     hidden_grid_dims
      - .offset:         288
        .size:           8
        .value_kind:     hidden_hostcall_buffer
    .group_segment_fixed_size: 0
    .kernarg_segment_align: 8
    .kernarg_segment_size: 464
    .language:       OpenCL C
    .language_version:
      - 2
      - 0
    .max_flat_workgroup_size: 256
    .name:           _ZL15flash_attn_tileILi80ELi80ELi16ELi4ELb1EEvPKcS1_S1_S1_S1_PKiPfP15HIP_vector_typeIfLj2EEffffjfiS5_IjLj3EEiiiiiiiiiiiliiliiiiil
    .private_segment_fixed_size: 16
    .sgpr_count:     40
    .sgpr_spill_count: 0
    .symbol:         _ZL15flash_attn_tileILi80ELi80ELi16ELi4ELb1EEvPKcS1_S1_S1_S1_PKiPfP15HIP_vector_typeIfLj2EEffffjfiS5_IjLj3EEiiiiiiiiiiiliiliiiiil.kd
    .uniform_work_group_size: 1
    .uses_dynamic_stack: false
    .vgpr_count:     39
    .vgpr_spill_count: 0
    .wavefront_size: 64
  - .agpr_count:     0
    .args:
      - .address_space:  global
        .offset:         0
        .size:           8
        .value_kind:     global_buffer
      - .address_space:  global
        .offset:         8
        .size:           8
        .value_kind:     global_buffer
      - .address_space:  global
        .offset:         16
        .size:           8
        .value_kind:     global_buffer
      - .address_space:  global
        .offset:         24
        .size:           8
        .value_kind:     global_buffer
      - .address_space:  global
        .offset:         32
        .size:           8
        .value_kind:     global_buffer
      - .address_space:  global
        .offset:         40
        .size:           8
        .value_kind:     global_buffer
      - .address_space:  global
        .offset:         48
        .size:           8
        .value_kind:     global_buffer
      - .address_space:  global
        .offset:         56
        .size:           8
        .value_kind:     global_buffer
      - .offset:         64
        .size:           4
        .value_kind:     by_value
      - .offset:         68
        .size:           4
        .value_kind:     by_value
      - .offset:         72
        .size:           4
        .value_kind:     by_value
      - .offset:         76
        .size:           4
        .value_kind:     by_value
      - .offset:         80
        .size:           4
        .value_kind:     by_value
      - .offset:         84
        .size:           4
        .value_kind:     by_value
      - .offset:         88
        .size:           4
        .value_kind:     by_value
      - .offset:         92
        .size:           12
        .value_kind:     by_value
      - .offset:         104
        .size:           4
        .value_kind:     by_value
      - .offset:         108
        .size:           4
        .value_kind:     by_value
      - .offset:         112
        .size:           4
        .value_kind:     by_value
      - .offset:         116
        .size:           4
        .value_kind:     by_value
      - .offset:         120
        .size:           4
        .value_kind:     by_value
      - .offset:         124
        .size:           4
        .value_kind:     by_value
      - .offset:         128
        .size:           4
        .value_kind:     by_value
      - .offset:         132
        .size:           4
        .value_kind:     by_value
      - .offset:         136
        .size:           4
        .value_kind:     by_value
      - .offset:         140
        .size:           4
        .value_kind:     by_value
      - .offset:         144
        .size:           4
        .value_kind:     by_value
      - .offset:         152
        .size:           8
        .value_kind:     by_value
      - .offset:         160
        .size:           4
        .value_kind:     by_value
      - .offset:         164
        .size:           4
        .value_kind:     by_value
      - .offset:         168
        .size:           8
        .value_kind:     by_value
      - .offset:         176
        .size:           4
        .value_kind:     by_value
      - .offset:         180
        .size:           4
        .value_kind:     by_value
      - .offset:         184
        .size:           4
        .value_kind:     by_value
      - .offset:         188
        .size:           4
        .value_kind:     by_value
      - .offset:         192
        .size:           4
        .value_kind:     by_value
      - .offset:         200
        .size:           8
        .value_kind:     by_value
      - .offset:         208
        .size:           4
        .value_kind:     hidden_block_count_x
      - .offset:         212
        .size:           4
        .value_kind:     hidden_block_count_y
      - .offset:         216
        .size:           4
        .value_kind:     hidden_block_count_z
      - .offset:         220
        .size:           2
        .value_kind:     hidden_group_size_x
      - .offset:         222
        .size:           2
        .value_kind:     hidden_group_size_y
      - .offset:         224
        .size:           2
        .value_kind:     hidden_group_size_z
      - .offset:         226
        .size:           2
        .value_kind:     hidden_remainder_x
      - .offset:         228
        .size:           2
        .value_kind:     hidden_remainder_y
      - .offset:         230
        .size:           2
        .value_kind:     hidden_remainder_z
      - .offset:         248
        .size:           8
        .value_kind:     hidden_global_offset_x
      - .offset:         256
        .size:           8
        .value_kind:     hidden_global_offset_y
      - .offset:         264
        .size:           8
        .value_kind:     hidden_global_offset_z
      - .offset:         272
        .size:           2
        .value_kind:     hidden_grid_dims
      - .offset:         288
        .size:           8
        .value_kind:     hidden_hostcall_buffer
    .group_segment_fixed_size: 0
    .kernarg_segment_align: 8
    .kernarg_segment_size: 464
    .language:       OpenCL C
    .language_version:
      - 2
      - 0
    .max_flat_workgroup_size: 256
    .name:           _ZL15flash_attn_tileILi80ELi80ELi8ELi4ELb1EEvPKcS1_S1_S1_S1_PKiPfP15HIP_vector_typeIfLj2EEffffjfiS5_IjLj3EEiiiiiiiiiiiliiliiiiil
    .private_segment_fixed_size: 16
    .sgpr_count:     40
    .sgpr_spill_count: 0
    .symbol:         _ZL15flash_attn_tileILi80ELi80ELi8ELi4ELb1EEvPKcS1_S1_S1_S1_PKiPfP15HIP_vector_typeIfLj2EEffffjfiS5_IjLj3EEiiiiiiiiiiiliiliiiiil.kd
    .uniform_work_group_size: 1
    .uses_dynamic_stack: false
    .vgpr_count:     39
    .vgpr_spill_count: 0
    .wavefront_size: 64
  - .agpr_count:     0
    .args:
      - .address_space:  global
        .offset:         0
        .size:           8
        .value_kind:     global_buffer
      - .address_space:  global
        .offset:         8
        .size:           8
        .value_kind:     global_buffer
      - .address_space:  global
        .offset:         16
        .size:           8
        .value_kind:     global_buffer
      - .address_space:  global
        .offset:         24
        .size:           8
        .value_kind:     global_buffer
      - .address_space:  global
        .offset:         32
        .size:           8
        .value_kind:     global_buffer
      - .address_space:  global
        .offset:         40
        .size:           8
        .value_kind:     global_buffer
      - .address_space:  global
        .offset:         48
        .size:           8
        .value_kind:     global_buffer
      - .address_space:  global
        .offset:         56
        .size:           8
        .value_kind:     global_buffer
      - .offset:         64
        .size:           4
        .value_kind:     by_value
      - .offset:         68
        .size:           4
        .value_kind:     by_value
      - .offset:         72
        .size:           4
        .value_kind:     by_value
      - .offset:         76
        .size:           4
        .value_kind:     by_value
      - .offset:         80
        .size:           4
        .value_kind:     by_value
      - .offset:         84
        .size:           4
        .value_kind:     by_value
      - .offset:         88
        .size:           4
        .value_kind:     by_value
      - .offset:         92
        .size:           12
        .value_kind:     by_value
      - .offset:         104
        .size:           4
        .value_kind:     by_value
      - .offset:         108
        .size:           4
        .value_kind:     by_value
      - .offset:         112
        .size:           4
        .value_kind:     by_value
      - .offset:         116
        .size:           4
        .value_kind:     by_value
      - .offset:         120
        .size:           4
        .value_kind:     by_value
      - .offset:         124
        .size:           4
        .value_kind:     by_value
      - .offset:         128
        .size:           4
        .value_kind:     by_value
      - .offset:         132
        .size:           4
        .value_kind:     by_value
      - .offset:         136
        .size:           4
        .value_kind:     by_value
      - .offset:         140
        .size:           4
        .value_kind:     by_value
      - .offset:         144
        .size:           4
        .value_kind:     by_value
      - .offset:         152
        .size:           8
        .value_kind:     by_value
      - .offset:         160
        .size:           4
        .value_kind:     by_value
      - .offset:         164
        .size:           4
        .value_kind:     by_value
      - .offset:         168
        .size:           8
        .value_kind:     by_value
      - .offset:         176
        .size:           4
        .value_kind:     by_value
      - .offset:         180
        .size:           4
        .value_kind:     by_value
      - .offset:         184
        .size:           4
        .value_kind:     by_value
      - .offset:         188
        .size:           4
        .value_kind:     by_value
      - .offset:         192
        .size:           4
        .value_kind:     by_value
      - .offset:         200
        .size:           8
        .value_kind:     by_value
      - .offset:         208
        .size:           4
        .value_kind:     hidden_block_count_x
      - .offset:         212
        .size:           4
        .value_kind:     hidden_block_count_y
      - .offset:         216
        .size:           4
        .value_kind:     hidden_block_count_z
      - .offset:         220
        .size:           2
        .value_kind:     hidden_group_size_x
      - .offset:         222
        .size:           2
        .value_kind:     hidden_group_size_y
      - .offset:         224
        .size:           2
        .value_kind:     hidden_group_size_z
      - .offset:         226
        .size:           2
        .value_kind:     hidden_remainder_x
      - .offset:         228
        .size:           2
        .value_kind:     hidden_remainder_y
      - .offset:         230
        .size:           2
        .value_kind:     hidden_remainder_z
      - .offset:         248
        .size:           8
        .value_kind:     hidden_global_offset_x
      - .offset:         256
        .size:           8
        .value_kind:     hidden_global_offset_y
      - .offset:         264
        .size:           8
        .value_kind:     hidden_global_offset_z
      - .offset:         272
        .size:           2
        .value_kind:     hidden_grid_dims
      - .offset:         288
        .size:           8
        .value_kind:     hidden_hostcall_buffer
    .group_segment_fixed_size: 0
    .kernarg_segment_align: 8
    .kernarg_segment_size: 464
    .language:       OpenCL C
    .language_version:
      - 2
      - 0
    .max_flat_workgroup_size: 256
    .name:           _ZL15flash_attn_tileILi80ELi80ELi4ELi4ELb1EEvPKcS1_S1_S1_S1_PKiPfP15HIP_vector_typeIfLj2EEffffjfiS5_IjLj3EEiiiiiiiiiiiliiliiiiil
    .private_segment_fixed_size: 16
    .sgpr_count:     40
    .sgpr_spill_count: 0
    .symbol:         _ZL15flash_attn_tileILi80ELi80ELi4ELi4ELb1EEvPKcS1_S1_S1_S1_PKiPfP15HIP_vector_typeIfLj2EEffffjfiS5_IjLj3EEiiiiiiiiiiiliiliiiiil.kd
    .uniform_work_group_size: 1
    .uses_dynamic_stack: false
    .vgpr_count:     39
    .vgpr_spill_count: 0
    .wavefront_size: 64
  - .agpr_count:     0
    .args:
      - .address_space:  global
        .offset:         0
        .size:           8
        .value_kind:     global_buffer
      - .address_space:  global
        .offset:         8
        .size:           8
        .value_kind:     global_buffer
      - .address_space:  global
        .offset:         16
        .size:           8
        .value_kind:     global_buffer
      - .address_space:  global
        .offset:         24
        .size:           8
        .value_kind:     global_buffer
      - .address_space:  global
        .offset:         32
        .size:           8
        .value_kind:     global_buffer
      - .address_space:  global
        .offset:         40
        .size:           8
        .value_kind:     global_buffer
      - .address_space:  global
        .offset:         48
        .size:           8
        .value_kind:     global_buffer
      - .address_space:  global
        .offset:         56
        .size:           8
        .value_kind:     global_buffer
      - .offset:         64
        .size:           4
        .value_kind:     by_value
      - .offset:         68
        .size:           4
        .value_kind:     by_value
      - .offset:         72
        .size:           4
        .value_kind:     by_value
      - .offset:         76
        .size:           4
        .value_kind:     by_value
      - .offset:         80
        .size:           4
        .value_kind:     by_value
      - .offset:         84
        .size:           4
        .value_kind:     by_value
      - .offset:         88
        .size:           4
        .value_kind:     by_value
      - .offset:         92
        .size:           12
        .value_kind:     by_value
      - .offset:         104
        .size:           4
        .value_kind:     by_value
      - .offset:         108
        .size:           4
        .value_kind:     by_value
      - .offset:         112
        .size:           4
        .value_kind:     by_value
      - .offset:         116
        .size:           4
        .value_kind:     by_value
      - .offset:         120
        .size:           4
        .value_kind:     by_value
      - .offset:         124
        .size:           4
        .value_kind:     by_value
      - .offset:         128
        .size:           4
        .value_kind:     by_value
      - .offset:         132
        .size:           4
        .value_kind:     by_value
      - .offset:         136
        .size:           4
        .value_kind:     by_value
      - .offset:         140
        .size:           4
        .value_kind:     by_value
      - .offset:         144
        .size:           4
        .value_kind:     by_value
      - .offset:         152
        .size:           8
        .value_kind:     by_value
      - .offset:         160
        .size:           4
        .value_kind:     by_value
      - .offset:         164
        .size:           4
        .value_kind:     by_value
      - .offset:         168
        .size:           8
        .value_kind:     by_value
      - .offset:         176
        .size:           4
        .value_kind:     by_value
      - .offset:         180
        .size:           4
        .value_kind:     by_value
      - .offset:         184
        .size:           4
        .value_kind:     by_value
      - .offset:         188
        .size:           4
        .value_kind:     by_value
      - .offset:         192
        .size:           4
        .value_kind:     by_value
      - .offset:         200
        .size:           8
        .value_kind:     by_value
      - .offset:         208
        .size:           4
        .value_kind:     hidden_block_count_x
      - .offset:         212
        .size:           4
        .value_kind:     hidden_block_count_y
      - .offset:         216
        .size:           4
        .value_kind:     hidden_block_count_z
      - .offset:         220
        .size:           2
        .value_kind:     hidden_group_size_x
      - .offset:         222
        .size:           2
        .value_kind:     hidden_group_size_y
      - .offset:         224
        .size:           2
        .value_kind:     hidden_group_size_z
      - .offset:         226
        .size:           2
        .value_kind:     hidden_remainder_x
      - .offset:         228
        .size:           2
        .value_kind:     hidden_remainder_y
      - .offset:         230
        .size:           2
        .value_kind:     hidden_remainder_z
      - .offset:         248
        .size:           8
        .value_kind:     hidden_global_offset_x
      - .offset:         256
        .size:           8
        .value_kind:     hidden_global_offset_y
      - .offset:         264
        .size:           8
        .value_kind:     hidden_global_offset_z
      - .offset:         272
        .size:           2
        .value_kind:     hidden_grid_dims
      - .offset:         288
        .size:           8
        .value_kind:     hidden_hostcall_buffer
    .group_segment_fixed_size: 0
    .kernarg_segment_align: 8
    .kernarg_segment_size: 464
    .language:       OpenCL C
    .language_version:
      - 2
      - 0
    .max_flat_workgroup_size: 256
    .name:           _ZL15flash_attn_tileILi80ELi80ELi2ELi4ELb1EEvPKcS1_S1_S1_S1_PKiPfP15HIP_vector_typeIfLj2EEffffjfiS5_IjLj3EEiiiiiiiiiiiliiliiiiil
    .private_segment_fixed_size: 16
    .sgpr_count:     40
    .sgpr_spill_count: 0
    .symbol:         _ZL15flash_attn_tileILi80ELi80ELi2ELi4ELb1EEvPKcS1_S1_S1_S1_PKiPfP15HIP_vector_typeIfLj2EEffffjfiS5_IjLj3EEiiiiiiiiiiiliiliiiiil.kd
    .uniform_work_group_size: 1
    .uses_dynamic_stack: false
    .vgpr_count:     39
    .vgpr_spill_count: 0
    .wavefront_size: 64
  - .agpr_count:     0
    .args:
      - .address_space:  global
        .offset:         0
        .size:           8
        .value_kind:     global_buffer
      - .address_space:  global
        .offset:         8
        .size:           8
        .value_kind:     global_buffer
      - .address_space:  global
        .offset:         16
        .size:           8
        .value_kind:     global_buffer
      - .address_space:  global
        .offset:         24
        .size:           8
        .value_kind:     global_buffer
      - .address_space:  global
        .offset:         32
        .size:           8
        .value_kind:     global_buffer
      - .address_space:  global
        .offset:         40
        .size:           8
        .value_kind:     global_buffer
      - .address_space:  global
        .offset:         48
        .size:           8
        .value_kind:     global_buffer
      - .address_space:  global
        .offset:         56
        .size:           8
        .value_kind:     global_buffer
      - .offset:         64
        .size:           4
        .value_kind:     by_value
      - .offset:         68
        .size:           4
        .value_kind:     by_value
      - .offset:         72
        .size:           4
        .value_kind:     by_value
      - .offset:         76
        .size:           4
        .value_kind:     by_value
      - .offset:         80
        .size:           4
        .value_kind:     by_value
      - .offset:         84
        .size:           4
        .value_kind:     by_value
      - .offset:         88
        .size:           4
        .value_kind:     by_value
      - .offset:         92
        .size:           12
        .value_kind:     by_value
      - .offset:         104
        .size:           4
        .value_kind:     by_value
      - .offset:         108
        .size:           4
        .value_kind:     by_value
      - .offset:         112
        .size:           4
        .value_kind:     by_value
      - .offset:         116
        .size:           4
        .value_kind:     by_value
      - .offset:         120
        .size:           4
        .value_kind:     by_value
      - .offset:         124
        .size:           4
        .value_kind:     by_value
      - .offset:         128
        .size:           4
        .value_kind:     by_value
      - .offset:         132
        .size:           4
        .value_kind:     by_value
      - .offset:         136
        .size:           4
        .value_kind:     by_value
      - .offset:         140
        .size:           4
        .value_kind:     by_value
      - .offset:         144
        .size:           4
        .value_kind:     by_value
      - .offset:         152
        .size:           8
        .value_kind:     by_value
      - .offset:         160
        .size:           4
        .value_kind:     by_value
      - .offset:         164
        .size:           4
        .value_kind:     by_value
      - .offset:         168
        .size:           8
        .value_kind:     by_value
      - .offset:         176
        .size:           4
        .value_kind:     by_value
      - .offset:         180
        .size:           4
        .value_kind:     by_value
      - .offset:         184
        .size:           4
        .value_kind:     by_value
      - .offset:         188
        .size:           4
        .value_kind:     by_value
      - .offset:         192
        .size:           4
        .value_kind:     by_value
      - .offset:         200
        .size:           8
        .value_kind:     by_value
      - .offset:         208
        .size:           4
        .value_kind:     hidden_block_count_x
      - .offset:         212
        .size:           4
        .value_kind:     hidden_block_count_y
      - .offset:         216
        .size:           4
        .value_kind:     hidden_block_count_z
      - .offset:         220
        .size:           2
        .value_kind:     hidden_group_size_x
      - .offset:         222
        .size:           2
        .value_kind:     hidden_group_size_y
      - .offset:         224
        .size:           2
        .value_kind:     hidden_group_size_z
      - .offset:         226
        .size:           2
        .value_kind:     hidden_remainder_x
      - .offset:         228
        .size:           2
        .value_kind:     hidden_remainder_y
      - .offset:         230
        .size:           2
        .value_kind:     hidden_remainder_z
      - .offset:         248
        .size:           8
        .value_kind:     hidden_global_offset_x
      - .offset:         256
        .size:           8
        .value_kind:     hidden_global_offset_y
      - .offset:         264
        .size:           8
        .value_kind:     hidden_global_offset_z
      - .offset:         272
        .size:           2
        .value_kind:     hidden_grid_dims
      - .offset:         288
        .size:           8
        .value_kind:     hidden_hostcall_buffer
    .group_segment_fixed_size: 0
    .kernarg_segment_align: 8
    .kernarg_segment_size: 464
    .language:       OpenCL C
    .language_version:
      - 2
      - 0
    .max_flat_workgroup_size: 128
    .name:           _ZL15flash_attn_tileILi80ELi80ELi1ELi4ELb1EEvPKcS1_S1_S1_S1_PKiPfP15HIP_vector_typeIfLj2EEffffjfiS5_IjLj3EEiiiiiiiiiiiliiliiiiil
    .private_segment_fixed_size: 16
    .sgpr_count:     40
    .sgpr_spill_count: 0
    .symbol:         _ZL15flash_attn_tileILi80ELi80ELi1ELi4ELb1EEvPKcS1_S1_S1_S1_PKiPfP15HIP_vector_typeIfLj2EEffffjfiS5_IjLj3EEiiiiiiiiiiiliiliiiiil.kd
    .uniform_work_group_size: 1
    .uses_dynamic_stack: false
    .vgpr_count:     39
    .vgpr_spill_count: 0
    .wavefront_size: 64
  - .agpr_count:     0
    .args:
      - .address_space:  global
        .offset:         0
        .size:           8
        .value_kind:     global_buffer
      - .address_space:  global
        .offset:         8
        .size:           8
        .value_kind:     global_buffer
      - .address_space:  global
        .offset:         16
        .size:           8
        .value_kind:     global_buffer
      - .address_space:  global
        .offset:         24
        .size:           8
        .value_kind:     global_buffer
      - .address_space:  global
        .offset:         32
        .size:           8
        .value_kind:     global_buffer
      - .address_space:  global
        .offset:         40
        .size:           8
        .value_kind:     global_buffer
      - .address_space:  global
        .offset:         48
        .size:           8
        .value_kind:     global_buffer
      - .address_space:  global
        .offset:         56
        .size:           8
        .value_kind:     global_buffer
      - .offset:         64
        .size:           4
        .value_kind:     by_value
      - .offset:         68
        .size:           4
        .value_kind:     by_value
      - .offset:         72
        .size:           4
        .value_kind:     by_value
      - .offset:         76
        .size:           4
        .value_kind:     by_value
      - .offset:         80
        .size:           4
        .value_kind:     by_value
      - .offset:         84
        .size:           4
        .value_kind:     by_value
      - .offset:         88
        .size:           4
        .value_kind:     by_value
      - .offset:         92
        .size:           12
        .value_kind:     by_value
      - .offset:         104
        .size:           4
        .value_kind:     by_value
      - .offset:         108
        .size:           4
        .value_kind:     by_value
      - .offset:         112
        .size:           4
        .value_kind:     by_value
      - .offset:         116
        .size:           4
        .value_kind:     by_value
      - .offset:         120
        .size:           4
        .value_kind:     by_value
      - .offset:         124
        .size:           4
        .value_kind:     by_value
      - .offset:         128
        .size:           4
        .value_kind:     by_value
      - .offset:         132
        .size:           4
        .value_kind:     by_value
      - .offset:         136
        .size:           4
        .value_kind:     by_value
      - .offset:         140
        .size:           4
        .value_kind:     by_value
      - .offset:         144
        .size:           4
        .value_kind:     by_value
      - .offset:         152
        .size:           8
        .value_kind:     by_value
      - .offset:         160
        .size:           4
        .value_kind:     by_value
      - .offset:         164
        .size:           4
        .value_kind:     by_value
      - .offset:         168
        .size:           8
        .value_kind:     by_value
      - .offset:         176
        .size:           4
        .value_kind:     by_value
      - .offset:         180
        .size:           4
        .value_kind:     by_value
      - .offset:         184
        .size:           4
        .value_kind:     by_value
      - .offset:         188
        .size:           4
        .value_kind:     by_value
      - .offset:         192
        .size:           4
        .value_kind:     by_value
      - .offset:         200
        .size:           8
        .value_kind:     by_value
      - .offset:         208
        .size:           4
        .value_kind:     hidden_block_count_x
      - .offset:         212
        .size:           4
        .value_kind:     hidden_block_count_y
      - .offset:         216
        .size:           4
        .value_kind:     hidden_block_count_z
      - .offset:         220
        .size:           2
        .value_kind:     hidden_group_size_x
      - .offset:         222
        .size:           2
        .value_kind:     hidden_group_size_y
      - .offset:         224
        .size:           2
        .value_kind:     hidden_group_size_z
      - .offset:         226
        .size:           2
        .value_kind:     hidden_remainder_x
      - .offset:         228
        .size:           2
        .value_kind:     hidden_remainder_y
      - .offset:         230
        .size:           2
        .value_kind:     hidden_remainder_z
      - .offset:         248
        .size:           8
        .value_kind:     hidden_global_offset_x
      - .offset:         256
        .size:           8
        .value_kind:     hidden_global_offset_y
      - .offset:         264
        .size:           8
        .value_kind:     hidden_global_offset_z
      - .offset:         272
        .size:           2
        .value_kind:     hidden_grid_dims
      - .offset:         288
        .size:           8
        .value_kind:     hidden_hostcall_buffer
    .group_segment_fixed_size: 0
    .kernarg_segment_align: 8
    .kernarg_segment_size: 464
    .language:       OpenCL C
    .language_version:
      - 2
      - 0
    .max_flat_workgroup_size: 256
    .name:           _ZL15flash_attn_tileILi80ELi80ELi32ELi2ELb1EEvPKcS1_S1_S1_S1_PKiPfP15HIP_vector_typeIfLj2EEffffjfiS5_IjLj3EEiiiiiiiiiiiliiliiiiil
    .private_segment_fixed_size: 16
    .sgpr_count:     40
    .sgpr_spill_count: 0
    .symbol:         _ZL15flash_attn_tileILi80ELi80ELi32ELi2ELb1EEvPKcS1_S1_S1_S1_PKiPfP15HIP_vector_typeIfLj2EEffffjfiS5_IjLj3EEiiiiiiiiiiiliiliiiiil.kd
    .uniform_work_group_size: 1
    .uses_dynamic_stack: false
    .vgpr_count:     39
    .vgpr_spill_count: 0
    .wavefront_size: 64
  - .agpr_count:     0
    .args:
      - .address_space:  global
        .offset:         0
        .size:           8
        .value_kind:     global_buffer
      - .address_space:  global
        .offset:         8
        .size:           8
        .value_kind:     global_buffer
      - .address_space:  global
        .offset:         16
        .size:           8
        .value_kind:     global_buffer
      - .address_space:  global
        .offset:         24
        .size:           8
        .value_kind:     global_buffer
      - .address_space:  global
        .offset:         32
        .size:           8
        .value_kind:     global_buffer
      - .address_space:  global
        .offset:         40
        .size:           8
        .value_kind:     global_buffer
      - .address_space:  global
        .offset:         48
        .size:           8
        .value_kind:     global_buffer
      - .address_space:  global
        .offset:         56
        .size:           8
        .value_kind:     global_buffer
      - .offset:         64
        .size:           4
        .value_kind:     by_value
      - .offset:         68
        .size:           4
        .value_kind:     by_value
      - .offset:         72
        .size:           4
        .value_kind:     by_value
      - .offset:         76
        .size:           4
        .value_kind:     by_value
      - .offset:         80
        .size:           4
        .value_kind:     by_value
      - .offset:         84
        .size:           4
        .value_kind:     by_value
      - .offset:         88
        .size:           4
        .value_kind:     by_value
      - .offset:         92
        .size:           12
        .value_kind:     by_value
      - .offset:         104
        .size:           4
        .value_kind:     by_value
      - .offset:         108
        .size:           4
        .value_kind:     by_value
      - .offset:         112
        .size:           4
        .value_kind:     by_value
      - .offset:         116
        .size:           4
        .value_kind:     by_value
      - .offset:         120
        .size:           4
        .value_kind:     by_value
      - .offset:         124
        .size:           4
        .value_kind:     by_value
      - .offset:         128
        .size:           4
        .value_kind:     by_value
      - .offset:         132
        .size:           4
        .value_kind:     by_value
      - .offset:         136
        .size:           4
        .value_kind:     by_value
      - .offset:         140
        .size:           4
        .value_kind:     by_value
      - .offset:         144
        .size:           4
        .value_kind:     by_value
      - .offset:         152
        .size:           8
        .value_kind:     by_value
      - .offset:         160
        .size:           4
        .value_kind:     by_value
      - .offset:         164
        .size:           4
        .value_kind:     by_value
      - .offset:         168
        .size:           8
        .value_kind:     by_value
      - .offset:         176
        .size:           4
        .value_kind:     by_value
      - .offset:         180
        .size:           4
        .value_kind:     by_value
      - .offset:         184
        .size:           4
        .value_kind:     by_value
      - .offset:         188
        .size:           4
        .value_kind:     by_value
      - .offset:         192
        .size:           4
        .value_kind:     by_value
      - .offset:         200
        .size:           8
        .value_kind:     by_value
      - .offset:         208
        .size:           4
        .value_kind:     hidden_block_count_x
      - .offset:         212
        .size:           4
        .value_kind:     hidden_block_count_y
      - .offset:         216
        .size:           4
        .value_kind:     hidden_block_count_z
      - .offset:         220
        .size:           2
        .value_kind:     hidden_group_size_x
      - .offset:         222
        .size:           2
        .value_kind:     hidden_group_size_y
      - .offset:         224
        .size:           2
        .value_kind:     hidden_group_size_z
      - .offset:         226
        .size:           2
        .value_kind:     hidden_remainder_x
      - .offset:         228
        .size:           2
        .value_kind:     hidden_remainder_y
      - .offset:         230
        .size:           2
        .value_kind:     hidden_remainder_z
      - .offset:         248
        .size:           8
        .value_kind:     hidden_global_offset_x
      - .offset:         256
        .size:           8
        .value_kind:     hidden_global_offset_y
      - .offset:         264
        .size:           8
        .value_kind:     hidden_global_offset_z
      - .offset:         272
        .size:           2
        .value_kind:     hidden_grid_dims
      - .offset:         288
        .size:           8
        .value_kind:     hidden_hostcall_buffer
    .group_segment_fixed_size: 0
    .kernarg_segment_align: 8
    .kernarg_segment_size: 464
    .language:       OpenCL C
    .language_version:
      - 2
      - 0
    .max_flat_workgroup_size: 256
    .name:           _ZL15flash_attn_tileILi80ELi80ELi16ELi2ELb1EEvPKcS1_S1_S1_S1_PKiPfP15HIP_vector_typeIfLj2EEffffjfiS5_IjLj3EEiiiiiiiiiiiliiliiiiil
    .private_segment_fixed_size: 16
    .sgpr_count:     40
    .sgpr_spill_count: 0
    .symbol:         _ZL15flash_attn_tileILi80ELi80ELi16ELi2ELb1EEvPKcS1_S1_S1_S1_PKiPfP15HIP_vector_typeIfLj2EEffffjfiS5_IjLj3EEiiiiiiiiiiiliiliiiiil.kd
    .uniform_work_group_size: 1
    .uses_dynamic_stack: false
    .vgpr_count:     39
    .vgpr_spill_count: 0
    .wavefront_size: 64
  - .agpr_count:     0
    .args:
      - .address_space:  global
        .offset:         0
        .size:           8
        .value_kind:     global_buffer
      - .address_space:  global
        .offset:         8
        .size:           8
        .value_kind:     global_buffer
      - .address_space:  global
        .offset:         16
        .size:           8
        .value_kind:     global_buffer
      - .address_space:  global
        .offset:         24
        .size:           8
        .value_kind:     global_buffer
      - .address_space:  global
        .offset:         32
        .size:           8
        .value_kind:     global_buffer
      - .address_space:  global
        .offset:         40
        .size:           8
        .value_kind:     global_buffer
      - .address_space:  global
        .offset:         48
        .size:           8
        .value_kind:     global_buffer
      - .address_space:  global
        .offset:         56
        .size:           8
        .value_kind:     global_buffer
      - .offset:         64
        .size:           4
        .value_kind:     by_value
      - .offset:         68
        .size:           4
        .value_kind:     by_value
      - .offset:         72
        .size:           4
        .value_kind:     by_value
      - .offset:         76
        .size:           4
        .value_kind:     by_value
      - .offset:         80
        .size:           4
        .value_kind:     by_value
      - .offset:         84
        .size:           4
        .value_kind:     by_value
      - .offset:         88
        .size:           4
        .value_kind:     by_value
      - .offset:         92
        .size:           12
        .value_kind:     by_value
      - .offset:         104
        .size:           4
        .value_kind:     by_value
      - .offset:         108
        .size:           4
        .value_kind:     by_value
      - .offset:         112
        .size:           4
        .value_kind:     by_value
      - .offset:         116
        .size:           4
        .value_kind:     by_value
      - .offset:         120
        .size:           4
        .value_kind:     by_value
      - .offset:         124
        .size:           4
        .value_kind:     by_value
      - .offset:         128
        .size:           4
        .value_kind:     by_value
      - .offset:         132
        .size:           4
        .value_kind:     by_value
      - .offset:         136
        .size:           4
        .value_kind:     by_value
      - .offset:         140
        .size:           4
        .value_kind:     by_value
      - .offset:         144
        .size:           4
        .value_kind:     by_value
      - .offset:         152
        .size:           8
        .value_kind:     by_value
      - .offset:         160
        .size:           4
        .value_kind:     by_value
      - .offset:         164
        .size:           4
        .value_kind:     by_value
      - .offset:         168
        .size:           8
        .value_kind:     by_value
      - .offset:         176
        .size:           4
        .value_kind:     by_value
      - .offset:         180
        .size:           4
        .value_kind:     by_value
      - .offset:         184
        .size:           4
        .value_kind:     by_value
      - .offset:         188
        .size:           4
        .value_kind:     by_value
      - .offset:         192
        .size:           4
        .value_kind:     by_value
      - .offset:         200
        .size:           8
        .value_kind:     by_value
      - .offset:         208
        .size:           4
        .value_kind:     hidden_block_count_x
      - .offset:         212
        .size:           4
        .value_kind:     hidden_block_count_y
      - .offset:         216
        .size:           4
        .value_kind:     hidden_block_count_z
      - .offset:         220
        .size:           2
        .value_kind:     hidden_group_size_x
      - .offset:         222
        .size:           2
        .value_kind:     hidden_group_size_y
      - .offset:         224
        .size:           2
        .value_kind:     hidden_group_size_z
      - .offset:         226
        .size:           2
        .value_kind:     hidden_remainder_x
      - .offset:         228
        .size:           2
        .value_kind:     hidden_remainder_y
      - .offset:         230
        .size:           2
        .value_kind:     hidden_remainder_z
      - .offset:         248
        .size:           8
        .value_kind:     hidden_global_offset_x
      - .offset:         256
        .size:           8
        .value_kind:     hidden_global_offset_y
      - .offset:         264
        .size:           8
        .value_kind:     hidden_global_offset_z
      - .offset:         272
        .size:           2
        .value_kind:     hidden_grid_dims
      - .offset:         288
        .size:           8
        .value_kind:     hidden_hostcall_buffer
    .group_segment_fixed_size: 0
    .kernarg_segment_align: 8
    .kernarg_segment_size: 464
    .language:       OpenCL C
    .language_version:
      - 2
      - 0
    .max_flat_workgroup_size: 256
    .name:           _ZL15flash_attn_tileILi80ELi80ELi8ELi2ELb1EEvPKcS1_S1_S1_S1_PKiPfP15HIP_vector_typeIfLj2EEffffjfiS5_IjLj3EEiiiiiiiiiiiliiliiiiil
    .private_segment_fixed_size: 16
    .sgpr_count:     40
    .sgpr_spill_count: 0
    .symbol:         _ZL15flash_attn_tileILi80ELi80ELi8ELi2ELb1EEvPKcS1_S1_S1_S1_PKiPfP15HIP_vector_typeIfLj2EEffffjfiS5_IjLj3EEiiiiiiiiiiiliiliiiiil.kd
    .uniform_work_group_size: 1
    .uses_dynamic_stack: false
    .vgpr_count:     39
    .vgpr_spill_count: 0
    .wavefront_size: 64
  - .agpr_count:     0
    .args:
      - .address_space:  global
        .offset:         0
        .size:           8
        .value_kind:     global_buffer
      - .address_space:  global
        .offset:         8
        .size:           8
        .value_kind:     global_buffer
      - .address_space:  global
        .offset:         16
        .size:           8
        .value_kind:     global_buffer
      - .address_space:  global
        .offset:         24
        .size:           8
        .value_kind:     global_buffer
      - .address_space:  global
        .offset:         32
        .size:           8
        .value_kind:     global_buffer
      - .address_space:  global
        .offset:         40
        .size:           8
        .value_kind:     global_buffer
      - .address_space:  global
        .offset:         48
        .size:           8
        .value_kind:     global_buffer
      - .address_space:  global
        .offset:         56
        .size:           8
        .value_kind:     global_buffer
      - .offset:         64
        .size:           4
        .value_kind:     by_value
      - .offset:         68
        .size:           4
        .value_kind:     by_value
      - .offset:         72
        .size:           4
        .value_kind:     by_value
      - .offset:         76
        .size:           4
        .value_kind:     by_value
      - .offset:         80
        .size:           4
        .value_kind:     by_value
      - .offset:         84
        .size:           4
        .value_kind:     by_value
      - .offset:         88
        .size:           4
        .value_kind:     by_value
      - .offset:         92
        .size:           12
        .value_kind:     by_value
      - .offset:         104
        .size:           4
        .value_kind:     by_value
      - .offset:         108
        .size:           4
        .value_kind:     by_value
      - .offset:         112
        .size:           4
        .value_kind:     by_value
      - .offset:         116
        .size:           4
        .value_kind:     by_value
      - .offset:         120
        .size:           4
        .value_kind:     by_value
      - .offset:         124
        .size:           4
        .value_kind:     by_value
      - .offset:         128
        .size:           4
        .value_kind:     by_value
      - .offset:         132
        .size:           4
        .value_kind:     by_value
      - .offset:         136
        .size:           4
        .value_kind:     by_value
      - .offset:         140
        .size:           4
        .value_kind:     by_value
      - .offset:         144
        .size:           4
        .value_kind:     by_value
      - .offset:         152
        .size:           8
        .value_kind:     by_value
      - .offset:         160
        .size:           4
        .value_kind:     by_value
      - .offset:         164
        .size:           4
        .value_kind:     by_value
      - .offset:         168
        .size:           8
        .value_kind:     by_value
      - .offset:         176
        .size:           4
        .value_kind:     by_value
      - .offset:         180
        .size:           4
        .value_kind:     by_value
      - .offset:         184
        .size:           4
        .value_kind:     by_value
      - .offset:         188
        .size:           4
        .value_kind:     by_value
      - .offset:         192
        .size:           4
        .value_kind:     by_value
      - .offset:         200
        .size:           8
        .value_kind:     by_value
      - .offset:         208
        .size:           4
        .value_kind:     hidden_block_count_x
      - .offset:         212
        .size:           4
        .value_kind:     hidden_block_count_y
      - .offset:         216
        .size:           4
        .value_kind:     hidden_block_count_z
      - .offset:         220
        .size:           2
        .value_kind:     hidden_group_size_x
      - .offset:         222
        .size:           2
        .value_kind:     hidden_group_size_y
      - .offset:         224
        .size:           2
        .value_kind:     hidden_group_size_z
      - .offset:         226
        .size:           2
        .value_kind:     hidden_remainder_x
      - .offset:         228
        .size:           2
        .value_kind:     hidden_remainder_y
      - .offset:         230
        .size:           2
        .value_kind:     hidden_remainder_z
      - .offset:         248
        .size:           8
        .value_kind:     hidden_global_offset_x
      - .offset:         256
        .size:           8
        .value_kind:     hidden_global_offset_y
      - .offset:         264
        .size:           8
        .value_kind:     hidden_global_offset_z
      - .offset:         272
        .size:           2
        .value_kind:     hidden_grid_dims
      - .offset:         288
        .size:           8
        .value_kind:     hidden_hostcall_buffer
    .group_segment_fixed_size: 0
    .kernarg_segment_align: 8
    .kernarg_segment_size: 464
    .language:       OpenCL C
    .language_version:
      - 2
      - 0
    .max_flat_workgroup_size: 256
    .name:           _ZL15flash_attn_tileILi80ELi80ELi4ELi2ELb1EEvPKcS1_S1_S1_S1_PKiPfP15HIP_vector_typeIfLj2EEffffjfiS5_IjLj3EEiiiiiiiiiiiliiliiiiil
    .private_segment_fixed_size: 16
    .sgpr_count:     40
    .sgpr_spill_count: 0
    .symbol:         _ZL15flash_attn_tileILi80ELi80ELi4ELi2ELb1EEvPKcS1_S1_S1_S1_PKiPfP15HIP_vector_typeIfLj2EEffffjfiS5_IjLj3EEiiiiiiiiiiiliiliiiiil.kd
    .uniform_work_group_size: 1
    .uses_dynamic_stack: false
    .vgpr_count:     39
    .vgpr_spill_count: 0
    .wavefront_size: 64
  - .agpr_count:     0
    .args:
      - .address_space:  global
        .offset:         0
        .size:           8
        .value_kind:     global_buffer
      - .address_space:  global
        .offset:         8
        .size:           8
        .value_kind:     global_buffer
      - .address_space:  global
        .offset:         16
        .size:           8
        .value_kind:     global_buffer
      - .address_space:  global
        .offset:         24
        .size:           8
        .value_kind:     global_buffer
      - .address_space:  global
        .offset:         32
        .size:           8
        .value_kind:     global_buffer
      - .address_space:  global
        .offset:         40
        .size:           8
        .value_kind:     global_buffer
      - .address_space:  global
        .offset:         48
        .size:           8
        .value_kind:     global_buffer
      - .address_space:  global
        .offset:         56
        .size:           8
        .value_kind:     global_buffer
      - .offset:         64
        .size:           4
        .value_kind:     by_value
      - .offset:         68
        .size:           4
        .value_kind:     by_value
      - .offset:         72
        .size:           4
        .value_kind:     by_value
      - .offset:         76
        .size:           4
        .value_kind:     by_value
      - .offset:         80
        .size:           4
        .value_kind:     by_value
      - .offset:         84
        .size:           4
        .value_kind:     by_value
      - .offset:         88
        .size:           4
        .value_kind:     by_value
      - .offset:         92
        .size:           12
        .value_kind:     by_value
      - .offset:         104
        .size:           4
        .value_kind:     by_value
      - .offset:         108
        .size:           4
        .value_kind:     by_value
      - .offset:         112
        .size:           4
        .value_kind:     by_value
      - .offset:         116
        .size:           4
        .value_kind:     by_value
      - .offset:         120
        .size:           4
        .value_kind:     by_value
      - .offset:         124
        .size:           4
        .value_kind:     by_value
      - .offset:         128
        .size:           4
        .value_kind:     by_value
      - .offset:         132
        .size:           4
        .value_kind:     by_value
      - .offset:         136
        .size:           4
        .value_kind:     by_value
      - .offset:         140
        .size:           4
        .value_kind:     by_value
      - .offset:         144
        .size:           4
        .value_kind:     by_value
      - .offset:         152
        .size:           8
        .value_kind:     by_value
      - .offset:         160
        .size:           4
        .value_kind:     by_value
      - .offset:         164
        .size:           4
        .value_kind:     by_value
      - .offset:         168
        .size:           8
        .value_kind:     by_value
      - .offset:         176
        .size:           4
        .value_kind:     by_value
      - .offset:         180
        .size:           4
        .value_kind:     by_value
      - .offset:         184
        .size:           4
        .value_kind:     by_value
      - .offset:         188
        .size:           4
        .value_kind:     by_value
      - .offset:         192
        .size:           4
        .value_kind:     by_value
      - .offset:         200
        .size:           8
        .value_kind:     by_value
      - .offset:         208
        .size:           4
        .value_kind:     hidden_block_count_x
      - .offset:         212
        .size:           4
        .value_kind:     hidden_block_count_y
      - .offset:         216
        .size:           4
        .value_kind:     hidden_block_count_z
      - .offset:         220
        .size:           2
        .value_kind:     hidden_group_size_x
      - .offset:         222
        .size:           2
        .value_kind:     hidden_group_size_y
      - .offset:         224
        .size:           2
        .value_kind:     hidden_group_size_z
      - .offset:         226
        .size:           2
        .value_kind:     hidden_remainder_x
      - .offset:         228
        .size:           2
        .value_kind:     hidden_remainder_y
      - .offset:         230
        .size:           2
        .value_kind:     hidden_remainder_z
      - .offset:         248
        .size:           8
        .value_kind:     hidden_global_offset_x
      - .offset:         256
        .size:           8
        .value_kind:     hidden_global_offset_y
      - .offset:         264
        .size:           8
        .value_kind:     hidden_global_offset_z
      - .offset:         272
        .size:           2
        .value_kind:     hidden_grid_dims
      - .offset:         288
        .size:           8
        .value_kind:     hidden_hostcall_buffer
    .group_segment_fixed_size: 0
    .kernarg_segment_align: 8
    .kernarg_segment_size: 464
    .language:       OpenCL C
    .language_version:
      - 2
      - 0
    .max_flat_workgroup_size: 128
    .name:           _ZL15flash_attn_tileILi80ELi80ELi2ELi2ELb1EEvPKcS1_S1_S1_S1_PKiPfP15HIP_vector_typeIfLj2EEffffjfiS5_IjLj3EEiiiiiiiiiiiliiliiiiil
    .private_segment_fixed_size: 16
    .sgpr_count:     40
    .sgpr_spill_count: 0
    .symbol:         _ZL15flash_attn_tileILi80ELi80ELi2ELi2ELb1EEvPKcS1_S1_S1_S1_PKiPfP15HIP_vector_typeIfLj2EEffffjfiS5_IjLj3EEiiiiiiiiiiiliiliiiiil.kd
    .uniform_work_group_size: 1
    .uses_dynamic_stack: false
    .vgpr_count:     39
    .vgpr_spill_count: 0
    .wavefront_size: 64
  - .agpr_count:     0
    .args:
      - .address_space:  global
        .offset:         0
        .size:           8
        .value_kind:     global_buffer
      - .address_space:  global
        .offset:         8
        .size:           8
        .value_kind:     global_buffer
      - .address_space:  global
        .offset:         16
        .size:           8
        .value_kind:     global_buffer
      - .address_space:  global
        .offset:         24
        .size:           8
        .value_kind:     global_buffer
      - .address_space:  global
        .offset:         32
        .size:           8
        .value_kind:     global_buffer
      - .address_space:  global
        .offset:         40
        .size:           8
        .value_kind:     global_buffer
      - .address_space:  global
        .offset:         48
        .size:           8
        .value_kind:     global_buffer
      - .address_space:  global
        .offset:         56
        .size:           8
        .value_kind:     global_buffer
      - .offset:         64
        .size:           4
        .value_kind:     by_value
      - .offset:         68
        .size:           4
        .value_kind:     by_value
      - .offset:         72
        .size:           4
        .value_kind:     by_value
      - .offset:         76
        .size:           4
        .value_kind:     by_value
      - .offset:         80
        .size:           4
        .value_kind:     by_value
      - .offset:         84
        .size:           4
        .value_kind:     by_value
      - .offset:         88
        .size:           4
        .value_kind:     by_value
      - .offset:         92
        .size:           12
        .value_kind:     by_value
      - .offset:         104
        .size:           4
        .value_kind:     by_value
      - .offset:         108
        .size:           4
        .value_kind:     by_value
      - .offset:         112
        .size:           4
        .value_kind:     by_value
      - .offset:         116
        .size:           4
        .value_kind:     by_value
      - .offset:         120
        .size:           4
        .value_kind:     by_value
      - .offset:         124
        .size:           4
        .value_kind:     by_value
      - .offset:         128
        .size:           4
        .value_kind:     by_value
      - .offset:         132
        .size:           4
        .value_kind:     by_value
      - .offset:         136
        .size:           4
        .value_kind:     by_value
      - .offset:         140
        .size:           4
        .value_kind:     by_value
      - .offset:         144
        .size:           4
        .value_kind:     by_value
      - .offset:         152
        .size:           8
        .value_kind:     by_value
      - .offset:         160
        .size:           4
        .value_kind:     by_value
      - .offset:         164
        .size:           4
        .value_kind:     by_value
      - .offset:         168
        .size:           8
        .value_kind:     by_value
      - .offset:         176
        .size:           4
        .value_kind:     by_value
      - .offset:         180
        .size:           4
        .value_kind:     by_value
      - .offset:         184
        .size:           4
        .value_kind:     by_value
      - .offset:         188
        .size:           4
        .value_kind:     by_value
      - .offset:         192
        .size:           4
        .value_kind:     by_value
      - .offset:         200
        .size:           8
        .value_kind:     by_value
      - .offset:         208
        .size:           4
        .value_kind:     hidden_block_count_x
      - .offset:         212
        .size:           4
        .value_kind:     hidden_block_count_y
      - .offset:         216
        .size:           4
        .value_kind:     hidden_block_count_z
      - .offset:         220
        .size:           2
        .value_kind:     hidden_group_size_x
      - .offset:         222
        .size:           2
        .value_kind:     hidden_group_size_y
      - .offset:         224
        .size:           2
        .value_kind:     hidden_group_size_z
      - .offset:         226
        .size:           2
        .value_kind:     hidden_remainder_x
      - .offset:         228
        .size:           2
        .value_kind:     hidden_remainder_y
      - .offset:         230
        .size:           2
        .value_kind:     hidden_remainder_z
      - .offset:         248
        .size:           8
        .value_kind:     hidden_global_offset_x
      - .offset:         256
        .size:           8
        .value_kind:     hidden_global_offset_y
      - .offset:         264
        .size:           8
        .value_kind:     hidden_global_offset_z
      - .offset:         272
        .size:           2
        .value_kind:     hidden_grid_dims
      - .offset:         288
        .size:           8
        .value_kind:     hidden_hostcall_buffer
    .group_segment_fixed_size: 0
    .kernarg_segment_align: 8
    .kernarg_segment_size: 464
    .language:       OpenCL C
    .language_version:
      - 2
      - 0
    .max_flat_workgroup_size: 64
    .name:           _ZL15flash_attn_tileILi80ELi80ELi1ELi2ELb1EEvPKcS1_S1_S1_S1_PKiPfP15HIP_vector_typeIfLj2EEffffjfiS5_IjLj3EEiiiiiiiiiiiliiliiiiil
    .private_segment_fixed_size: 16
    .sgpr_count:     40
    .sgpr_spill_count: 0
    .symbol:         _ZL15flash_attn_tileILi80ELi80ELi1ELi2ELb1EEvPKcS1_S1_S1_S1_PKiPfP15HIP_vector_typeIfLj2EEffffjfiS5_IjLj3EEiiiiiiiiiiiliiliiiiil.kd
    .uniform_work_group_size: 1
    .uses_dynamic_stack: false
    .vgpr_count:     39
    .vgpr_spill_count: 0
    .wavefront_size: 64
  - .agpr_count:     0
    .args:
      - .address_space:  global
        .offset:         0
        .size:           8
        .value_kind:     global_buffer
      - .address_space:  global
        .offset:         8
        .size:           8
        .value_kind:     global_buffer
      - .address_space:  global
        .offset:         16
        .size:           8
        .value_kind:     global_buffer
      - .address_space:  global
        .offset:         24
        .size:           8
        .value_kind:     global_buffer
      - .address_space:  global
        .offset:         32
        .size:           8
        .value_kind:     global_buffer
      - .address_space:  global
        .offset:         40
        .size:           8
        .value_kind:     global_buffer
      - .address_space:  global
        .offset:         48
        .size:           8
        .value_kind:     global_buffer
      - .address_space:  global
        .offset:         56
        .size:           8
        .value_kind:     global_buffer
      - .offset:         64
        .size:           4
        .value_kind:     by_value
      - .offset:         68
        .size:           4
        .value_kind:     by_value
      - .offset:         72
        .size:           4
        .value_kind:     by_value
      - .offset:         76
        .size:           4
        .value_kind:     by_value
      - .offset:         80
        .size:           4
        .value_kind:     by_value
      - .offset:         84
        .size:           4
        .value_kind:     by_value
      - .offset:         88
        .size:           4
        .value_kind:     by_value
      - .offset:         92
        .size:           12
        .value_kind:     by_value
      - .offset:         104
        .size:           4
        .value_kind:     by_value
      - .offset:         108
        .size:           4
        .value_kind:     by_value
      - .offset:         112
        .size:           4
        .value_kind:     by_value
      - .offset:         116
        .size:           4
        .value_kind:     by_value
      - .offset:         120
        .size:           4
        .value_kind:     by_value
      - .offset:         124
        .size:           4
        .value_kind:     by_value
      - .offset:         128
        .size:           4
        .value_kind:     by_value
      - .offset:         132
        .size:           4
        .value_kind:     by_value
      - .offset:         136
        .size:           4
        .value_kind:     by_value
      - .offset:         140
        .size:           4
        .value_kind:     by_value
      - .offset:         144
        .size:           4
        .value_kind:     by_value
      - .offset:         152
        .size:           8
        .value_kind:     by_value
      - .offset:         160
        .size:           4
        .value_kind:     by_value
      - .offset:         164
        .size:           4
        .value_kind:     by_value
      - .offset:         168
        .size:           8
        .value_kind:     by_value
      - .offset:         176
        .size:           4
        .value_kind:     by_value
      - .offset:         180
        .size:           4
        .value_kind:     by_value
      - .offset:         184
        .size:           4
        .value_kind:     by_value
      - .offset:         188
        .size:           4
        .value_kind:     by_value
      - .offset:         192
        .size:           4
        .value_kind:     by_value
      - .offset:         200
        .size:           8
        .value_kind:     by_value
      - .offset:         208
        .size:           4
        .value_kind:     hidden_block_count_x
      - .offset:         212
        .size:           4
        .value_kind:     hidden_block_count_y
      - .offset:         216
        .size:           4
        .value_kind:     hidden_block_count_z
      - .offset:         220
        .size:           2
        .value_kind:     hidden_group_size_x
      - .offset:         222
        .size:           2
        .value_kind:     hidden_group_size_y
      - .offset:         224
        .size:           2
        .value_kind:     hidden_group_size_z
      - .offset:         226
        .size:           2
        .value_kind:     hidden_remainder_x
      - .offset:         228
        .size:           2
        .value_kind:     hidden_remainder_y
      - .offset:         230
        .size:           2
        .value_kind:     hidden_remainder_z
      - .offset:         248
        .size:           8
        .value_kind:     hidden_global_offset_x
      - .offset:         256
        .size:           8
        .value_kind:     hidden_global_offset_y
      - .offset:         264
        .size:           8
        .value_kind:     hidden_global_offset_z
      - .offset:         272
        .size:           2
        .value_kind:     hidden_grid_dims
      - .offset:         288
        .size:           8
        .value_kind:     hidden_hostcall_buffer
    .group_segment_fixed_size: 0
    .kernarg_segment_align: 8
    .kernarg_segment_size: 464
    .language:       OpenCL C
    .language_version:
      - 2
      - 0
    .max_flat_workgroup_size: 256
    .name:           _ZL15flash_attn_tileILi80ELi80ELi64ELi1ELb1EEvPKcS1_S1_S1_S1_PKiPfP15HIP_vector_typeIfLj2EEffffjfiS5_IjLj3EEiiiiiiiiiiiliiliiiiil
    .private_segment_fixed_size: 16
    .sgpr_count:     40
    .sgpr_spill_count: 0
    .symbol:         _ZL15flash_attn_tileILi80ELi80ELi64ELi1ELb1EEvPKcS1_S1_S1_S1_PKiPfP15HIP_vector_typeIfLj2EEffffjfiS5_IjLj3EEiiiiiiiiiiiliiliiiiil.kd
    .uniform_work_group_size: 1
    .uses_dynamic_stack: false
    .vgpr_count:     39
    .vgpr_spill_count: 0
    .wavefront_size: 64
  - .agpr_count:     0
    .args:
      - .address_space:  global
        .offset:         0
        .size:           8
        .value_kind:     global_buffer
      - .address_space:  global
        .offset:         8
        .size:           8
        .value_kind:     global_buffer
      - .address_space:  global
        .offset:         16
        .size:           8
        .value_kind:     global_buffer
      - .address_space:  global
        .offset:         24
        .size:           8
        .value_kind:     global_buffer
      - .address_space:  global
        .offset:         32
        .size:           8
        .value_kind:     global_buffer
      - .address_space:  global
        .offset:         40
        .size:           8
        .value_kind:     global_buffer
      - .address_space:  global
        .offset:         48
        .size:           8
        .value_kind:     global_buffer
      - .address_space:  global
        .offset:         56
        .size:           8
        .value_kind:     global_buffer
      - .offset:         64
        .size:           4
        .value_kind:     by_value
      - .offset:         68
        .size:           4
        .value_kind:     by_value
      - .offset:         72
        .size:           4
        .value_kind:     by_value
      - .offset:         76
        .size:           4
        .value_kind:     by_value
      - .offset:         80
        .size:           4
        .value_kind:     by_value
      - .offset:         84
        .size:           4
        .value_kind:     by_value
      - .offset:         88
        .size:           4
        .value_kind:     by_value
      - .offset:         92
        .size:           12
        .value_kind:     by_value
      - .offset:         104
        .size:           4
        .value_kind:     by_value
      - .offset:         108
        .size:           4
        .value_kind:     by_value
      - .offset:         112
        .size:           4
        .value_kind:     by_value
      - .offset:         116
        .size:           4
        .value_kind:     by_value
      - .offset:         120
        .size:           4
        .value_kind:     by_value
      - .offset:         124
        .size:           4
        .value_kind:     by_value
      - .offset:         128
        .size:           4
        .value_kind:     by_value
      - .offset:         132
        .size:           4
        .value_kind:     by_value
      - .offset:         136
        .size:           4
        .value_kind:     by_value
      - .offset:         140
        .size:           4
        .value_kind:     by_value
      - .offset:         144
        .size:           4
        .value_kind:     by_value
      - .offset:         152
        .size:           8
        .value_kind:     by_value
      - .offset:         160
        .size:           4
        .value_kind:     by_value
      - .offset:         164
        .size:           4
        .value_kind:     by_value
      - .offset:         168
        .size:           8
        .value_kind:     by_value
      - .offset:         176
        .size:           4
        .value_kind:     by_value
      - .offset:         180
        .size:           4
        .value_kind:     by_value
      - .offset:         184
        .size:           4
        .value_kind:     by_value
      - .offset:         188
        .size:           4
        .value_kind:     by_value
      - .offset:         192
        .size:           4
        .value_kind:     by_value
      - .offset:         200
        .size:           8
        .value_kind:     by_value
      - .offset:         208
        .size:           4
        .value_kind:     hidden_block_count_x
      - .offset:         212
        .size:           4
        .value_kind:     hidden_block_count_y
      - .offset:         216
        .size:           4
        .value_kind:     hidden_block_count_z
      - .offset:         220
        .size:           2
        .value_kind:     hidden_group_size_x
      - .offset:         222
        .size:           2
        .value_kind:     hidden_group_size_y
      - .offset:         224
        .size:           2
        .value_kind:     hidden_group_size_z
      - .offset:         226
        .size:           2
        .value_kind:     hidden_remainder_x
      - .offset:         228
        .size:           2
        .value_kind:     hidden_remainder_y
      - .offset:         230
        .size:           2
        .value_kind:     hidden_remainder_z
      - .offset:         248
        .size:           8
        .value_kind:     hidden_global_offset_x
      - .offset:         256
        .size:           8
        .value_kind:     hidden_global_offset_y
      - .offset:         264
        .size:           8
        .value_kind:     hidden_global_offset_z
      - .offset:         272
        .size:           2
        .value_kind:     hidden_grid_dims
      - .offset:         288
        .size:           8
        .value_kind:     hidden_hostcall_buffer
    .group_segment_fixed_size: 0
    .kernarg_segment_align: 8
    .kernarg_segment_size: 464
    .language:       OpenCL C
    .language_version:
      - 2
      - 0
    .max_flat_workgroup_size: 256
    .name:           _ZL15flash_attn_tileILi80ELi80ELi32ELi1ELb1EEvPKcS1_S1_S1_S1_PKiPfP15HIP_vector_typeIfLj2EEffffjfiS5_IjLj3EEiiiiiiiiiiiliiliiiiil
    .private_segment_fixed_size: 16
    .sgpr_count:     40
    .sgpr_spill_count: 0
    .symbol:         _ZL15flash_attn_tileILi80ELi80ELi32ELi1ELb1EEvPKcS1_S1_S1_S1_PKiPfP15HIP_vector_typeIfLj2EEffffjfiS5_IjLj3EEiiiiiiiiiiiliiliiiiil.kd
    .uniform_work_group_size: 1
    .uses_dynamic_stack: false
    .vgpr_count:     39
    .vgpr_spill_count: 0
    .wavefront_size: 64
  - .agpr_count:     0
    .args:
      - .address_space:  global
        .offset:         0
        .size:           8
        .value_kind:     global_buffer
      - .address_space:  global
        .offset:         8
        .size:           8
        .value_kind:     global_buffer
      - .address_space:  global
        .offset:         16
        .size:           8
        .value_kind:     global_buffer
      - .address_space:  global
        .offset:         24
        .size:           8
        .value_kind:     global_buffer
      - .address_space:  global
        .offset:         32
        .size:           8
        .value_kind:     global_buffer
      - .address_space:  global
        .offset:         40
        .size:           8
        .value_kind:     global_buffer
      - .address_space:  global
        .offset:         48
        .size:           8
        .value_kind:     global_buffer
      - .address_space:  global
        .offset:         56
        .size:           8
        .value_kind:     global_buffer
      - .offset:         64
        .size:           4
        .value_kind:     by_value
      - .offset:         68
        .size:           4
        .value_kind:     by_value
      - .offset:         72
        .size:           4
        .value_kind:     by_value
      - .offset:         76
        .size:           4
        .value_kind:     by_value
      - .offset:         80
        .size:           4
        .value_kind:     by_value
      - .offset:         84
        .size:           4
        .value_kind:     by_value
      - .offset:         88
        .size:           4
        .value_kind:     by_value
      - .offset:         92
        .size:           12
        .value_kind:     by_value
      - .offset:         104
        .size:           4
        .value_kind:     by_value
      - .offset:         108
        .size:           4
        .value_kind:     by_value
      - .offset:         112
        .size:           4
        .value_kind:     by_value
      - .offset:         116
        .size:           4
        .value_kind:     by_value
      - .offset:         120
        .size:           4
        .value_kind:     by_value
      - .offset:         124
        .size:           4
        .value_kind:     by_value
      - .offset:         128
        .size:           4
        .value_kind:     by_value
      - .offset:         132
        .size:           4
        .value_kind:     by_value
      - .offset:         136
        .size:           4
        .value_kind:     by_value
      - .offset:         140
        .size:           4
        .value_kind:     by_value
      - .offset:         144
        .size:           4
        .value_kind:     by_value
      - .offset:         152
        .size:           8
        .value_kind:     by_value
      - .offset:         160
        .size:           4
        .value_kind:     by_value
      - .offset:         164
        .size:           4
        .value_kind:     by_value
      - .offset:         168
        .size:           8
        .value_kind:     by_value
      - .offset:         176
        .size:           4
        .value_kind:     by_value
      - .offset:         180
        .size:           4
        .value_kind:     by_value
      - .offset:         184
        .size:           4
        .value_kind:     by_value
      - .offset:         188
        .size:           4
        .value_kind:     by_value
      - .offset:         192
        .size:           4
        .value_kind:     by_value
      - .offset:         200
        .size:           8
        .value_kind:     by_value
      - .offset:         208
        .size:           4
        .value_kind:     hidden_block_count_x
      - .offset:         212
        .size:           4
        .value_kind:     hidden_block_count_y
      - .offset:         216
        .size:           4
        .value_kind:     hidden_block_count_z
      - .offset:         220
        .size:           2
        .value_kind:     hidden_group_size_x
      - .offset:         222
        .size:           2
        .value_kind:     hidden_group_size_y
      - .offset:         224
        .size:           2
        .value_kind:     hidden_group_size_z
      - .offset:         226
        .size:           2
        .value_kind:     hidden_remainder_x
      - .offset:         228
        .size:           2
        .value_kind:     hidden_remainder_y
      - .offset:         230
        .size:           2
        .value_kind:     hidden_remainder_z
      - .offset:         248
        .size:           8
        .value_kind:     hidden_global_offset_x
      - .offset:         256
        .size:           8
        .value_kind:     hidden_global_offset_y
      - .offset:         264
        .size:           8
        .value_kind:     hidden_global_offset_z
      - .offset:         272
        .size:           2
        .value_kind:     hidden_grid_dims
      - .offset:         288
        .size:           8
        .value_kind:     hidden_hostcall_buffer
    .group_segment_fixed_size: 0
    .kernarg_segment_align: 8
    .kernarg_segment_size: 464
    .language:       OpenCL C
    .language_version:
      - 2
      - 0
    .max_flat_workgroup_size: 256
    .name:           _ZL15flash_attn_tileILi80ELi80ELi16ELi1ELb1EEvPKcS1_S1_S1_S1_PKiPfP15HIP_vector_typeIfLj2EEffffjfiS5_IjLj3EEiiiiiiiiiiiliiliiiiil
    .private_segment_fixed_size: 16
    .sgpr_count:     40
    .sgpr_spill_count: 0
    .symbol:         _ZL15flash_attn_tileILi80ELi80ELi16ELi1ELb1EEvPKcS1_S1_S1_S1_PKiPfP15HIP_vector_typeIfLj2EEffffjfiS5_IjLj3EEiiiiiiiiiiiliiliiiiil.kd
    .uniform_work_group_size: 1
    .uses_dynamic_stack: false
    .vgpr_count:     39
    .vgpr_spill_count: 0
    .wavefront_size: 64
  - .agpr_count:     0
    .args:
      - .address_space:  global
        .offset:         0
        .size:           8
        .value_kind:     global_buffer
      - .address_space:  global
        .offset:         8
        .size:           8
        .value_kind:     global_buffer
      - .address_space:  global
        .offset:         16
        .size:           8
        .value_kind:     global_buffer
      - .address_space:  global
        .offset:         24
        .size:           8
        .value_kind:     global_buffer
      - .address_space:  global
        .offset:         32
        .size:           8
        .value_kind:     global_buffer
      - .address_space:  global
        .offset:         40
        .size:           8
        .value_kind:     global_buffer
      - .address_space:  global
        .offset:         48
        .size:           8
        .value_kind:     global_buffer
      - .address_space:  global
        .offset:         56
        .size:           8
        .value_kind:     global_buffer
      - .offset:         64
        .size:           4
        .value_kind:     by_value
      - .offset:         68
        .size:           4
        .value_kind:     by_value
      - .offset:         72
        .size:           4
        .value_kind:     by_value
      - .offset:         76
        .size:           4
        .value_kind:     by_value
      - .offset:         80
        .size:           4
        .value_kind:     by_value
      - .offset:         84
        .size:           4
        .value_kind:     by_value
      - .offset:         88
        .size:           4
        .value_kind:     by_value
      - .offset:         92
        .size:           12
        .value_kind:     by_value
      - .offset:         104
        .size:           4
        .value_kind:     by_value
      - .offset:         108
        .size:           4
        .value_kind:     by_value
      - .offset:         112
        .size:           4
        .value_kind:     by_value
      - .offset:         116
        .size:           4
        .value_kind:     by_value
      - .offset:         120
        .size:           4
        .value_kind:     by_value
      - .offset:         124
        .size:           4
        .value_kind:     by_value
      - .offset:         128
        .size:           4
        .value_kind:     by_value
      - .offset:         132
        .size:           4
        .value_kind:     by_value
      - .offset:         136
        .size:           4
        .value_kind:     by_value
      - .offset:         140
        .size:           4
        .value_kind:     by_value
      - .offset:         144
        .size:           4
        .value_kind:     by_value
      - .offset:         152
        .size:           8
        .value_kind:     by_value
      - .offset:         160
        .size:           4
        .value_kind:     by_value
      - .offset:         164
        .size:           4
        .value_kind:     by_value
      - .offset:         168
        .size:           8
        .value_kind:     by_value
      - .offset:         176
        .size:           4
        .value_kind:     by_value
      - .offset:         180
        .size:           4
        .value_kind:     by_value
      - .offset:         184
        .size:           4
        .value_kind:     by_value
      - .offset:         188
        .size:           4
        .value_kind:     by_value
      - .offset:         192
        .size:           4
        .value_kind:     by_value
      - .offset:         200
        .size:           8
        .value_kind:     by_value
      - .offset:         208
        .size:           4
        .value_kind:     hidden_block_count_x
      - .offset:         212
        .size:           4
        .value_kind:     hidden_block_count_y
      - .offset:         216
        .size:           4
        .value_kind:     hidden_block_count_z
      - .offset:         220
        .size:           2
        .value_kind:     hidden_group_size_x
      - .offset:         222
        .size:           2
        .value_kind:     hidden_group_size_y
      - .offset:         224
        .size:           2
        .value_kind:     hidden_group_size_z
      - .offset:         226
        .size:           2
        .value_kind:     hidden_remainder_x
      - .offset:         228
        .size:           2
        .value_kind:     hidden_remainder_y
      - .offset:         230
        .size:           2
        .value_kind:     hidden_remainder_z
      - .offset:         248
        .size:           8
        .value_kind:     hidden_global_offset_x
      - .offset:         256
        .size:           8
        .value_kind:     hidden_global_offset_y
      - .offset:         264
        .size:           8
        .value_kind:     hidden_global_offset_z
      - .offset:         272
        .size:           2
        .value_kind:     hidden_grid_dims
      - .offset:         288
        .size:           8
        .value_kind:     hidden_hostcall_buffer
    .group_segment_fixed_size: 0
    .kernarg_segment_align: 8
    .kernarg_segment_size: 464
    .language:       OpenCL C
    .language_version:
      - 2
      - 0
    .max_flat_workgroup_size: 256
    .name:           _ZL15flash_attn_tileILi80ELi80ELi8ELi1ELb1EEvPKcS1_S1_S1_S1_PKiPfP15HIP_vector_typeIfLj2EEffffjfiS5_IjLj3EEiiiiiiiiiiiliiliiiiil
    .private_segment_fixed_size: 16
    .sgpr_count:     40
    .sgpr_spill_count: 0
    .symbol:         _ZL15flash_attn_tileILi80ELi80ELi8ELi1ELb1EEvPKcS1_S1_S1_S1_PKiPfP15HIP_vector_typeIfLj2EEffffjfiS5_IjLj3EEiiiiiiiiiiiliiliiiiil.kd
    .uniform_work_group_size: 1
    .uses_dynamic_stack: false
    .vgpr_count:     39
    .vgpr_spill_count: 0
    .wavefront_size: 64
  - .agpr_count:     0
    .args:
      - .address_space:  global
        .offset:         0
        .size:           8
        .value_kind:     global_buffer
      - .address_space:  global
        .offset:         8
        .size:           8
        .value_kind:     global_buffer
      - .address_space:  global
        .offset:         16
        .size:           8
        .value_kind:     global_buffer
      - .address_space:  global
        .offset:         24
        .size:           8
        .value_kind:     global_buffer
      - .address_space:  global
        .offset:         32
        .size:           8
        .value_kind:     global_buffer
      - .address_space:  global
        .offset:         40
        .size:           8
        .value_kind:     global_buffer
      - .address_space:  global
        .offset:         48
        .size:           8
        .value_kind:     global_buffer
      - .address_space:  global
        .offset:         56
        .size:           8
        .value_kind:     global_buffer
      - .offset:         64
        .size:           4
        .value_kind:     by_value
      - .offset:         68
        .size:           4
        .value_kind:     by_value
      - .offset:         72
        .size:           4
        .value_kind:     by_value
      - .offset:         76
        .size:           4
        .value_kind:     by_value
      - .offset:         80
        .size:           4
        .value_kind:     by_value
      - .offset:         84
        .size:           4
        .value_kind:     by_value
      - .offset:         88
        .size:           4
        .value_kind:     by_value
      - .offset:         92
        .size:           12
        .value_kind:     by_value
      - .offset:         104
        .size:           4
        .value_kind:     by_value
      - .offset:         108
        .size:           4
        .value_kind:     by_value
      - .offset:         112
        .size:           4
        .value_kind:     by_value
      - .offset:         116
        .size:           4
        .value_kind:     by_value
      - .offset:         120
        .size:           4
        .value_kind:     by_value
      - .offset:         124
        .size:           4
        .value_kind:     by_value
      - .offset:         128
        .size:           4
        .value_kind:     by_value
      - .offset:         132
        .size:           4
        .value_kind:     by_value
      - .offset:         136
        .size:           4
        .value_kind:     by_value
      - .offset:         140
        .size:           4
        .value_kind:     by_value
      - .offset:         144
        .size:           4
        .value_kind:     by_value
      - .offset:         152
        .size:           8
        .value_kind:     by_value
      - .offset:         160
        .size:           4
        .value_kind:     by_value
      - .offset:         164
        .size:           4
        .value_kind:     by_value
      - .offset:         168
        .size:           8
        .value_kind:     by_value
      - .offset:         176
        .size:           4
        .value_kind:     by_value
      - .offset:         180
        .size:           4
        .value_kind:     by_value
      - .offset:         184
        .size:           4
        .value_kind:     by_value
      - .offset:         188
        .size:           4
        .value_kind:     by_value
      - .offset:         192
        .size:           4
        .value_kind:     by_value
      - .offset:         200
        .size:           8
        .value_kind:     by_value
      - .offset:         208
        .size:           4
        .value_kind:     hidden_block_count_x
      - .offset:         212
        .size:           4
        .value_kind:     hidden_block_count_y
      - .offset:         216
        .size:           4
        .value_kind:     hidden_block_count_z
      - .offset:         220
        .size:           2
        .value_kind:     hidden_group_size_x
      - .offset:         222
        .size:           2
        .value_kind:     hidden_group_size_y
      - .offset:         224
        .size:           2
        .value_kind:     hidden_group_size_z
      - .offset:         226
        .size:           2
        .value_kind:     hidden_remainder_x
      - .offset:         228
        .size:           2
        .value_kind:     hidden_remainder_y
      - .offset:         230
        .size:           2
        .value_kind:     hidden_remainder_z
      - .offset:         248
        .size:           8
        .value_kind:     hidden_global_offset_x
      - .offset:         256
        .size:           8
        .value_kind:     hidden_global_offset_y
      - .offset:         264
        .size:           8
        .value_kind:     hidden_global_offset_z
      - .offset:         272
        .size:           2
        .value_kind:     hidden_grid_dims
      - .offset:         288
        .size:           8
        .value_kind:     hidden_hostcall_buffer
    .group_segment_fixed_size: 0
    .kernarg_segment_align: 8
    .kernarg_segment_size: 464
    .language:       OpenCL C
    .language_version:
      - 2
      - 0
    .max_flat_workgroup_size: 128
    .name:           _ZL15flash_attn_tileILi80ELi80ELi4ELi1ELb1EEvPKcS1_S1_S1_S1_PKiPfP15HIP_vector_typeIfLj2EEffffjfiS5_IjLj3EEiiiiiiiiiiiliiliiiiil
    .private_segment_fixed_size: 16
    .sgpr_count:     40
    .sgpr_spill_count: 0
    .symbol:         _ZL15flash_attn_tileILi80ELi80ELi4ELi1ELb1EEvPKcS1_S1_S1_S1_PKiPfP15HIP_vector_typeIfLj2EEffffjfiS5_IjLj3EEiiiiiiiiiiiliiliiiiil.kd
    .uniform_work_group_size: 1
    .uses_dynamic_stack: false
    .vgpr_count:     39
    .vgpr_spill_count: 0
    .wavefront_size: 64
  - .agpr_count:     0
    .args:
      - .address_space:  global
        .offset:         0
        .size:           8
        .value_kind:     global_buffer
      - .address_space:  global
        .offset:         8
        .size:           8
        .value_kind:     global_buffer
      - .address_space:  global
        .offset:         16
        .size:           8
        .value_kind:     global_buffer
      - .address_space:  global
        .offset:         24
        .size:           8
        .value_kind:     global_buffer
      - .address_space:  global
        .offset:         32
        .size:           8
        .value_kind:     global_buffer
      - .address_space:  global
        .offset:         40
        .size:           8
        .value_kind:     global_buffer
      - .address_space:  global
        .offset:         48
        .size:           8
        .value_kind:     global_buffer
      - .address_space:  global
        .offset:         56
        .size:           8
        .value_kind:     global_buffer
      - .offset:         64
        .size:           4
        .value_kind:     by_value
      - .offset:         68
        .size:           4
        .value_kind:     by_value
      - .offset:         72
        .size:           4
        .value_kind:     by_value
      - .offset:         76
        .size:           4
        .value_kind:     by_value
      - .offset:         80
        .size:           4
        .value_kind:     by_value
      - .offset:         84
        .size:           4
        .value_kind:     by_value
      - .offset:         88
        .size:           4
        .value_kind:     by_value
      - .offset:         92
        .size:           12
        .value_kind:     by_value
      - .offset:         104
        .size:           4
        .value_kind:     by_value
      - .offset:         108
        .size:           4
        .value_kind:     by_value
      - .offset:         112
        .size:           4
        .value_kind:     by_value
      - .offset:         116
        .size:           4
        .value_kind:     by_value
      - .offset:         120
        .size:           4
        .value_kind:     by_value
      - .offset:         124
        .size:           4
        .value_kind:     by_value
      - .offset:         128
        .size:           4
        .value_kind:     by_value
      - .offset:         132
        .size:           4
        .value_kind:     by_value
      - .offset:         136
        .size:           4
        .value_kind:     by_value
      - .offset:         140
        .size:           4
        .value_kind:     by_value
      - .offset:         144
        .size:           4
        .value_kind:     by_value
      - .offset:         152
        .size:           8
        .value_kind:     by_value
      - .offset:         160
        .size:           4
        .value_kind:     by_value
      - .offset:         164
        .size:           4
        .value_kind:     by_value
      - .offset:         168
        .size:           8
        .value_kind:     by_value
      - .offset:         176
        .size:           4
        .value_kind:     by_value
      - .offset:         180
        .size:           4
        .value_kind:     by_value
      - .offset:         184
        .size:           4
        .value_kind:     by_value
      - .offset:         188
        .size:           4
        .value_kind:     by_value
      - .offset:         192
        .size:           4
        .value_kind:     by_value
      - .offset:         200
        .size:           8
        .value_kind:     by_value
      - .offset:         208
        .size:           4
        .value_kind:     hidden_block_count_x
      - .offset:         212
        .size:           4
        .value_kind:     hidden_block_count_y
      - .offset:         216
        .size:           4
        .value_kind:     hidden_block_count_z
      - .offset:         220
        .size:           2
        .value_kind:     hidden_group_size_x
      - .offset:         222
        .size:           2
        .value_kind:     hidden_group_size_y
      - .offset:         224
        .size:           2
        .value_kind:     hidden_group_size_z
      - .offset:         226
        .size:           2
        .value_kind:     hidden_remainder_x
      - .offset:         228
        .size:           2
        .value_kind:     hidden_remainder_y
      - .offset:         230
        .size:           2
        .value_kind:     hidden_remainder_z
      - .offset:         248
        .size:           8
        .value_kind:     hidden_global_offset_x
      - .offset:         256
        .size:           8
        .value_kind:     hidden_global_offset_y
      - .offset:         264
        .size:           8
        .value_kind:     hidden_global_offset_z
      - .offset:         272
        .size:           2
        .value_kind:     hidden_grid_dims
      - .offset:         288
        .size:           8
        .value_kind:     hidden_hostcall_buffer
    .group_segment_fixed_size: 0
    .kernarg_segment_align: 8
    .kernarg_segment_size: 464
    .language:       OpenCL C
    .language_version:
      - 2
      - 0
    .max_flat_workgroup_size: 64
    .name:           _ZL15flash_attn_tileILi80ELi80ELi2ELi1ELb1EEvPKcS1_S1_S1_S1_PKiPfP15HIP_vector_typeIfLj2EEffffjfiS5_IjLj3EEiiiiiiiiiiiliiliiiiil
    .private_segment_fixed_size: 16
    .sgpr_count:     40
    .sgpr_spill_count: 0
    .symbol:         _ZL15flash_attn_tileILi80ELi80ELi2ELi1ELb1EEvPKcS1_S1_S1_S1_PKiPfP15HIP_vector_typeIfLj2EEffffjfiS5_IjLj3EEiiiiiiiiiiiliiliiiiil.kd
    .uniform_work_group_size: 1
    .uses_dynamic_stack: false
    .vgpr_count:     39
    .vgpr_spill_count: 0
    .wavefront_size: 64
amdhsa.target:   amdgcn-amd-amdhsa--gfx942
amdhsa.version:
  - 1
  - 2
...

	.end_amdgpu_metadata
